;; amdgpu-corpus repo=pytorch/pytorch kind=compiled arch=gfx1250 opt=O3
	.amdgcn_target "amdgcn-amd-amdhsa--gfx1250"
	.amdhsa_code_object_version 6
	.text
	.p2align	2                               ; -- Begin function _ZN2at6native25elementwise_kernel_helperILb0EZZZNS0_12_GLOBAL__N_130modified_bessel_i0_kernel_cudaERNS_18TensorIteratorBaseEENKUlvE_clEvENKUlvE_clEvEUldE_NS0_6memory8policies11unroll_baseILi256ESt5arrayIPcLm2EE23TrivialOffsetCalculatorILi1EjESF_NS8_15LoadWithoutCastENS8_16StoreWithoutCastELi4ELi1EEEEEvT0_T1_
	.type	_ZN2at6native25elementwise_kernel_helperILb0EZZZNS0_12_GLOBAL__N_130modified_bessel_i0_kernel_cudaERNS_18TensorIteratorBaseEENKUlvE_clEvENKUlvE_clEvEUldE_NS0_6memory8policies11unroll_baseILi256ESt5arrayIPcLm2EE23TrivialOffsetCalculatorILi1EjESF_NS8_15LoadWithoutCastENS8_16StoreWithoutCastELi4ELi1EEEEEvT0_T1_,@function
_ZN2at6native25elementwise_kernel_helperILb0EZZZNS0_12_GLOBAL__N_130modified_bessel_i0_kernel_cudaERNS_18TensorIteratorBaseEENKUlvE_clEvENKUlvE_clEvEUldE_NS0_6memory8policies11unroll_baseILi256ESt5arrayIPcLm2EE23TrivialOffsetCalculatorILi1EjESF_NS8_15LoadWithoutCastENS8_16StoreWithoutCastELi4ELi1EEEEEvT0_T1_: ; @_ZN2at6native25elementwise_kernel_helperILb0EZZZNS0_12_GLOBAL__N_130modified_bessel_i0_kernel_cudaERNS_18TensorIteratorBaseEENKUlvE_clEvENKUlvE_clEvEUldE_NS0_6memory8policies11unroll_baseILi256ESt5arrayIPcLm2EE23TrivialOffsetCalculatorILi1EjESF_NS8_15LoadWithoutCastENS8_16StoreWithoutCastELi4ELi1EEEEEvT0_T1_
; %bb.0:
	s_wait_loadcnt_dscnt 0x0
	s_wait_kmcnt 0x0
	s_bfe_u32 s0, ttmp6, 0x4000c
	s_and_b32 s1, ttmp6, 15
	s_add_co_i32 s0, s0, 1
	s_getreg_b32 s2, hwreg(HW_REG_IB_STS2, 6, 4)
	s_mul_i32 s0, ttmp9, s0
	v_and_b32_e32 v5, 0x3ff, v31
	s_add_co_i32 s1, s1, s0
	s_cmp_eq_u32 s2, 0
	v_mov_b64_e32 v[18:19], 0
	s_cselect_b32 s0, ttmp9, s1
	v_mov_b64_e32 v[20:21], 0
	s_lshl_b32 s2, s0, 10
	v_cmp_lt_i32_e64 s0, v5, v4
	v_dual_mov_b32 v7, v5 :: v_dual_bitop2_b32 v6, s2, v5 bitop3:0x54
	v_add_nc_u32_e32 v22, 0x100, v5
	s_and_saveexec_b32 s1, s0
	s_cbranch_execz .LBB0_2
; %bb.1:
	v_mov_b32_e32 v7, 0
	s_delay_alu instid0(VALU_DEP_1)
	v_lshl_add_u64 v[8:9], v[6:7], 3, v[2:3]
	v_add_nc_u32_e32 v7, 0x100, v5
	flat_load_b64 v[20:21], v[8:9]
	s_wait_loadcnt_dscnt 0x0
	v_and_b32_e32 v21, 0x7fffffff, v21
.LBB0_2:
	s_wait_xcnt 0x0
	s_or_b32 exec_lo, exec_lo, s1
	s_delay_alu instid0(SALU_CYCLE_1)
	s_mov_b32 s1, exec_lo
	v_cmpx_lt_i32_e64 v7, v4
	s_cbranch_execz .LBB0_4
; %bb.3:
	v_dual_mov_b32 v9, 0 :: v_dual_add_nc_u32 v8, s2, v7
	v_add_nc_u32_e32 v7, 0x100, v7
	s_delay_alu instid0(VALU_DEP_2)
	v_lshl_add_u64 v[8:9], v[8:9], 3, v[2:3]
	flat_load_b64 v[18:19], v[8:9]
	s_wait_loadcnt_dscnt 0x0
	v_and_b32_e32 v19, 0x7fffffff, v19
.LBB0_4:
	s_wait_xcnt 0x0
	s_or_b32 exec_lo, exec_lo, s1
	v_mov_b64_e32 v[8:9], 0
	v_mov_b64_e32 v[10:11], 0
	s_mov_b32 s1, exec_lo
	v_cmpx_lt_i32_e64 v7, v4
	s_cbranch_execz .LBB0_6
; %bb.5:
	v_dual_mov_b32 v11, 0 :: v_dual_add_nc_u32 v10, s2, v7
	v_add_nc_u32_e32 v7, 0x100, v7
	s_delay_alu instid0(VALU_DEP_2)
	v_lshl_add_u64 v[10:11], v[10:11], 3, v[2:3]
	flat_load_b64 v[10:11], v[10:11]
	s_wait_loadcnt_dscnt 0x0
	v_and_b32_e32 v11, 0x7fffffff, v11
.LBB0_6:
	s_or_b32 exec_lo, exec_lo, s1
	s_delay_alu instid0(SALU_CYCLE_1)
	s_mov_b32 s1, exec_lo
	v_cmpx_lt_i32_e64 v7, v4
	s_cbranch_execz .LBB0_8
; %bb.7:
	v_dual_mov_b32 v9, 0 :: v_dual_add_nc_u32 v8, s2, v7
	s_delay_alu instid0(VALU_DEP_1)
	v_lshl_add_u64 v[2:3], v[8:9], 3, v[2:3]
	flat_load_b64 v[8:9], v[2:3]
	s_wait_loadcnt_dscnt 0x0
	v_and_b32_e32 v9, 0x7fffffff, v9
.LBB0_8:
	s_wait_xcnt 0x0
	s_or_b32 exec_lo, exec_lo, s1
	v_mov_b32_e32 v2, 0
	s_delay_alu instid0(VALU_DEP_1)
	v_dual_mov_b32 v3, v2 :: v_dual_mov_b32 v16, v2
	v_dual_mov_b32 v17, v2 :: v_dual_mov_b32 v14, v2
	;; [unrolled: 1-line block ×3, first 2 shown]
	v_mov_b32_e32 v13, v2
	s_and_saveexec_b32 s3, s0
	s_cbranch_execz .LBB0_14
; %bb.9:
	s_mov_b32 s1, exec_lo
                                        ; implicit-def: $vgpr2_vgpr3
	v_cmpx_ge_f64_e32 0x40200000, v[20:21]
	s_xor_b32 s1, exec_lo, s1
	s_cbranch_execz .LBB0_11
; %bb.10:
	v_fma_f64 v[2:3], v[20:21], 0.5, -2.0
	s_mov_b64 s[4:5], 0xbc545cb72134d0ef
	v_mul_f64_e32 v[16:17], 0x3ff71547652b82fe, v[20:21]
	s_delay_alu instid0(VALU_DEP_2) | instskip(SKIP_1) | instid1(VALU_DEP_2)
	v_fmaak_f64 v[12:13], s[4:5], v[2:3], 0x3c833362977da589
	s_mov_b64 s[4:5], 0x3e5ade156a5dcb37
	v_rndne_f64_e32 v[16:17], v[16:17]
	s_delay_alu instid0(VALU_DEP_2) | instskip(NEXT) | instid1(VALU_DEP_1)
	v_fmaak_f64 v[14:15], v[2:3], v[12:13], 0x3c545cb72134d0ef
	v_add_f64_e32 v[14:15], 0xbcb184eb721ebbb4, v[14:15]
	s_delay_alu instid0(VALU_DEP_3) | instskip(SKIP_1) | instid1(VALU_DEP_2)
	v_fmamk_f64 v[20:21], v[16:17], 0xbfe62e42fefa39ef, v[20:21]
	v_cvt_i32_f64_e32 v7, v[16:17]
	v_fmamk_f64 v[20:21], v[16:17], 0xbc7abc9e3b39803f, v[20:21]
	s_delay_alu instid0(VALU_DEP_4) | instskip(NEXT) | instid1(VALU_DEP_2)
	v_fma_f64 v[12:13], v[2:3], v[14:15], -v[12:13]
	v_fmaak_f64 v[24:25], s[4:5], v[20:21], 0x3e928af3fca7ab0c
	s_delay_alu instid0(VALU_DEP_1) | instskip(NEXT) | instid1(VALU_DEP_1)
	v_fmaak_f64 v[24:25], v[20:21], v[24:25], 0x3ec71dee623fde64
	v_fmaak_f64 v[24:25], v[20:21], v[24:25], 0x3efa01997c89e6b0
	s_delay_alu instid0(VALU_DEP_1) | instskip(NEXT) | instid1(VALU_DEP_1)
	v_fmaak_f64 v[24:25], v[20:21], v[24:25], 0x3f2a01a014761f6e
	v_fmaak_f64 v[24:25], v[20:21], v[24:25], 0x3f56c16c1852b7b0
	v_add_f64_e32 v[12:13], 0x3cdee6d893f65eba, v[12:13]
	s_delay_alu instid0(VALU_DEP_1) | instskip(NEXT) | instid1(VALU_DEP_1)
	v_fma_f64 v[14:15], v[2:3], v[12:13], -v[14:15]
	v_add_f64_e32 v[14:15], 0xbd0a5022c297fbeb, v[14:15]
	s_delay_alu instid0(VALU_DEP_1) | instskip(NEXT) | instid1(VALU_DEP_1)
	v_fma_f64 v[12:13], v[2:3], v[14:15], -v[12:13]
	;; [unrolled: 3-line block ×25, first 2 shown]
	v_add_f64_e32 v[14:15], 0xbfd37febc057cd8d, v[14:15]
	s_delay_alu instid0(VALU_DEP_1) | instskip(SKIP_1) | instid1(VALU_DEP_1)
	v_fma_f64 v[2:3], v[2:3], v[14:15], -v[12:13]
	v_fmaak_f64 v[14:15], v[20:21], v[24:25], 0x3f81111111122322
	v_fmaak_f64 v[14:15], v[20:21], v[14:15], 0x3fa55555555502a1
	s_delay_alu instid0(VALU_DEP_1) | instskip(NEXT) | instid1(VALU_DEP_1)
	v_fmaak_f64 v[14:15], v[20:21], v[14:15], 0x3fc5555555555511
	v_fmaak_f64 v[14:15], v[20:21], v[14:15], 0x3fe000000000000b
	s_delay_alu instid0(VALU_DEP_1) | instskip(SKIP_1) | instid1(VALU_DEP_2)
	v_fma_f64 v[14:15], v[20:21], v[14:15], 1.0
	v_add_f64_e32 v[2:3], 0x3fe5a84e9035a22a, v[2:3]
	v_fma_f64 v[14:15], v[20:21], v[14:15], 1.0
                                        ; implicit-def: $vgpr20_vgpr21
	s_delay_alu instid0(VALU_DEP_2) | instskip(NEXT) | instid1(VALU_DEP_2)
	v_add_f64_e64 v[2:3], v[2:3], -v[12:13]
	v_ldexp_f64 v[12:13], v[14:15], v7
	s_delay_alu instid0(VALU_DEP_2) | instskip(NEXT) | instid1(VALU_DEP_1)
	v_mul_f64_e32 v[2:3], 0.5, v[2:3]
	v_mul_f64_e32 v[2:3], v[12:13], v[2:3]
.LBB0_11:
	s_and_not1_saveexec_b32 s4, s1
	s_cbranch_execz .LBB0_13
; %bb.12:
	v_div_scale_f64 v[2:3], null, v[20:21], v[20:21], 0x40400000
	v_div_scale_f64 v[16:17], vcc_lo, 0x40400000, v[20:21], 0x40400000
	v_cmp_nlt_f64_e64 s1, 0x40900000, v[20:21]
	s_mov_b64 s[6:7], 0xbc60adb754ca8b19
	v_mul_f64_e32 v[26:27], 0x3ff71547652b82fe, v[20:21]
	v_rcp_f64_e32 v[12:13], v[2:3]
	s_delay_alu instid0(VALU_DEP_1) | instskip(NEXT) | instid1(VALU_DEP_1)
	v_rndne_f64_e32 v[26:27], v[26:27]
	v_fmamk_f64 v[32:33], v[26:27], 0xbfe62e42fefa39ef, v[20:21]
	s_delay_alu instid0(TRANS32_DEP_1) | instskip(NEXT) | instid1(VALU_DEP_2)
	v_fma_f64 v[14:15], -v[2:3], v[12:13], 1.0
	v_fmamk_f64 v[32:33], v[26:27], 0xbc7abc9e3b39803f, v[32:33]
	s_delay_alu instid0(VALU_DEP_2) | instskip(NEXT) | instid1(VALU_DEP_1)
	v_fmac_f64_e32 v[12:13], v[12:13], v[14:15]
	v_fma_f64 v[14:15], -v[2:3], v[12:13], 1.0
	s_delay_alu instid0(VALU_DEP_1) | instskip(NEXT) | instid1(VALU_DEP_1)
	v_fmac_f64_e32 v[12:13], v[12:13], v[14:15]
	v_mul_f64_e32 v[14:15], v[16:17], v[12:13]
	s_delay_alu instid0(VALU_DEP_1) | instskip(NEXT) | instid1(VALU_DEP_1)
	v_fma_f64 v[2:3], -v[2:3], v[14:15], v[16:17]
	v_div_fmas_f64 v[2:3], v[2:3], v[12:13], v[14:15]
	v_cmp_gt_f64_e32 vcc_lo, 0x10000000, v[20:21]
	s_delay_alu instid0(VALU_DEP_2) | instskip(SKIP_1) | instid1(VALU_DEP_1)
	v_div_fixup_f64 v[2:3], v[2:3], v[20:21], 0x40400000
	v_cndmask_b32_e64 v7, 0, 0x100, vcc_lo
	v_ldexp_f64 v[16:17], v[20:21], v7
	v_cvt_i32_f64_e32 v7, v[26:27]
	s_delay_alu instid0(VALU_DEP_4) | instskip(NEXT) | instid1(VALU_DEP_3)
	v_add_f64_e32 v[2:3], -2.0, v[2:3]
	v_rsq_f64_e32 v[24:25], v[16:17]
	s_delay_alu instid0(VALU_DEP_1) | instskip(SKIP_1) | instid1(SALU_CYCLE_1)
	v_fmaak_f64 v[12:13], s[6:7], v[2:3], 0xbc5646da66119130
	s_mov_b64 s[6:7], 0x3e5ade156a5dcb37
	v_fmaak_f64 v[34:35], s[6:7], v[32:33], 0x3e928af3fca7ab0c
	s_delay_alu instid0(VALU_DEP_2) | instskip(NEXT) | instid1(VALU_DEP_2)
	v_fmaak_f64 v[14:15], v[2:3], v[12:13], 0x3c60adb754ca8b19
	v_fmaak_f64 v[34:35], v[32:33], v[34:35], 0x3ec71dee623fde64
	s_delay_alu instid0(TRANS32_DEP_1) | instskip(SKIP_1) | instid1(VALU_DEP_4)
	v_mul_f64_e32 v[28:29], v[16:17], v[24:25]
	v_mul_f64_e32 v[24:25], 0.5, v[24:25]
	v_add_f64_e32 v[14:15], 0x3c89be1812d98421, v[14:15]
	s_delay_alu instid0(VALU_DEP_4) | instskip(NEXT) | instid1(VALU_DEP_1)
	v_fmaak_f64 v[34:35], v[32:33], v[34:35], 0x3efa01997c89e6b0
	v_fmaak_f64 v[34:35], v[32:33], v[34:35], 0x3f2a01a014761f6e
	s_delay_alu instid0(VALU_DEP_1) | instskip(NEXT) | instid1(VALU_DEP_1)
	v_fmaak_f64 v[34:35], v[32:33], v[34:35], 0x3f56c16c1852b7b0
	v_fmaak_f64 v[34:35], v[32:33], v[34:35], 0x3f81111111122322
	v_fma_f64 v[30:31], -v[24:25], v[28:29], 0.5
	v_fma_f64 v[12:13], v[2:3], v[14:15], -v[12:13]
	s_delay_alu instid0(VALU_DEP_2) | instskip(NEXT) | instid1(VALU_DEP_2)
	v_fmac_f64_e32 v[28:29], v[28:29], v[30:31]
	v_add_f64_e32 v[12:13], 0x3c83f3dd076041cd, v[12:13]
	v_fmac_f64_e32 v[24:25], v[24:25], v[30:31]
	s_delay_alu instid0(VALU_DEP_3) | instskip(NEXT) | instid1(VALU_DEP_3)
	v_fma_f64 v[30:31], -v[28:29], v[28:29], v[16:17]
	v_fma_f64 v[14:15], v[2:3], v[12:13], -v[14:15]
	s_delay_alu instid0(VALU_DEP_2) | instskip(NEXT) | instid1(VALU_DEP_2)
	v_fmac_f64_e32 v[28:29], v[30:31], v[24:25]
	v_add_f64_e32 v[14:15], 0xbcb4600babd21fe4, v[14:15]
	s_delay_alu instid0(VALU_DEP_2) | instskip(NEXT) | instid1(VALU_DEP_2)
	v_fma_f64 v[26:27], -v[28:29], v[28:29], v[16:17]
	v_fma_f64 v[12:13], v[2:3], v[14:15], -v[12:13]
	s_delay_alu instid0(VALU_DEP_2) | instskip(NEXT) | instid1(VALU_DEP_2)
	v_fmac_f64_e32 v[28:29], v[26:27], v[24:25]
	v_add_f64_e32 v[12:13], 0xbcb8aee7d908de38, v[12:13]
	s_delay_alu instid0(VALU_DEP_1) | instskip(NEXT) | instid1(VALU_DEP_1)
	v_fma_f64 v[14:15], v[2:3], v[12:13], -v[14:15]
	v_add_f64_e32 v[14:15], 0x3cdfee7da3eafb1f, v[14:15]
	s_delay_alu instid0(VALU_DEP_1) | instskip(NEXT) | instid1(VALU_DEP_1)
	v_fma_f64 v[12:13], v[2:3], v[14:15], -v[12:13]
	;; [unrolled: 3-line block ×18, first 2 shown]
	v_add_f64_e32 v[12:13], 0x3f6b998ca2e59049, v[12:13]
	s_delay_alu instid0(VALU_DEP_1) | instskip(SKIP_1) | instid1(VALU_DEP_1)
	v_fma_f64 v[2:3], v[2:3], v[12:13], -v[14:15]
	v_fmaak_f64 v[12:13], v[32:33], v[34:35], 0x3fa55555555502a1
	v_fmaak_f64 v[12:13], v[32:33], v[12:13], 0x3fc5555555555511
	s_delay_alu instid0(VALU_DEP_1) | instskip(NEXT) | instid1(VALU_DEP_1)
	v_fmaak_f64 v[12:13], v[32:33], v[12:13], 0x3fe000000000000b
	v_fma_f64 v[12:13], v[32:33], v[12:13], 1.0
	v_add_f64_e32 v[2:3], 0x3fe9be62aca809cb, v[2:3]
	s_delay_alu instid0(VALU_DEP_2) | instskip(NEXT) | instid1(VALU_DEP_2)
	v_fma_f64 v[12:13], v[32:33], v[12:13], 1.0
	v_add_f64_e64 v[2:3], v[2:3], -v[14:15]
	s_delay_alu instid0(VALU_DEP_2) | instskip(SKIP_2) | instid1(VALU_DEP_2)
	v_ldexp_f64 v[12:13], v[12:13], v7
	v_cndmask_b32_e64 v7, 0, 0xffffff80, vcc_lo
	v_cmp_class_f64_e64 vcc_lo, v[16:17], 0x260
	v_ldexp_f64 v[14:15], v[28:29], v7
	v_mul_f64_e32 v[2:3], 0.5, v[2:3]
	v_cndmask_b32_e64 v13, 0x7ff00000, v13, s1
	v_cndmask_b32_e64 v12, 0, v12, s1
	s_delay_alu instid0(VALU_DEP_1) | instskip(SKIP_1) | instid1(VALU_DEP_1)
	v_dual_mul_f64 v[2:3], v[12:13], v[2:3] :: v_dual_cndmask_b32 v13, v15, v17, vcc_lo
	v_cndmask_b32_e32 v12, v14, v16, vcc_lo
	v_div_scale_f64 v[14:15], null, v[12:13], v[12:13], v[2:3]
	s_delay_alu instid0(VALU_DEP_1) | instskip(SKIP_1) | instid1(TRANS32_DEP_1)
	v_rcp_f64_e32 v[16:17], v[14:15]
	v_nop
	v_fma_f64 v[20:21], -v[14:15], v[16:17], 1.0
	s_delay_alu instid0(VALU_DEP_1) | instskip(NEXT) | instid1(VALU_DEP_1)
	v_fmac_f64_e32 v[16:17], v[16:17], v[20:21]
	v_fma_f64 v[20:21], -v[14:15], v[16:17], 1.0
	s_delay_alu instid0(VALU_DEP_1) | instskip(SKIP_1) | instid1(VALU_DEP_1)
	v_fmac_f64_e32 v[16:17], v[16:17], v[20:21]
	v_div_scale_f64 v[20:21], vcc_lo, v[2:3], v[12:13], v[2:3]
	v_mul_f64_e32 v[24:25], v[20:21], v[16:17]
	s_delay_alu instid0(VALU_DEP_1) | instskip(NEXT) | instid1(VALU_DEP_1)
	v_fma_f64 v[14:15], -v[14:15], v[24:25], v[20:21]
	v_div_fmas_f64 v[14:15], v[14:15], v[16:17], v[24:25]
	s_delay_alu instid0(VALU_DEP_1)
	v_div_fixup_f64 v[2:3], v[14:15], v[12:13], v[2:3]
.LBB0_13:
	s_or_b32 exec_lo, exec_lo, s4
	v_mov_b32_e32 v16, 0
	s_delay_alu instid0(VALU_DEP_1)
	v_dual_mov_b32 v17, v16 :: v_dual_mov_b32 v14, v16
	v_dual_mov_b32 v15, v16 :: v_dual_mov_b32 v12, v16
	v_mov_b32_e32 v13, v16
.LBB0_14:
	s_or_b32 exec_lo, exec_lo, s3
	s_delay_alu instid0(SALU_CYCLE_1)
	s_mov_b32 s3, exec_lo
	v_cmpx_lt_i32_e64 v22, v4
	s_cbranch_execz .LBB0_20
; %bb.15:
	s_mov_b32 s1, exec_lo
	v_cmpx_ge_f64_e32 0x40200000, v[18:19]
	s_xor_b32 s1, exec_lo, s1
                                        ; implicit-def: $vgpr16_vgpr17
	s_cbranch_execz .LBB0_17
; %bb.16:
	v_fma_f64 v[16:17], v[18:19], 0.5, -2.0
	s_mov_b64 s[4:5], 0xbc545cb72134d0ef
	v_mul_f64_e32 v[26:27], 0x3ff71547652b82fe, v[18:19]
	s_delay_alu instid0(VALU_DEP_2) | instskip(SKIP_1) | instid1(VALU_DEP_2)
	v_fmaak_f64 v[20:21], s[4:5], v[16:17], 0x3c833362977da589
	s_mov_b64 s[4:5], 0x3e5ade156a5dcb37
	v_rndne_f64_e32 v[26:27], v[26:27]
	s_delay_alu instid0(VALU_DEP_2) | instskip(NEXT) | instid1(VALU_DEP_1)
	v_fmaak_f64 v[24:25], v[16:17], v[20:21], 0x3c545cb72134d0ef
	v_add_f64_e32 v[24:25], 0xbcb184eb721ebbb4, v[24:25]
	s_delay_alu instid0(VALU_DEP_3) | instskip(SKIP_1) | instid1(VALU_DEP_2)
	v_fmamk_f64 v[18:19], v[26:27], 0xbfe62e42fefa39ef, v[18:19]
	v_cvt_i32_f64_e32 v7, v[26:27]
	v_fmamk_f64 v[18:19], v[26:27], 0xbc7abc9e3b39803f, v[18:19]
	s_delay_alu instid0(VALU_DEP_4) | instskip(NEXT) | instid1(VALU_DEP_2)
	v_fma_f64 v[20:21], v[16:17], v[24:25], -v[20:21]
	v_fmaak_f64 v[28:29], s[4:5], v[18:19], 0x3e928af3fca7ab0c
	s_delay_alu instid0(VALU_DEP_1) | instskip(NEXT) | instid1(VALU_DEP_1)
	v_fmaak_f64 v[28:29], v[18:19], v[28:29], 0x3ec71dee623fde64
	v_fmaak_f64 v[28:29], v[18:19], v[28:29], 0x3efa01997c89e6b0
	s_delay_alu instid0(VALU_DEP_1) | instskip(NEXT) | instid1(VALU_DEP_1)
	v_fmaak_f64 v[28:29], v[18:19], v[28:29], 0x3f2a01a014761f6e
	v_fmaak_f64 v[28:29], v[18:19], v[28:29], 0x3f56c16c1852b7b0
	v_add_f64_e32 v[20:21], 0x3cdee6d893f65eba, v[20:21]
	s_delay_alu instid0(VALU_DEP_1) | instskip(NEXT) | instid1(VALU_DEP_1)
	v_fma_f64 v[24:25], v[16:17], v[20:21], -v[24:25]
	v_add_f64_e32 v[24:25], 0xbd0a5022c297fbeb, v[24:25]
	s_delay_alu instid0(VALU_DEP_1) | instskip(NEXT) | instid1(VALU_DEP_1)
	v_fma_f64 v[20:21], v[16:17], v[24:25], -v[20:21]
	;; [unrolled: 3-line block ×25, first 2 shown]
	v_add_f64_e32 v[24:25], 0xbfd37febc057cd8d, v[24:25]
	s_delay_alu instid0(VALU_DEP_1) | instskip(SKIP_1) | instid1(VALU_DEP_1)
	v_fma_f64 v[16:17], v[16:17], v[24:25], -v[20:21]
	v_fmaak_f64 v[24:25], v[18:19], v[28:29], 0x3f81111111122322
	v_fmaak_f64 v[24:25], v[18:19], v[24:25], 0x3fa55555555502a1
	s_delay_alu instid0(VALU_DEP_1) | instskip(NEXT) | instid1(VALU_DEP_1)
	v_fmaak_f64 v[24:25], v[18:19], v[24:25], 0x3fc5555555555511
	v_fmaak_f64 v[24:25], v[18:19], v[24:25], 0x3fe000000000000b
	s_delay_alu instid0(VALU_DEP_1) | instskip(SKIP_1) | instid1(VALU_DEP_2)
	v_fma_f64 v[24:25], v[18:19], v[24:25], 1.0
	v_add_f64_e32 v[16:17], 0x3fe5a84e9035a22a, v[16:17]
	v_fma_f64 v[18:19], v[18:19], v[24:25], 1.0
	s_delay_alu instid0(VALU_DEP_2) | instskip(NEXT) | instid1(VALU_DEP_2)
	v_add_f64_e64 v[16:17], v[16:17], -v[20:21]
	v_ldexp_f64 v[18:19], v[18:19], v7
	s_delay_alu instid0(VALU_DEP_2) | instskip(NEXT) | instid1(VALU_DEP_1)
	v_mul_f64_e32 v[16:17], 0.5, v[16:17]
	v_mul_f64_e32 v[16:17], v[18:19], v[16:17]
                                        ; implicit-def: $vgpr18_vgpr19
.LBB0_17:
	s_and_not1_saveexec_b32 s4, s1
	s_cbranch_execz .LBB0_19
; %bb.18:
	v_div_scale_f64 v[16:17], null, v[18:19], v[18:19], 0x40400000
	v_div_scale_f64 v[26:27], vcc_lo, 0x40400000, v[18:19], 0x40400000
	s_mov_b64 s[6:7], 0xbc60adb754ca8b19
	v_mul_f64_e32 v[30:31], 0x3ff71547652b82fe, v[18:19]
	v_cmp_nlt_f64_e64 s1, 0x40900000, v[18:19]
	v_rcp_f64_e32 v[20:21], v[16:17]
	s_delay_alu instid0(VALU_DEP_2) | instskip(NEXT) | instid1(VALU_DEP_1)
	v_rndne_f64_e32 v[30:31], v[30:31]
	v_fmamk_f64 v[36:37], v[30:31], 0xbfe62e42fefa39ef, v[18:19]
	s_delay_alu instid0(TRANS32_DEP_1) | instskip(NEXT) | instid1(VALU_DEP_2)
	v_fma_f64 v[24:25], -v[16:17], v[20:21], 1.0
	v_fmamk_f64 v[36:37], v[30:31], 0xbc7abc9e3b39803f, v[36:37]
	s_delay_alu instid0(VALU_DEP_2) | instskip(NEXT) | instid1(VALU_DEP_1)
	v_fmac_f64_e32 v[20:21], v[20:21], v[24:25]
	v_fma_f64 v[24:25], -v[16:17], v[20:21], 1.0
	s_delay_alu instid0(VALU_DEP_1) | instskip(NEXT) | instid1(VALU_DEP_1)
	v_fmac_f64_e32 v[20:21], v[20:21], v[24:25]
	v_mul_f64_e32 v[24:25], v[26:27], v[20:21]
	s_delay_alu instid0(VALU_DEP_1) | instskip(NEXT) | instid1(VALU_DEP_1)
	v_fma_f64 v[16:17], -v[16:17], v[24:25], v[26:27]
	v_div_fmas_f64 v[16:17], v[16:17], v[20:21], v[24:25]
	v_cmp_gt_f64_e32 vcc_lo, 0x10000000, v[18:19]
	s_delay_alu instid0(VALU_DEP_2) | instskip(SKIP_1) | instid1(VALU_DEP_1)
	v_div_fixup_f64 v[16:17], v[16:17], v[18:19], 0x40400000
	v_cndmask_b32_e64 v7, 0, 0x100, vcc_lo
	v_ldexp_f64 v[26:27], v[18:19], v7
	v_cvt_i32_f64_e32 v7, v[30:31]
	s_delay_alu instid0(VALU_DEP_4) | instskip(NEXT) | instid1(VALU_DEP_3)
	v_add_f64_e32 v[16:17], -2.0, v[16:17]
	v_rsq_f64_e32 v[28:29], v[26:27]
	s_delay_alu instid0(VALU_DEP_1) | instskip(SKIP_1) | instid1(SALU_CYCLE_1)
	v_fmaak_f64 v[20:21], s[6:7], v[16:17], 0xbc5646da66119130
	s_mov_b64 s[6:7], 0x3e5ade156a5dcb37
	v_fmaak_f64 v[38:39], s[6:7], v[36:37], 0x3e928af3fca7ab0c
	s_delay_alu instid0(VALU_DEP_2) | instskip(NEXT) | instid1(VALU_DEP_2)
	v_fmaak_f64 v[24:25], v[16:17], v[20:21], 0x3c60adb754ca8b19
	v_fmaak_f64 v[38:39], v[36:37], v[38:39], 0x3ec71dee623fde64
	s_delay_alu instid0(TRANS32_DEP_1) | instskip(SKIP_1) | instid1(VALU_DEP_4)
	v_mul_f64_e32 v[32:33], v[26:27], v[28:29]
	v_mul_f64_e32 v[28:29], 0.5, v[28:29]
	v_add_f64_e32 v[24:25], 0x3c89be1812d98421, v[24:25]
	s_delay_alu instid0(VALU_DEP_4) | instskip(NEXT) | instid1(VALU_DEP_1)
	v_fmaak_f64 v[38:39], v[36:37], v[38:39], 0x3efa01997c89e6b0
	v_fmaak_f64 v[38:39], v[36:37], v[38:39], 0x3f2a01a014761f6e
	s_delay_alu instid0(VALU_DEP_1) | instskip(NEXT) | instid1(VALU_DEP_1)
	v_fmaak_f64 v[38:39], v[36:37], v[38:39], 0x3f56c16c1852b7b0
	v_fmaak_f64 v[38:39], v[36:37], v[38:39], 0x3f81111111122322
	v_fma_f64 v[34:35], -v[28:29], v[32:33], 0.5
	v_fma_f64 v[20:21], v[16:17], v[24:25], -v[20:21]
	s_delay_alu instid0(VALU_DEP_2) | instskip(NEXT) | instid1(VALU_DEP_2)
	v_fmac_f64_e32 v[32:33], v[32:33], v[34:35]
	v_add_f64_e32 v[20:21], 0x3c83f3dd076041cd, v[20:21]
	v_fmac_f64_e32 v[28:29], v[28:29], v[34:35]
	s_delay_alu instid0(VALU_DEP_3) | instskip(NEXT) | instid1(VALU_DEP_3)
	v_fma_f64 v[34:35], -v[32:33], v[32:33], v[26:27]
	v_fma_f64 v[24:25], v[16:17], v[20:21], -v[24:25]
	s_delay_alu instid0(VALU_DEP_2) | instskip(NEXT) | instid1(VALU_DEP_2)
	v_fmac_f64_e32 v[32:33], v[34:35], v[28:29]
	v_add_f64_e32 v[24:25], 0xbcb4600babd21fe4, v[24:25]
	s_delay_alu instid0(VALU_DEP_2) | instskip(NEXT) | instid1(VALU_DEP_2)
	v_fma_f64 v[30:31], -v[32:33], v[32:33], v[26:27]
	v_fma_f64 v[20:21], v[16:17], v[24:25], -v[20:21]
	s_delay_alu instid0(VALU_DEP_2) | instskip(NEXT) | instid1(VALU_DEP_2)
	v_fmac_f64_e32 v[32:33], v[30:31], v[28:29]
	v_add_f64_e32 v[20:21], 0xbcb8aee7d908de38, v[20:21]
	s_delay_alu instid0(VALU_DEP_1) | instskip(NEXT) | instid1(VALU_DEP_1)
	v_fma_f64 v[24:25], v[16:17], v[20:21], -v[24:25]
	v_add_f64_e32 v[24:25], 0x3cdfee7da3eafb1f, v[24:25]
	s_delay_alu instid0(VALU_DEP_1) | instskip(NEXT) | instid1(VALU_DEP_1)
	v_fma_f64 v[20:21], v[16:17], v[24:25], -v[20:21]
	;; [unrolled: 3-line block ×18, first 2 shown]
	v_add_f64_e32 v[20:21], 0x3f6b998ca2e59049, v[20:21]
	s_delay_alu instid0(VALU_DEP_1) | instskip(SKIP_1) | instid1(VALU_DEP_1)
	v_fma_f64 v[16:17], v[16:17], v[20:21], -v[24:25]
	v_fmaak_f64 v[20:21], v[36:37], v[38:39], 0x3fa55555555502a1
	v_fmaak_f64 v[20:21], v[36:37], v[20:21], 0x3fc5555555555511
	s_delay_alu instid0(VALU_DEP_1) | instskip(NEXT) | instid1(VALU_DEP_1)
	v_fmaak_f64 v[20:21], v[36:37], v[20:21], 0x3fe000000000000b
	v_fma_f64 v[20:21], v[36:37], v[20:21], 1.0
	v_add_f64_e32 v[16:17], 0x3fe9be62aca809cb, v[16:17]
	s_delay_alu instid0(VALU_DEP_2) | instskip(NEXT) | instid1(VALU_DEP_2)
	v_fma_f64 v[20:21], v[36:37], v[20:21], 1.0
	v_add_f64_e64 v[16:17], v[16:17], -v[24:25]
	s_delay_alu instid0(VALU_DEP_2) | instskip(SKIP_2) | instid1(VALU_DEP_4)
	v_ldexp_f64 v[20:21], v[20:21], v7
	v_cndmask_b32_e64 v7, 0, 0xffffff80, vcc_lo
	v_cmp_class_f64_e64 vcc_lo, v[26:27], 0x260
	v_mul_f64_e32 v[16:17], 0.5, v[16:17]
	s_delay_alu instid0(VALU_DEP_4) | instskip(SKIP_2) | instid1(VALU_DEP_1)
	v_cndmask_b32_e64 v19, 0x7ff00000, v21, s1
	v_cndmask_b32_e64 v18, 0, v20, s1
	v_ldexp_f64 v[20:21], v[32:33], v7
	v_dual_mul_f64 v[16:17], v[18:19], v[16:17] :: v_dual_cndmask_b32 v19, v21, v27, vcc_lo
	s_delay_alu instid0(VALU_DEP_2) | instskip(NEXT) | instid1(VALU_DEP_1)
	v_cndmask_b32_e32 v18, v20, v26, vcc_lo
	v_div_scale_f64 v[20:21], null, v[18:19], v[18:19], v[16:17]
	s_delay_alu instid0(VALU_DEP_1) | instskip(SKIP_1) | instid1(TRANS32_DEP_1)
	v_rcp_f64_e32 v[24:25], v[20:21]
	v_nop
	v_fma_f64 v[26:27], -v[20:21], v[24:25], 1.0
	s_delay_alu instid0(VALU_DEP_1) | instskip(NEXT) | instid1(VALU_DEP_1)
	v_fmac_f64_e32 v[24:25], v[24:25], v[26:27]
	v_fma_f64 v[26:27], -v[20:21], v[24:25], 1.0
	s_delay_alu instid0(VALU_DEP_1) | instskip(SKIP_1) | instid1(VALU_DEP_1)
	v_fmac_f64_e32 v[24:25], v[24:25], v[26:27]
	v_div_scale_f64 v[26:27], vcc_lo, v[16:17], v[18:19], v[16:17]
	v_mul_f64_e32 v[28:29], v[26:27], v[24:25]
	s_delay_alu instid0(VALU_DEP_1) | instskip(NEXT) | instid1(VALU_DEP_1)
	v_fma_f64 v[20:21], -v[20:21], v[28:29], v[26:27]
	v_div_fmas_f64 v[20:21], v[20:21], v[24:25], v[28:29]
	s_delay_alu instid0(VALU_DEP_1)
	v_div_fixup_f64 v[16:17], v[20:21], v[18:19], v[16:17]
.LBB0_19:
	s_or_b32 exec_lo, exec_lo, s4
.LBB0_20:
	s_delay_alu instid0(SALU_CYCLE_1) | instskip(SKIP_2) | instid1(VALU_DEP_1)
	s_or_b32 exec_lo, exec_lo, s3
	v_add_nc_u32_e32 v7, 0x200, v5
	s_mov_b32 s3, exec_lo
	v_cmpx_lt_i32_e64 v7, v4
	s_cbranch_execz .LBB0_26
; %bb.21:
	s_mov_b32 s1, exec_lo
	v_cmpx_ge_f64_e32 0x40200000, v[10:11]
	s_xor_b32 s1, exec_lo, s1
                                        ; implicit-def: $vgpr14_vgpr15
	s_cbranch_execz .LBB0_23
; %bb.22:
	v_fma_f64 v[14:15], v[10:11], 0.5, -2.0
	s_mov_b64 s[4:5], 0xbc545cb72134d0ef
	v_mul_f64_e32 v[24:25], 0x3ff71547652b82fe, v[10:11]
	s_delay_alu instid0(VALU_DEP_2) | instskip(SKIP_1) | instid1(VALU_DEP_2)
	v_fmaak_f64 v[18:19], s[4:5], v[14:15], 0x3c833362977da589
	s_mov_b64 s[4:5], 0x3e5ade156a5dcb37
	v_rndne_f64_e32 v[24:25], v[24:25]
	s_delay_alu instid0(VALU_DEP_2) | instskip(NEXT) | instid1(VALU_DEP_1)
	v_fmaak_f64 v[20:21], v[14:15], v[18:19], 0x3c545cb72134d0ef
	v_add_f64_e32 v[20:21], 0xbcb184eb721ebbb4, v[20:21]
	s_delay_alu instid0(VALU_DEP_3) | instskip(SKIP_1) | instid1(VALU_DEP_2)
	v_fmamk_f64 v[10:11], v[24:25], 0xbfe62e42fefa39ef, v[10:11]
	v_cvt_i32_f64_e32 v7, v[24:25]
	v_fmamk_f64 v[10:11], v[24:25], 0xbc7abc9e3b39803f, v[10:11]
	s_delay_alu instid0(VALU_DEP_4) | instskip(NEXT) | instid1(VALU_DEP_2)
	v_fma_f64 v[18:19], v[14:15], v[20:21], -v[18:19]
	v_fmaak_f64 v[26:27], s[4:5], v[10:11], 0x3e928af3fca7ab0c
	s_delay_alu instid0(VALU_DEP_1) | instskip(NEXT) | instid1(VALU_DEP_1)
	v_fmaak_f64 v[26:27], v[10:11], v[26:27], 0x3ec71dee623fde64
	v_fmaak_f64 v[26:27], v[10:11], v[26:27], 0x3efa01997c89e6b0
	s_delay_alu instid0(VALU_DEP_1) | instskip(NEXT) | instid1(VALU_DEP_1)
	v_fmaak_f64 v[26:27], v[10:11], v[26:27], 0x3f2a01a014761f6e
	v_fmaak_f64 v[26:27], v[10:11], v[26:27], 0x3f56c16c1852b7b0
	v_add_f64_e32 v[18:19], 0x3cdee6d893f65eba, v[18:19]
	s_delay_alu instid0(VALU_DEP_1) | instskip(NEXT) | instid1(VALU_DEP_1)
	v_fma_f64 v[20:21], v[14:15], v[18:19], -v[20:21]
	v_add_f64_e32 v[20:21], 0xbd0a5022c297fbeb, v[20:21]
	s_delay_alu instid0(VALU_DEP_1) | instskip(NEXT) | instid1(VALU_DEP_1)
	v_fma_f64 v[18:19], v[14:15], v[20:21], -v[18:19]
	;; [unrolled: 3-line block ×25, first 2 shown]
	v_add_f64_e32 v[20:21], 0xbfd37febc057cd8d, v[20:21]
	s_delay_alu instid0(VALU_DEP_1) | instskip(SKIP_1) | instid1(VALU_DEP_1)
	v_fma_f64 v[14:15], v[14:15], v[20:21], -v[18:19]
	v_fmaak_f64 v[20:21], v[10:11], v[26:27], 0x3f81111111122322
	v_fmaak_f64 v[20:21], v[10:11], v[20:21], 0x3fa55555555502a1
	s_delay_alu instid0(VALU_DEP_1) | instskip(NEXT) | instid1(VALU_DEP_1)
	v_fmaak_f64 v[20:21], v[10:11], v[20:21], 0x3fc5555555555511
	v_fmaak_f64 v[20:21], v[10:11], v[20:21], 0x3fe000000000000b
	s_delay_alu instid0(VALU_DEP_1) | instskip(SKIP_1) | instid1(VALU_DEP_2)
	v_fma_f64 v[20:21], v[10:11], v[20:21], 1.0
	v_add_f64_e32 v[14:15], 0x3fe5a84e9035a22a, v[14:15]
	v_fma_f64 v[10:11], v[10:11], v[20:21], 1.0
	s_delay_alu instid0(VALU_DEP_2) | instskip(NEXT) | instid1(VALU_DEP_2)
	v_add_f64_e64 v[14:15], v[14:15], -v[18:19]
	v_ldexp_f64 v[10:11], v[10:11], v7
	s_delay_alu instid0(VALU_DEP_2) | instskip(NEXT) | instid1(VALU_DEP_1)
	v_mul_f64_e32 v[14:15], 0.5, v[14:15]
	v_mul_f64_e32 v[14:15], v[10:11], v[14:15]
                                        ; implicit-def: $vgpr10_vgpr11
.LBB0_23:
	s_and_not1_saveexec_b32 s4, s1
	s_cbranch_execz .LBB0_25
; %bb.24:
	v_div_scale_f64 v[14:15], null, v[10:11], v[10:11], 0x40400000
	v_div_scale_f64 v[24:25], vcc_lo, 0x40400000, v[10:11], 0x40400000
	s_mov_b64 s[6:7], 0xbc60adb754ca8b19
	v_mul_f64_e32 v[28:29], 0x3ff71547652b82fe, v[10:11]
	v_cmp_nlt_f64_e64 s1, 0x40900000, v[10:11]
	v_rcp_f64_e32 v[18:19], v[14:15]
	s_delay_alu instid0(VALU_DEP_2) | instskip(NEXT) | instid1(VALU_DEP_1)
	v_rndne_f64_e32 v[28:29], v[28:29]
	v_fmamk_f64 v[34:35], v[28:29], 0xbfe62e42fefa39ef, v[10:11]
	s_delay_alu instid0(TRANS32_DEP_1) | instskip(NEXT) | instid1(VALU_DEP_2)
	v_fma_f64 v[20:21], -v[14:15], v[18:19], 1.0
	v_fmamk_f64 v[34:35], v[28:29], 0xbc7abc9e3b39803f, v[34:35]
	s_delay_alu instid0(VALU_DEP_2) | instskip(NEXT) | instid1(VALU_DEP_1)
	v_fmac_f64_e32 v[18:19], v[18:19], v[20:21]
	v_fma_f64 v[20:21], -v[14:15], v[18:19], 1.0
	s_delay_alu instid0(VALU_DEP_1) | instskip(NEXT) | instid1(VALU_DEP_1)
	v_fmac_f64_e32 v[18:19], v[18:19], v[20:21]
	v_mul_f64_e32 v[20:21], v[24:25], v[18:19]
	s_delay_alu instid0(VALU_DEP_1) | instskip(NEXT) | instid1(VALU_DEP_1)
	v_fma_f64 v[14:15], -v[14:15], v[20:21], v[24:25]
	v_div_fmas_f64 v[14:15], v[14:15], v[18:19], v[20:21]
	v_cmp_gt_f64_e32 vcc_lo, 0x10000000, v[10:11]
	s_delay_alu instid0(VALU_DEP_2) | instskip(SKIP_1) | instid1(VALU_DEP_1)
	v_div_fixup_f64 v[14:15], v[14:15], v[10:11], 0x40400000
	v_cndmask_b32_e64 v7, 0, 0x100, vcc_lo
	v_ldexp_f64 v[24:25], v[10:11], v7
	v_cvt_i32_f64_e32 v7, v[28:29]
	s_delay_alu instid0(VALU_DEP_4) | instskip(NEXT) | instid1(VALU_DEP_3)
	v_add_f64_e32 v[14:15], -2.0, v[14:15]
	v_rsq_f64_e32 v[26:27], v[24:25]
	s_delay_alu instid0(VALU_DEP_1) | instskip(SKIP_1) | instid1(SALU_CYCLE_1)
	v_fmaak_f64 v[18:19], s[6:7], v[14:15], 0xbc5646da66119130
	s_mov_b64 s[6:7], 0x3e5ade156a5dcb37
	v_fmaak_f64 v[36:37], s[6:7], v[34:35], 0x3e928af3fca7ab0c
	s_delay_alu instid0(VALU_DEP_2) | instskip(NEXT) | instid1(VALU_DEP_2)
	v_fmaak_f64 v[20:21], v[14:15], v[18:19], 0x3c60adb754ca8b19
	v_fmaak_f64 v[36:37], v[34:35], v[36:37], 0x3ec71dee623fde64
	s_delay_alu instid0(VALU_DEP_2) | instskip(NEXT) | instid1(VALU_DEP_2)
	v_add_f64_e32 v[20:21], 0x3c89be1812d98421, v[20:21]
	v_fmaak_f64 v[36:37], v[34:35], v[36:37], 0x3efa01997c89e6b0
	s_delay_alu instid0(VALU_DEP_1) | instskip(NEXT) | instid1(VALU_DEP_1)
	v_fmaak_f64 v[36:37], v[34:35], v[36:37], 0x3f2a01a014761f6e
	v_fmaak_f64 v[36:37], v[34:35], v[36:37], 0x3f56c16c1852b7b0
	s_delay_alu instid0(VALU_DEP_1) | instskip(SKIP_1) | instid1(VALU_DEP_1)
	v_fmaak_f64 v[36:37], v[34:35], v[36:37], 0x3f81111111122322
	v_fma_f64 v[18:19], v[14:15], v[20:21], -v[18:19]
	v_add_f64_e32 v[18:19], 0x3c83f3dd076041cd, v[18:19]
	s_delay_alu instid0(VALU_DEP_1) | instskip(NEXT) | instid1(VALU_DEP_1)
	v_fma_f64 v[20:21], v[14:15], v[18:19], -v[20:21]
	v_add_f64_e32 v[20:21], 0xbcb4600babd21fe4, v[20:21]
	s_delay_alu instid0(VALU_DEP_1) | instskip(NEXT) | instid1(VALU_DEP_1)
	;; [unrolled: 3-line block ×20, first 2 shown]
	v_fma_f64 v[18:19], v[14:15], v[20:21], -v[18:19]
	v_add_f64_e32 v[18:19], 0x3f6b998ca2e59049, v[18:19]
	s_delay_alu instid0(VALU_DEP_1) | instskip(SKIP_1) | instid1(VALU_DEP_1)
	v_fma_f64 v[14:15], v[14:15], v[18:19], -v[20:21]
	v_fmaak_f64 v[18:19], v[34:35], v[36:37], 0x3fa55555555502a1
	v_fmaak_f64 v[18:19], v[34:35], v[18:19], 0x3fc5555555555511
	s_delay_alu instid0(VALU_DEP_1) | instskip(NEXT) | instid1(VALU_DEP_1)
	v_fmaak_f64 v[18:19], v[34:35], v[18:19], 0x3fe000000000000b
	v_fma_f64 v[18:19], v[34:35], v[18:19], 1.0
	v_add_f64_e32 v[14:15], 0x3fe9be62aca809cb, v[14:15]
	s_delay_alu instid0(VALU_DEP_2) | instskip(NEXT) | instid1(VALU_DEP_2)
	v_fma_f64 v[18:19], v[34:35], v[18:19], 1.0
	v_add_f64_e64 v[14:15], v[14:15], -v[20:21]
	s_delay_alu instid0(VALU_DEP_2)
	v_ldexp_f64 v[18:19], v[18:19], v7
	v_cndmask_b32_e64 v7, 0, 0xffffff80, vcc_lo
	v_cmp_class_f64_e64 vcc_lo, v[24:25], 0x260
	v_mul_f64_e32 v[30:31], v[24:25], v[26:27]
	v_mul_f64_e32 v[26:27], 0.5, v[26:27]
	v_mul_f64_e32 v[10:11], 0.5, v[14:15]
	v_cndmask_b32_e64 v15, 0x7ff00000, v19, s1
	v_cndmask_b32_e64 v14, 0, v18, s1
	s_delay_alu instid0(VALU_DEP_4) | instskip(NEXT) | instid1(VALU_DEP_2)
	v_fma_f64 v[32:33], -v[26:27], v[30:31], 0.5
	v_mul_f64_e32 v[10:11], v[14:15], v[10:11]
	s_delay_alu instid0(VALU_DEP_2) | instskip(SKIP_1) | instid1(VALU_DEP_2)
	v_fmac_f64_e32 v[30:31], v[30:31], v[32:33]
	v_fmac_f64_e32 v[26:27], v[26:27], v[32:33]
	v_fma_f64 v[32:33], -v[30:31], v[30:31], v[24:25]
	s_delay_alu instid0(VALU_DEP_1) | instskip(NEXT) | instid1(VALU_DEP_1)
	v_fmac_f64_e32 v[30:31], v[32:33], v[26:27]
	v_fma_f64 v[28:29], -v[30:31], v[30:31], v[24:25]
	s_delay_alu instid0(VALU_DEP_1) | instskip(NEXT) | instid1(VALU_DEP_1)
	v_fmac_f64_e32 v[30:31], v[28:29], v[26:27]
	v_ldexp_f64 v[18:19], v[30:31], v7
	s_delay_alu instid0(VALU_DEP_1) | instskip(NEXT) | instid1(VALU_DEP_1)
	v_dual_cndmask_b32 v15, v19, v25 :: v_dual_cndmask_b32 v14, v18, v24
	v_div_scale_f64 v[18:19], null, v[14:15], v[14:15], v[10:11]
	s_delay_alu instid0(VALU_DEP_1) | instskip(SKIP_1) | instid1(TRANS32_DEP_1)
	v_rcp_f64_e32 v[20:21], v[18:19]
	v_nop
	v_fma_f64 v[24:25], -v[18:19], v[20:21], 1.0
	s_delay_alu instid0(VALU_DEP_1) | instskip(NEXT) | instid1(VALU_DEP_1)
	v_fmac_f64_e32 v[20:21], v[20:21], v[24:25]
	v_fma_f64 v[24:25], -v[18:19], v[20:21], 1.0
	s_delay_alu instid0(VALU_DEP_1) | instskip(SKIP_1) | instid1(VALU_DEP_1)
	v_fmac_f64_e32 v[20:21], v[20:21], v[24:25]
	v_div_scale_f64 v[24:25], vcc_lo, v[10:11], v[14:15], v[10:11]
	v_mul_f64_e32 v[26:27], v[24:25], v[20:21]
	s_delay_alu instid0(VALU_DEP_1) | instskip(NEXT) | instid1(VALU_DEP_1)
	v_fma_f64 v[18:19], -v[18:19], v[26:27], v[24:25]
	v_div_fmas_f64 v[18:19], v[18:19], v[20:21], v[26:27]
	s_delay_alu instid0(VALU_DEP_1)
	v_div_fixup_f64 v[14:15], v[18:19], v[14:15], v[10:11]
.LBB0_25:
	s_or_b32 exec_lo, exec_lo, s4
.LBB0_26:
	s_delay_alu instid0(SALU_CYCLE_1) | instskip(SKIP_2) | instid1(VALU_DEP_1)
	s_or_b32 exec_lo, exec_lo, s3
	v_add_nc_u32_e32 v7, 0x300, v5
	s_mov_b32 s3, exec_lo
	v_cmpx_lt_i32_e64 v7, v4
	s_cbranch_execnz .LBB0_32
; %bb.27:
	s_or_b32 exec_lo, exec_lo, s3
	s_and_saveexec_b32 s1, s0
	s_delay_alu instid0(SALU_CYCLE_1)
	s_xor_b32 s0, exec_lo, s1
	s_cbranch_execnz .LBB0_37
.LBB0_28:
	s_or_b32 exec_lo, exec_lo, s0
	s_delay_alu instid0(SALU_CYCLE_1)
	s_mov_b32 s0, exec_lo
	v_cmpx_lt_i32_e64 v5, v4
	s_cbranch_execnz .LBB0_38
.LBB0_29:
	s_or_b32 exec_lo, exec_lo, s0
	s_delay_alu instid0(SALU_CYCLE_1)
	s_mov_b32 s0, exec_lo
	v_cmpx_lt_i32_e64 v5, v4
	s_cbranch_execnz .LBB0_39
.LBB0_30:
	s_or_b32 exec_lo, exec_lo, s0
	s_delay_alu instid0(SALU_CYCLE_1)
	s_mov_b32 s0, exec_lo
	v_cmpx_lt_i32_e64 v5, v4
	s_cbranch_execnz .LBB0_40
.LBB0_31:
	s_or_b32 exec_lo, exec_lo, s0
	s_wait_dscnt 0x0
	s_set_pc_i64 s[30:31]
.LBB0_32:
	s_mov_b32 s1, exec_lo
	v_cmpx_ge_f64_e32 0x40200000, v[8:9]
	s_xor_b32 s1, exec_lo, s1
                                        ; implicit-def: $vgpr12_vgpr13
	s_cbranch_execz .LBB0_34
; %bb.33:
	v_fma_f64 v[10:11], v[8:9], 0.5, -2.0
	s_mov_b64 s[4:5], 0xbc545cb72134d0ef
	v_mul_f64_e32 v[20:21], 0x3ff71547652b82fe, v[8:9]
	s_delay_alu instid0(VALU_DEP_2) | instskip(SKIP_1) | instid1(VALU_DEP_2)
	v_fmaak_f64 v[12:13], s[4:5], v[10:11], 0x3c833362977da589
	s_mov_b64 s[4:5], 0x3e5ade156a5dcb37
	v_rndne_f64_e32 v[20:21], v[20:21]
	s_delay_alu instid0(VALU_DEP_2) | instskip(NEXT) | instid1(VALU_DEP_1)
	v_fmaak_f64 v[18:19], v[10:11], v[12:13], 0x3c545cb72134d0ef
	v_add_f64_e32 v[18:19], 0xbcb184eb721ebbb4, v[18:19]
	s_delay_alu instid0(VALU_DEP_3) | instskip(SKIP_1) | instid1(VALU_DEP_2)
	v_fmamk_f64 v[8:9], v[20:21], 0xbfe62e42fefa39ef, v[8:9]
	v_cvt_i32_f64_e32 v7, v[20:21]
	v_fmamk_f64 v[8:9], v[20:21], 0xbc7abc9e3b39803f, v[8:9]
	s_delay_alu instid0(VALU_DEP_4) | instskip(NEXT) | instid1(VALU_DEP_2)
	v_fma_f64 v[12:13], v[10:11], v[18:19], -v[12:13]
	v_fmaak_f64 v[24:25], s[4:5], v[8:9], 0x3e928af3fca7ab0c
	s_delay_alu instid0(VALU_DEP_1) | instskip(NEXT) | instid1(VALU_DEP_1)
	v_fmaak_f64 v[24:25], v[8:9], v[24:25], 0x3ec71dee623fde64
	v_fmaak_f64 v[24:25], v[8:9], v[24:25], 0x3efa01997c89e6b0
	s_delay_alu instid0(VALU_DEP_1) | instskip(NEXT) | instid1(VALU_DEP_1)
	v_fmaak_f64 v[24:25], v[8:9], v[24:25], 0x3f2a01a014761f6e
	v_fmaak_f64 v[24:25], v[8:9], v[24:25], 0x3f56c16c1852b7b0
	v_add_f64_e32 v[12:13], 0x3cdee6d893f65eba, v[12:13]
	s_delay_alu instid0(VALU_DEP_1) | instskip(NEXT) | instid1(VALU_DEP_1)
	v_fma_f64 v[18:19], v[10:11], v[12:13], -v[18:19]
	v_add_f64_e32 v[18:19], 0xbd0a5022c297fbeb, v[18:19]
	s_delay_alu instid0(VALU_DEP_1) | instskip(NEXT) | instid1(VALU_DEP_1)
	v_fma_f64 v[12:13], v[10:11], v[18:19], -v[12:13]
	;; [unrolled: 3-line block ×25, first 2 shown]
	v_add_f64_e32 v[18:19], 0xbfd37febc057cd8d, v[18:19]
	s_delay_alu instid0(VALU_DEP_1) | instskip(SKIP_1) | instid1(VALU_DEP_1)
	v_fma_f64 v[10:11], v[10:11], v[18:19], -v[12:13]
	v_fmaak_f64 v[18:19], v[8:9], v[24:25], 0x3f81111111122322
	v_fmaak_f64 v[18:19], v[8:9], v[18:19], 0x3fa55555555502a1
	s_delay_alu instid0(VALU_DEP_1) | instskip(NEXT) | instid1(VALU_DEP_1)
	v_fmaak_f64 v[18:19], v[8:9], v[18:19], 0x3fc5555555555511
	v_fmaak_f64 v[18:19], v[8:9], v[18:19], 0x3fe000000000000b
	s_delay_alu instid0(VALU_DEP_1) | instskip(SKIP_1) | instid1(VALU_DEP_2)
	v_fma_f64 v[18:19], v[8:9], v[18:19], 1.0
	v_add_f64_e32 v[10:11], 0x3fe5a84e9035a22a, v[10:11]
	v_fma_f64 v[8:9], v[8:9], v[18:19], 1.0
	s_delay_alu instid0(VALU_DEP_2) | instskip(NEXT) | instid1(VALU_DEP_2)
	v_add_f64_e64 v[10:11], v[10:11], -v[12:13]
	v_ldexp_f64 v[8:9], v[8:9], v7
	s_delay_alu instid0(VALU_DEP_2) | instskip(NEXT) | instid1(VALU_DEP_1)
	v_mul_f64_e32 v[10:11], 0.5, v[10:11]
	v_mul_f64_e32 v[12:13], v[8:9], v[10:11]
                                        ; implicit-def: $vgpr8_vgpr9
.LBB0_34:
	s_and_not1_saveexec_b32 s4, s1
	s_cbranch_execz .LBB0_36
; %bb.35:
	v_div_scale_f64 v[10:11], null, v[8:9], v[8:9], 0x40400000
	v_div_scale_f64 v[20:21], vcc_lo, 0x40400000, v[8:9], 0x40400000
	s_mov_b64 s[6:7], 0xbc60adb754ca8b19
	v_mul_f64_e32 v[26:27], 0x3ff71547652b82fe, v[8:9]
	v_cmp_nlt_f64_e64 s1, 0x40900000, v[8:9]
	v_rcp_f64_e32 v[12:13], v[10:11]
	s_delay_alu instid0(VALU_DEP_2) | instskip(NEXT) | instid1(VALU_DEP_1)
	v_rndne_f64_e32 v[26:27], v[26:27]
	v_fmamk_f64 v[32:33], v[26:27], 0xbfe62e42fefa39ef, v[8:9]
	s_delay_alu instid0(TRANS32_DEP_1) | instskip(NEXT) | instid1(VALU_DEP_2)
	v_fma_f64 v[18:19], -v[10:11], v[12:13], 1.0
	v_fmamk_f64 v[32:33], v[26:27], 0xbc7abc9e3b39803f, v[32:33]
	s_delay_alu instid0(VALU_DEP_2) | instskip(NEXT) | instid1(VALU_DEP_1)
	v_fmac_f64_e32 v[12:13], v[12:13], v[18:19]
	v_fma_f64 v[18:19], -v[10:11], v[12:13], 1.0
	s_delay_alu instid0(VALU_DEP_1) | instskip(NEXT) | instid1(VALU_DEP_1)
	v_fmac_f64_e32 v[12:13], v[12:13], v[18:19]
	v_mul_f64_e32 v[18:19], v[20:21], v[12:13]
	s_delay_alu instid0(VALU_DEP_1) | instskip(NEXT) | instid1(VALU_DEP_1)
	v_fma_f64 v[10:11], -v[10:11], v[18:19], v[20:21]
	v_div_fmas_f64 v[10:11], v[10:11], v[12:13], v[18:19]
	v_cmp_gt_f64_e32 vcc_lo, 0x10000000, v[8:9]
	s_delay_alu instid0(VALU_DEP_2) | instskip(SKIP_1) | instid1(VALU_DEP_1)
	v_div_fixup_f64 v[10:11], v[10:11], v[8:9], 0x40400000
	v_cndmask_b32_e64 v7, 0, 0x100, vcc_lo
	v_ldexp_f64 v[20:21], v[8:9], v7
	v_cvt_i32_f64_e32 v7, v[26:27]
	s_delay_alu instid0(VALU_DEP_4) | instskip(NEXT) | instid1(VALU_DEP_3)
	v_add_f64_e32 v[10:11], -2.0, v[10:11]
	v_rsq_f64_e32 v[24:25], v[20:21]
	s_delay_alu instid0(VALU_DEP_1) | instskip(SKIP_1) | instid1(SALU_CYCLE_1)
	v_fmaak_f64 v[12:13], s[6:7], v[10:11], 0xbc5646da66119130
	s_mov_b64 s[6:7], 0x3e5ade156a5dcb37
	v_fmaak_f64 v[34:35], s[6:7], v[32:33], 0x3e928af3fca7ab0c
	s_delay_alu instid0(VALU_DEP_2) | instskip(NEXT) | instid1(VALU_DEP_2)
	v_fmaak_f64 v[18:19], v[10:11], v[12:13], 0x3c60adb754ca8b19
	v_fmaak_f64 v[34:35], v[32:33], v[34:35], 0x3ec71dee623fde64
	s_delay_alu instid0(TRANS32_DEP_1) | instskip(SKIP_1) | instid1(VALU_DEP_4)
	v_mul_f64_e32 v[28:29], v[20:21], v[24:25]
	v_mul_f64_e32 v[24:25], 0.5, v[24:25]
	v_add_f64_e32 v[18:19], 0x3c89be1812d98421, v[18:19]
	s_delay_alu instid0(VALU_DEP_4) | instskip(NEXT) | instid1(VALU_DEP_1)
	v_fmaak_f64 v[34:35], v[32:33], v[34:35], 0x3efa01997c89e6b0
	v_fmaak_f64 v[34:35], v[32:33], v[34:35], 0x3f2a01a014761f6e
	s_delay_alu instid0(VALU_DEP_1) | instskip(NEXT) | instid1(VALU_DEP_1)
	v_fmaak_f64 v[34:35], v[32:33], v[34:35], 0x3f56c16c1852b7b0
	v_fmaak_f64 v[34:35], v[32:33], v[34:35], 0x3f81111111122322
	v_fma_f64 v[30:31], -v[24:25], v[28:29], 0.5
	v_fma_f64 v[12:13], v[10:11], v[18:19], -v[12:13]
	s_delay_alu instid0(VALU_DEP_2) | instskip(NEXT) | instid1(VALU_DEP_2)
	v_fmac_f64_e32 v[28:29], v[28:29], v[30:31]
	v_add_f64_e32 v[12:13], 0x3c83f3dd076041cd, v[12:13]
	v_fmac_f64_e32 v[24:25], v[24:25], v[30:31]
	s_delay_alu instid0(VALU_DEP_3) | instskip(NEXT) | instid1(VALU_DEP_3)
	v_fma_f64 v[30:31], -v[28:29], v[28:29], v[20:21]
	v_fma_f64 v[18:19], v[10:11], v[12:13], -v[18:19]
	s_delay_alu instid0(VALU_DEP_2) | instskip(NEXT) | instid1(VALU_DEP_2)
	v_fmac_f64_e32 v[28:29], v[30:31], v[24:25]
	v_add_f64_e32 v[18:19], 0xbcb4600babd21fe4, v[18:19]
	s_delay_alu instid0(VALU_DEP_2) | instskip(NEXT) | instid1(VALU_DEP_2)
	v_fma_f64 v[26:27], -v[28:29], v[28:29], v[20:21]
	v_fma_f64 v[12:13], v[10:11], v[18:19], -v[12:13]
	s_delay_alu instid0(VALU_DEP_2) | instskip(NEXT) | instid1(VALU_DEP_2)
	v_fmac_f64_e32 v[28:29], v[26:27], v[24:25]
	v_add_f64_e32 v[12:13], 0xbcb8aee7d908de38, v[12:13]
	s_delay_alu instid0(VALU_DEP_1) | instskip(NEXT) | instid1(VALU_DEP_1)
	v_fma_f64 v[18:19], v[10:11], v[12:13], -v[18:19]
	v_add_f64_e32 v[18:19], 0x3cdfee7da3eafb1f, v[18:19]
	s_delay_alu instid0(VALU_DEP_1) | instskip(NEXT) | instid1(VALU_DEP_1)
	v_fma_f64 v[12:13], v[10:11], v[18:19], -v[12:13]
	;; [unrolled: 3-line block ×18, first 2 shown]
	v_add_f64_e32 v[12:13], 0x3f6b998ca2e59049, v[12:13]
	s_delay_alu instid0(VALU_DEP_1) | instskip(SKIP_1) | instid1(VALU_DEP_1)
	v_fma_f64 v[10:11], v[10:11], v[12:13], -v[18:19]
	v_fmaak_f64 v[12:13], v[32:33], v[34:35], 0x3fa55555555502a1
	v_fmaak_f64 v[12:13], v[32:33], v[12:13], 0x3fc5555555555511
	s_delay_alu instid0(VALU_DEP_1) | instskip(NEXT) | instid1(VALU_DEP_1)
	v_fmaak_f64 v[12:13], v[32:33], v[12:13], 0x3fe000000000000b
	v_fma_f64 v[12:13], v[32:33], v[12:13], 1.0
	v_add_f64_e32 v[10:11], 0x3fe9be62aca809cb, v[10:11]
	s_delay_alu instid0(VALU_DEP_2) | instskip(NEXT) | instid1(VALU_DEP_2)
	v_fma_f64 v[12:13], v[32:33], v[12:13], 1.0
	v_add_f64_e64 v[10:11], v[10:11], -v[18:19]
	s_delay_alu instid0(VALU_DEP_2) | instskip(SKIP_2) | instid1(VALU_DEP_3)
	v_ldexp_f64 v[12:13], v[12:13], v7
	v_cndmask_b32_e64 v7, 0, 0xffffff80, vcc_lo
	v_cmp_class_f64_e64 vcc_lo, v[20:21], 0x260
	v_dual_mul_f64 v[8:9], 0.5, v[10:11] :: v_dual_cndmask_b32 v10, 0, v12, s1
	s_delay_alu instid0(VALU_DEP_4) | instskip(NEXT) | instid1(VALU_DEP_4)
	v_cndmask_b32_e64 v11, 0x7ff00000, v13, s1
	v_ldexp_f64 v[12:13], v[28:29], v7
	s_delay_alu instid0(VALU_DEP_2) | instskip(NEXT) | instid1(VALU_DEP_2)
	v_mul_f64_e32 v[8:9], v[10:11], v[8:9]
	v_dual_cndmask_b32 v11, v13, v21 :: v_dual_cndmask_b32 v10, v12, v20
	s_delay_alu instid0(VALU_DEP_1) | instskip(NEXT) | instid1(VALU_DEP_1)
	v_div_scale_f64 v[12:13], null, v[10:11], v[10:11], v[8:9]
	v_rcp_f64_e32 v[18:19], v[12:13]
	v_nop
	s_delay_alu instid0(TRANS32_DEP_1) | instskip(NEXT) | instid1(VALU_DEP_1)
	v_fma_f64 v[20:21], -v[12:13], v[18:19], 1.0
	v_fmac_f64_e32 v[18:19], v[18:19], v[20:21]
	s_delay_alu instid0(VALU_DEP_1) | instskip(NEXT) | instid1(VALU_DEP_1)
	v_fma_f64 v[20:21], -v[12:13], v[18:19], 1.0
	v_fmac_f64_e32 v[18:19], v[18:19], v[20:21]
	v_div_scale_f64 v[20:21], vcc_lo, v[8:9], v[10:11], v[8:9]
	s_delay_alu instid0(VALU_DEP_1) | instskip(NEXT) | instid1(VALU_DEP_1)
	v_mul_f64_e32 v[24:25], v[20:21], v[18:19]
	v_fma_f64 v[12:13], -v[12:13], v[24:25], v[20:21]
	s_delay_alu instid0(VALU_DEP_1) | instskip(NEXT) | instid1(VALU_DEP_1)
	v_div_fmas_f64 v[12:13], v[12:13], v[18:19], v[24:25]
	v_div_fixup_f64 v[12:13], v[12:13], v[10:11], v[8:9]
.LBB0_36:
	s_or_b32 exec_lo, exec_lo, s4
	s_delay_alu instid0(SALU_CYCLE_1) | instskip(SKIP_1) | instid1(SALU_CYCLE_1)
	s_or_b32 exec_lo, exec_lo, s3
	s_and_saveexec_b32 s1, s0
	s_xor_b32 s0, exec_lo, s1
	s_cbranch_execz .LBB0_28
.LBB0_37:
	v_dual_mov_b32 v7, 0 :: v_dual_mov_b32 v5, v22
	s_delay_alu instid0(VALU_DEP_1) | instskip(SKIP_3) | instid1(SALU_CYCLE_1)
	v_lshl_add_u64 v[6:7], v[6:7], 3, v[0:1]
	flat_store_b64 v[6:7], v[2:3]
	s_wait_xcnt 0x0
	s_or_b32 exec_lo, exec_lo, s0
	s_mov_b32 s0, exec_lo
	v_cmpx_lt_i32_e64 v5, v4
	s_cbranch_execz .LBB0_29
.LBB0_38:
	v_dual_mov_b32 v3, 0 :: v_dual_add_nc_u32 v2, s2, v5
	v_add_nc_u32_e32 v5, 0x100, v5
	s_delay_alu instid0(VALU_DEP_2) | instskip(SKIP_3) | instid1(SALU_CYCLE_1)
	v_lshl_add_u64 v[2:3], v[2:3], 3, v[0:1]
	flat_store_b64 v[2:3], v[16:17]
	s_wait_xcnt 0x0
	s_or_b32 exec_lo, exec_lo, s0
	s_mov_b32 s0, exec_lo
	v_cmpx_lt_i32_e64 v5, v4
	s_cbranch_execz .LBB0_30
.LBB0_39:
	v_dual_mov_b32 v3, 0 :: v_dual_add_nc_u32 v2, s2, v5
	v_add_nc_u32_e32 v5, 0x100, v5
	s_delay_alu instid0(VALU_DEP_2) | instskip(SKIP_3) | instid1(SALU_CYCLE_1)
	v_lshl_add_u64 v[2:3], v[2:3], 3, v[0:1]
	flat_store_b64 v[2:3], v[14:15]
	s_wait_xcnt 0x0
	s_or_b32 exec_lo, exec_lo, s0
	s_mov_b32 s0, exec_lo
	v_cmpx_lt_i32_e64 v5, v4
	s_cbranch_execz .LBB0_31
.LBB0_40:
	v_dual_mov_b32 v3, 0 :: v_dual_add_nc_u32 v2, s2, v5
	s_delay_alu instid0(VALU_DEP_1)
	v_lshl_add_u64 v[0:1], v[2:3], 3, v[0:1]
	flat_store_b64 v[0:1], v[12:13]
	s_wait_xcnt 0x0
	s_or_b32 exec_lo, exec_lo, s0
	s_wait_dscnt 0x0
	s_set_pc_i64 s[30:31]
.Lfunc_end0:
	.size	_ZN2at6native25elementwise_kernel_helperILb0EZZZNS0_12_GLOBAL__N_130modified_bessel_i0_kernel_cudaERNS_18TensorIteratorBaseEENKUlvE_clEvENKUlvE_clEvEUldE_NS0_6memory8policies11unroll_baseILi256ESt5arrayIPcLm2EE23TrivialOffsetCalculatorILi1EjESF_NS8_15LoadWithoutCastENS8_16StoreWithoutCastELi4ELi1EEEEEvT0_T1_, .Lfunc_end0-_ZN2at6native25elementwise_kernel_helperILb0EZZZNS0_12_GLOBAL__N_130modified_bessel_i0_kernel_cudaERNS_18TensorIteratorBaseEENKUlvE_clEvENKUlvE_clEvEUldE_NS0_6memory8policies11unroll_baseILi256ESt5arrayIPcLm2EE23TrivialOffsetCalculatorILi1EjESF_NS8_15LoadWithoutCastENS8_16StoreWithoutCastELi4ELi1EEEEEvT0_T1_
                                        ; -- End function
	.set .L_ZN2at6native25elementwise_kernel_helperILb0EZZZNS0_12_GLOBAL__N_130modified_bessel_i0_kernel_cudaERNS_18TensorIteratorBaseEENKUlvE_clEvENKUlvE_clEvEUldE_NS0_6memory8policies11unroll_baseILi256ESt5arrayIPcLm2EE23TrivialOffsetCalculatorILi1EjESF_NS8_15LoadWithoutCastENS8_16StoreWithoutCastELi4ELi1EEEEEvT0_T1_.num_vgpr, 40
	.set .L_ZN2at6native25elementwise_kernel_helperILb0EZZZNS0_12_GLOBAL__N_130modified_bessel_i0_kernel_cudaERNS_18TensorIteratorBaseEENKUlvE_clEvENKUlvE_clEvEUldE_NS0_6memory8policies11unroll_baseILi256ESt5arrayIPcLm2EE23TrivialOffsetCalculatorILi1EjESF_NS8_15LoadWithoutCastENS8_16StoreWithoutCastELi4ELi1EEEEEvT0_T1_.num_agpr, 0
	.set .L_ZN2at6native25elementwise_kernel_helperILb0EZZZNS0_12_GLOBAL__N_130modified_bessel_i0_kernel_cudaERNS_18TensorIteratorBaseEENKUlvE_clEvENKUlvE_clEvEUldE_NS0_6memory8policies11unroll_baseILi256ESt5arrayIPcLm2EE23TrivialOffsetCalculatorILi1EjESF_NS8_15LoadWithoutCastENS8_16StoreWithoutCastELi4ELi1EEEEEvT0_T1_.numbered_sgpr, 32
	.set .L_ZN2at6native25elementwise_kernel_helperILb0EZZZNS0_12_GLOBAL__N_130modified_bessel_i0_kernel_cudaERNS_18TensorIteratorBaseEENKUlvE_clEvENKUlvE_clEvEUldE_NS0_6memory8policies11unroll_baseILi256ESt5arrayIPcLm2EE23TrivialOffsetCalculatorILi1EjESF_NS8_15LoadWithoutCastENS8_16StoreWithoutCastELi4ELi1EEEEEvT0_T1_.num_named_barrier, 0
	.set .L_ZN2at6native25elementwise_kernel_helperILb0EZZZNS0_12_GLOBAL__N_130modified_bessel_i0_kernel_cudaERNS_18TensorIteratorBaseEENKUlvE_clEvENKUlvE_clEvEUldE_NS0_6memory8policies11unroll_baseILi256ESt5arrayIPcLm2EE23TrivialOffsetCalculatorILi1EjESF_NS8_15LoadWithoutCastENS8_16StoreWithoutCastELi4ELi1EEEEEvT0_T1_.private_seg_size, 0
	.set .L_ZN2at6native25elementwise_kernel_helperILb0EZZZNS0_12_GLOBAL__N_130modified_bessel_i0_kernel_cudaERNS_18TensorIteratorBaseEENKUlvE_clEvENKUlvE_clEvEUldE_NS0_6memory8policies11unroll_baseILi256ESt5arrayIPcLm2EE23TrivialOffsetCalculatorILi1EjESF_NS8_15LoadWithoutCastENS8_16StoreWithoutCastELi4ELi1EEEEEvT0_T1_.uses_vcc, 1
	.set .L_ZN2at6native25elementwise_kernel_helperILb0EZZZNS0_12_GLOBAL__N_130modified_bessel_i0_kernel_cudaERNS_18TensorIteratorBaseEENKUlvE_clEvENKUlvE_clEvEUldE_NS0_6memory8policies11unroll_baseILi256ESt5arrayIPcLm2EE23TrivialOffsetCalculatorILi1EjESF_NS8_15LoadWithoutCastENS8_16StoreWithoutCastELi4ELi1EEEEEvT0_T1_.uses_flat_scratch, 0
	.set .L_ZN2at6native25elementwise_kernel_helperILb0EZZZNS0_12_GLOBAL__N_130modified_bessel_i0_kernel_cudaERNS_18TensorIteratorBaseEENKUlvE_clEvENKUlvE_clEvEUldE_NS0_6memory8policies11unroll_baseILi256ESt5arrayIPcLm2EE23TrivialOffsetCalculatorILi1EjESF_NS8_15LoadWithoutCastENS8_16StoreWithoutCastELi4ELi1EEEEEvT0_T1_.has_dyn_sized_stack, 0
	.set .L_ZN2at6native25elementwise_kernel_helperILb0EZZZNS0_12_GLOBAL__N_130modified_bessel_i0_kernel_cudaERNS_18TensorIteratorBaseEENKUlvE_clEvENKUlvE_clEvEUldE_NS0_6memory8policies11unroll_baseILi256ESt5arrayIPcLm2EE23TrivialOffsetCalculatorILi1EjESF_NS8_15LoadWithoutCastENS8_16StoreWithoutCastELi4ELi1EEEEEvT0_T1_.has_recursion, 0
	.set .L_ZN2at6native25elementwise_kernel_helperILb0EZZZNS0_12_GLOBAL__N_130modified_bessel_i0_kernel_cudaERNS_18TensorIteratorBaseEENKUlvE_clEvENKUlvE_clEvEUldE_NS0_6memory8policies11unroll_baseILi256ESt5arrayIPcLm2EE23TrivialOffsetCalculatorILi1EjESF_NS8_15LoadWithoutCastENS8_16StoreWithoutCastELi4ELi1EEEEEvT0_T1_.has_indirect_call, 0
	.section	.AMDGPU.csdata,"",@progbits
; Function info:
; codeLenInByte = 9584
; TotalNumSgprs: 34
; NumVgprs: 40
; ScratchSize: 0
; MemoryBound: 0
	.text
	.p2align	2                               ; -- Begin function _ZN2at6native25elementwise_kernel_helperILb0EZZZNS0_12_GLOBAL__N_130modified_bessel_i0_kernel_cudaERNS_18TensorIteratorBaseEENKUlvE_clEvENKUlvE_clEvEUldE_NS0_6memory8policies10vectorizedILi4ESt5arrayIPcLm2EELi4EEEEEvT0_T1_
	.type	_ZN2at6native25elementwise_kernel_helperILb0EZZZNS0_12_GLOBAL__N_130modified_bessel_i0_kernel_cudaERNS_18TensorIteratorBaseEENKUlvE_clEvENKUlvE_clEvEUldE_NS0_6memory8policies10vectorizedILi4ESt5arrayIPcLm2EELi4EEEEEvT0_T1_,@function
_ZN2at6native25elementwise_kernel_helperILb0EZZZNS0_12_GLOBAL__N_130modified_bessel_i0_kernel_cudaERNS_18TensorIteratorBaseEENKUlvE_clEvENKUlvE_clEvEUldE_NS0_6memory8policies10vectorizedILi4ESt5arrayIPcLm2EELi4EEEEEvT0_T1_: ; @_ZN2at6native25elementwise_kernel_helperILb0EZZZNS0_12_GLOBAL__N_130modified_bessel_i0_kernel_cudaERNS_18TensorIteratorBaseEENKUlvE_clEvENKUlvE_clEvEUldE_NS0_6memory8policies10vectorizedILi4ESt5arrayIPcLm2EELi4EEEEEvT0_T1_
; %bb.0:
	s_wait_loadcnt_dscnt 0x0
	s_wait_kmcnt 0x0
	s_bfe_u32 s0, ttmp6, 0x4000c
	s_and_b32 s1, ttmp6, 15
	s_add_co_i32 s0, s0, 1
	s_getreg_b32 s2, hwreg(HW_REG_IB_STS2, 6, 4)
	s_mul_i32 s0, ttmp9, s0
	v_and_b32_e32 v4, 0x3ff, v31
	s_add_co_i32 s1, s1, s0
	s_cmp_eq_u32 s2, 0
	v_mov_b32_e32 v15, 0
	s_cselect_b32 s0, ttmp9, s1
	v_lshlrev_b32_e32 v14, 5, v4
	s_lshl_b32 s0, s0, 10
	s_delay_alu instid0(SALU_CYCLE_1) | instskip(NEXT) | instid1(SALU_CYCLE_1)
	s_ashr_i32 s1, s0, 31
	v_lshl_add_u64 v[2:3], s[0:1], 3, v[2:3]
	s_delay_alu instid0(VALU_DEP_1)
	v_add_nc_u64_e32 v[6:7], v[2:3], v[14:15]
	s_clause 0x1
	flat_load_b128 v[8:11], v[6:7]
	flat_load_b128 v[2:5], v[6:7] offset:16
                                        ; implicit-def: $vgpr6_vgpr7
	s_wait_loadcnt_dscnt 0x101
	v_cmp_ge_f64_e64 s2, 0x40200000, |v[8:9]|
	s_wait_xcnt 0x0
	s_and_saveexec_b32 s3, s2
	s_delay_alu instid0(SALU_CYCLE_1)
	s_xor_b32 s2, exec_lo, s3
	s_cbranch_execz .LBB1_2
; %bb.1:
	v_fma_f64 v[6:7], |v[8:9]|, 0.5, -2.0
	s_mov_b64 s[4:5], 0xbc545cb72134d0ef
	s_delay_alu instid0(VALU_DEP_1) | instid1(SALU_CYCLE_1)
	v_fmaak_f64 v[12:13], s[4:5], v[6:7], 0x3c833362977da589
	s_mov_b64 s[4:5], 0x3ff71547652b82fe
	s_delay_alu instid0(SALU_CYCLE_1) | instskip(SKIP_1) | instid1(VALU_DEP_2)
	v_mul_f64_e64 v[18:19], |v[8:9]|, s[4:5]
	s_mov_b64 s[4:5], 0xbfe62e42fefa39ef
	v_fmaak_f64 v[16:17], v[6:7], v[12:13], 0x3c545cb72134d0ef
	s_delay_alu instid0(VALU_DEP_1) | instskip(NEXT) | instid1(VALU_DEP_3)
	v_add_f64_e32 v[16:17], 0xbcb184eb721ebbb4, v[16:17]
	v_rndne_f64_e32 v[18:19], v[18:19]
	s_delay_alu instid0(VALU_DEP_2) | instskip(NEXT) | instid1(VALU_DEP_2)
	v_fma_f64 v[12:13], v[6:7], v[16:17], -v[12:13]
	v_fma_f64 v[20:21], v[18:19], s[4:5], |v[8:9]|
	s_mov_b64 s[4:5], 0x3e5ade156a5dcb37
	v_cvt_i32_f64_e32 v15, v[18:19]
	s_delay_alu instid0(VALU_DEP_3) | instskip(NEXT) | instid1(VALU_DEP_3)
	v_add_f64_e32 v[12:13], 0x3cdee6d893f65eba, v[12:13]
	v_fmamk_f64 v[20:21], v[18:19], 0xbc7abc9e3b39803f, v[20:21]
	s_delay_alu instid0(VALU_DEP_1) | instskip(NEXT) | instid1(VALU_DEP_3)
	v_fmaak_f64 v[22:23], s[4:5], v[20:21], 0x3e928af3fca7ab0c
	v_fma_f64 v[16:17], v[6:7], v[12:13], -v[16:17]
	s_delay_alu instid0(VALU_DEP_2) | instskip(NEXT) | instid1(VALU_DEP_1)
	v_fmaak_f64 v[22:23], v[20:21], v[22:23], 0x3ec71dee623fde64
	v_fmaak_f64 v[22:23], v[20:21], v[22:23], 0x3efa01997c89e6b0
	s_delay_alu instid0(VALU_DEP_1) | instskip(NEXT) | instid1(VALU_DEP_1)
	v_fmaak_f64 v[22:23], v[20:21], v[22:23], 0x3f2a01a014761f6e
	v_fmaak_f64 v[22:23], v[20:21], v[22:23], 0x3f56c16c1852b7b0
	v_add_f64_e32 v[16:17], 0xbd0a5022c297fbeb, v[16:17]
	s_delay_alu instid0(VALU_DEP_1) | instskip(NEXT) | instid1(VALU_DEP_1)
	v_fma_f64 v[12:13], v[6:7], v[16:17], -v[12:13]
	v_add_f64_e32 v[12:13], 0x3d359b464b262627, v[12:13]
	s_delay_alu instid0(VALU_DEP_1) | instskip(NEXT) | instid1(VALU_DEP_1)
	v_fma_f64 v[16:17], v[6:7], v[12:13], -v[16:17]
	v_add_f64_e32 v[16:17], 0xbd61164c62ee1af0, v[16:17]
	s_delay_alu instid0(VALU_DEP_1) | instskip(NEXT) | instid1(VALU_DEP_1)
	v_fma_f64 v[12:13], v[6:7], v[16:17], -v[12:13]
	v_add_f64_e32 v[12:13], 0x3d89fe2fe19bd324, v[12:13]
	s_delay_alu instid0(VALU_DEP_1) | instskip(NEXT) | instid1(VALU_DEP_1)
	v_fma_f64 v[16:17], v[6:7], v[12:13], -v[16:17]
	v_add_f64_e32 v[16:17], 0xbdb2fc957a946abc, v[16:17]
	s_delay_alu instid0(VALU_DEP_1) | instskip(NEXT) | instid1(VALU_DEP_1)
	v_fma_f64 v[12:13], v[6:7], v[16:17], -v[12:13]
	v_add_f64_e32 v[12:13], 0x3dda98becc743c10, v[12:13]
	s_delay_alu instid0(VALU_DEP_1) | instskip(NEXT) | instid1(VALU_DEP_1)
	v_fma_f64 v[16:17], v[6:7], v[12:13], -v[16:17]
	v_add_f64_e32 v[16:17], 0xbe01d4fe13ae9556, v[16:17]
	s_delay_alu instid0(VALU_DEP_1) | instskip(NEXT) | instid1(VALU_DEP_1)
	v_fma_f64 v[12:13], v[6:7], v[16:17], -v[12:13]
	v_add_f64_e32 v[12:13], 0x3e26d903a454cb34, v[12:13]
	s_delay_alu instid0(VALU_DEP_1) | instskip(NEXT) | instid1(VALU_DEP_1)
	v_fma_f64 v[16:17], v[6:7], v[12:13], -v[16:17]
	v_add_f64_e32 v[16:17], 0xbe4beaf68c0b30ab, v[16:17]
	s_delay_alu instid0(VALU_DEP_1) | instskip(NEXT) | instid1(VALU_DEP_1)
	v_fma_f64 v[12:13], v[6:7], v[16:17], -v[12:13]
	v_add_f64_e32 v[12:13], 0x3e703b769d4d6435, v[12:13]
	s_delay_alu instid0(VALU_DEP_1) | instskip(NEXT) | instid1(VALU_DEP_1)
	v_fma_f64 v[16:17], v[6:7], v[12:13], -v[16:17]
	v_add_f64_e32 v[16:17], 0xbe91ec638f227f8d, v[16:17]
	s_delay_alu instid0(VALU_DEP_1) | instskip(NEXT) | instid1(VALU_DEP_1)
	v_fma_f64 v[12:13], v[6:7], v[16:17], -v[12:13]
	v_add_f64_e32 v[12:13], 0x3eb2bf24978cf4ac, v[12:13]
	s_delay_alu instid0(VALU_DEP_1) | instskip(NEXT) | instid1(VALU_DEP_1)
	v_fma_f64 v[16:17], v[6:7], v[12:13], -v[16:17]
	v_add_f64_e32 v[16:17], 0xbed2866fcba56427, v[16:17]
	s_delay_alu instid0(VALU_DEP_1) | instskip(NEXT) | instid1(VALU_DEP_1)
	v_fma_f64 v[12:13], v[6:7], v[16:17], -v[12:13]
	v_add_f64_e32 v[12:13], 0x3ef13f58be9a2859, v[12:13]
	s_delay_alu instid0(VALU_DEP_1) | instskip(NEXT) | instid1(VALU_DEP_1)
	v_fma_f64 v[16:17], v[6:7], v[12:13], -v[16:17]
	v_add_f64_e32 v[16:17], 0xbf0e2b2659c41d5a, v[16:17]
	s_delay_alu instid0(VALU_DEP_1) | instskip(NEXT) | instid1(VALU_DEP_1)
	v_fma_f64 v[12:13], v[6:7], v[16:17], -v[12:13]
	v_add_f64_e32 v[12:13], 0x3f28b51b74107cab, v[12:13]
	s_delay_alu instid0(VALU_DEP_1) | instskip(NEXT) | instid1(VALU_DEP_1)
	v_fma_f64 v[16:17], v[6:7], v[12:13], -v[16:17]
	v_add_f64_e32 v[16:17], 0xbf42e2fd1f15eb52, v[16:17]
	s_delay_alu instid0(VALU_DEP_1) | instskip(NEXT) | instid1(VALU_DEP_1)
	v_fma_f64 v[12:13], v[6:7], v[16:17], -v[12:13]
	v_add_f64_e32 v[12:13], 0x3f5adc758a12100e, v[12:13]
	s_delay_alu instid0(VALU_DEP_1) | instskip(NEXT) | instid1(VALU_DEP_1)
	v_fma_f64 v[16:17], v[6:7], v[12:13], -v[16:17]
	v_add_f64_e32 v[16:17], 0xbf71b65e201aa849, v[16:17]
	s_delay_alu instid0(VALU_DEP_1) | instskip(NEXT) | instid1(VALU_DEP_1)
	v_fma_f64 v[12:13], v[6:7], v[16:17], -v[12:13]
	v_add_f64_e32 v[12:13], 0x3f859961f3dde3dd, v[12:13]
	s_delay_alu instid0(VALU_DEP_1) | instskip(NEXT) | instid1(VALU_DEP_1)
	v_fma_f64 v[16:17], v[6:7], v[12:13], -v[16:17]
	v_add_f64_e32 v[16:17], 0xbf984e9ef121b6f0, v[16:17]
	s_delay_alu instid0(VALU_DEP_1) | instskip(NEXT) | instid1(VALU_DEP_1)
	v_fma_f64 v[12:13], v[6:7], v[16:17], -v[12:13]
	v_add_f64_e32 v[12:13], 0x3fa93e8acea8a32d, v[12:13]
	s_delay_alu instid0(VALU_DEP_1) | instskip(NEXT) | instid1(VALU_DEP_1)
	v_fma_f64 v[16:17], v[6:7], v[12:13], -v[16:17]
	v_add_f64_e32 v[16:17], 0xbfb84b70342d06ea, v[16:17]
	s_delay_alu instid0(VALU_DEP_1) | instskip(NEXT) | instid1(VALU_DEP_1)
	v_fma_f64 v[12:13], v[6:7], v[16:17], -v[12:13]
	v_add_f64_e32 v[12:13], 0x3fc5f7ac77ac88c0, v[12:13]
	s_delay_alu instid0(VALU_DEP_1) | instskip(NEXT) | instid1(VALU_DEP_1)
	v_fma_f64 v[16:17], v[6:7], v[12:13], -v[16:17]
	v_add_f64_e32 v[16:17], 0xbfd37febc057cd8d, v[16:17]
	s_delay_alu instid0(VALU_DEP_1) | instskip(SKIP_1) | instid1(VALU_DEP_1)
	v_fma_f64 v[6:7], v[6:7], v[16:17], -v[12:13]
	v_fmaak_f64 v[16:17], v[20:21], v[22:23], 0x3f81111111122322
	v_fmaak_f64 v[16:17], v[20:21], v[16:17], 0x3fa55555555502a1
	s_delay_alu instid0(VALU_DEP_1) | instskip(NEXT) | instid1(VALU_DEP_1)
	v_fmaak_f64 v[16:17], v[20:21], v[16:17], 0x3fc5555555555511
	v_fmaak_f64 v[16:17], v[20:21], v[16:17], 0x3fe000000000000b
	s_delay_alu instid0(VALU_DEP_1) | instskip(SKIP_1) | instid1(VALU_DEP_2)
	v_fma_f64 v[16:17], v[20:21], v[16:17], 1.0
	v_add_f64_e32 v[6:7], 0x3fe5a84e9035a22a, v[6:7]
	v_fma_f64 v[16:17], v[20:21], v[16:17], 1.0
	s_delay_alu instid0(VALU_DEP_2) | instskip(NEXT) | instid1(VALU_DEP_2)
	v_add_f64_e64 v[6:7], v[6:7], -v[12:13]
	v_ldexp_f64 v[12:13], v[16:17], v15
	s_delay_alu instid0(VALU_DEP_2) | instskip(NEXT) | instid1(VALU_DEP_1)
	v_mul_f64_e32 v[6:7], 0.5, v[6:7]
	v_mul_f64_e32 v[6:7], v[12:13], v[6:7]
.LBB1_2:
	s_and_not1_saveexec_b32 s2, s2
	s_cbranch_execz .LBB1_4
; %bb.3:
	v_and_b32_e32 v7, 0x7fffffff, v9
	v_mov_b32_e32 v6, v8
	s_mov_b64 s[4:5], 0xbc60adb754ca8b19
	v_cmp_gt_f64_e64 s3, 0x10000000, |v[8:9]|
	s_delay_alu instid0(VALU_DEP_2) | instskip(SKIP_1) | instid1(VALU_DEP_3)
	v_div_scale_f64 v[12:13], null, v[6:7], v[6:7], 0x40400000
	v_div_scale_f64 v[6:7], vcc_lo, 0x40400000, v[6:7], 0x40400000
	v_cndmask_b32_e64 v15, 0, 0x100, s3
	s_delay_alu instid0(VALU_DEP_3) | instskip(SKIP_1) | instid1(TRANS32_DEP_1)
	v_rcp_f64_e32 v[16:17], v[12:13]
	v_nop
	v_fma_f64 v[18:19], -v[12:13], v[16:17], 1.0
	s_delay_alu instid0(VALU_DEP_1) | instskip(NEXT) | instid1(VALU_DEP_1)
	v_fmac_f64_e32 v[16:17], v[16:17], v[18:19]
	v_fma_f64 v[18:19], -v[12:13], v[16:17], 1.0
	s_delay_alu instid0(VALU_DEP_1) | instskip(NEXT) | instid1(VALU_DEP_1)
	v_fmac_f64_e32 v[16:17], v[16:17], v[18:19]
	v_mul_f64_e32 v[18:19], v[6:7], v[16:17]
	s_delay_alu instid0(VALU_DEP_1) | instskip(NEXT) | instid1(VALU_DEP_1)
	v_fma_f64 v[6:7], -v[12:13], v[18:19], v[6:7]
	v_div_fmas_f64 v[6:7], v[6:7], v[16:17], v[18:19]
	v_ldexp_f64 v[18:19], |v[8:9]|, v15
	v_cmp_nlt_f64_e64 vcc_lo, 0x40900000, |v[8:9]|
	s_delay_alu instid0(VALU_DEP_3) | instskip(NEXT) | instid1(VALU_DEP_3)
	v_div_fixup_f64 v[6:7], v[6:7], |v[8:9]|, 0x40400000
	v_rsq_f64_e32 v[22:23], v[18:19]
	s_delay_alu instid0(VALU_DEP_1) | instskip(NEXT) | instid1(TRANS32_DEP_1)
	v_add_f64_e32 v[6:7], -2.0, v[6:7]
	v_mul_f64_e32 v[24:25], v[18:19], v[22:23]
	v_mul_f64_e32 v[22:23], 0.5, v[22:23]
	s_delay_alu instid0(VALU_DEP_3) | instskip(SKIP_1) | instid1(SALU_CYCLE_1)
	v_fmaak_f64 v[12:13], s[4:5], v[6:7], 0xbc5646da66119130
	s_mov_b64 s[4:5], 0x3ff71547652b82fe
	v_mul_f64_e64 v[20:21], |v[8:9]|, s[4:5]
	s_mov_b64 s[4:5], 0xbfe62e42fefa39ef
	s_delay_alu instid0(VALU_DEP_2) | instskip(NEXT) | instid1(VALU_DEP_4)
	v_fmaak_f64 v[16:17], v[6:7], v[12:13], 0x3c60adb754ca8b19
	v_fma_f64 v[28:29], -v[22:23], v[24:25], 0.5
	s_delay_alu instid0(VALU_DEP_2) | instskip(NEXT) | instid1(VALU_DEP_4)
	v_add_f64_e32 v[16:17], 0x3c89be1812d98421, v[16:17]
	v_rndne_f64_e32 v[20:21], v[20:21]
	s_delay_alu instid0(VALU_DEP_3) | instskip(SKIP_1) | instid1(VALU_DEP_4)
	v_fmac_f64_e32 v[24:25], v[24:25], v[28:29]
	v_fmac_f64_e32 v[22:23], v[22:23], v[28:29]
	v_fma_f64 v[12:13], v[6:7], v[16:17], -v[12:13]
	s_delay_alu instid0(VALU_DEP_4) | instskip(SKIP_3) | instid1(VALU_DEP_4)
	v_fma_f64 v[26:27], v[20:21], s[4:5], |v[8:9]|
	s_mov_b64 s[4:5], 0x3e5ade156a5dcb37
	v_cvt_i32_f64_e32 v15, v[20:21]
	v_fma_f64 v[28:29], -v[24:25], v[24:25], v[18:19]
	v_add_f64_e32 v[12:13], 0x3c83f3dd076041cd, v[12:13]
	s_delay_alu instid0(VALU_DEP_4) | instskip(NEXT) | instid1(VALU_DEP_3)
	v_fmamk_f64 v[26:27], v[20:21], 0xbc7abc9e3b39803f, v[26:27]
	v_fmac_f64_e32 v[24:25], v[28:29], v[22:23]
	s_delay_alu instid0(VALU_DEP_2) | instskip(NEXT) | instid1(VALU_DEP_4)
	v_fmaak_f64 v[30:31], s[4:5], v[26:27], 0x3e928af3fca7ab0c
	v_fma_f64 v[16:17], v[6:7], v[12:13], -v[16:17]
	s_delay_alu instid0(VALU_DEP_2) | instskip(NEXT) | instid1(VALU_DEP_1)
	v_fmaak_f64 v[30:31], v[26:27], v[30:31], 0x3ec71dee623fde64
	v_fmaak_f64 v[30:31], v[26:27], v[30:31], 0x3efa01997c89e6b0
	s_delay_alu instid0(VALU_DEP_1) | instskip(NEXT) | instid1(VALU_DEP_1)
	v_fmaak_f64 v[30:31], v[26:27], v[30:31], 0x3f2a01a014761f6e
	v_fmaak_f64 v[30:31], v[26:27], v[30:31], 0x3f56c16c1852b7b0
	v_fma_f64 v[20:21], -v[24:25], v[24:25], v[18:19]
	s_delay_alu instid0(VALU_DEP_2) | instskip(SKIP_1) | instid1(VALU_DEP_3)
	v_fmaak_f64 v[30:31], v[26:27], v[30:31], 0x3f81111111122322
	v_add_f64_e32 v[16:17], 0xbcb4600babd21fe4, v[16:17]
	v_fmac_f64_e32 v[24:25], v[20:21], v[22:23]
	s_delay_alu instid0(VALU_DEP_2) | instskip(NEXT) | instid1(VALU_DEP_1)
	v_fma_f64 v[12:13], v[6:7], v[16:17], -v[12:13]
	v_add_f64_e32 v[12:13], 0xbcb8aee7d908de38, v[12:13]
	s_delay_alu instid0(VALU_DEP_1) | instskip(NEXT) | instid1(VALU_DEP_1)
	v_fma_f64 v[16:17], v[6:7], v[12:13], -v[16:17]
	v_add_f64_e32 v[16:17], 0x3cdfee7da3eafb1f, v[16:17]
	s_delay_alu instid0(VALU_DEP_1) | instskip(NEXT) | instid1(VALU_DEP_1)
	;; [unrolled: 3-line block ×18, first 2 shown]
	v_fma_f64 v[12:13], v[6:7], v[16:17], -v[12:13]
	v_add_f64_e32 v[12:13], 0x3f6b998ca2e59049, v[12:13]
	s_delay_alu instid0(VALU_DEP_1) | instskip(SKIP_1) | instid1(VALU_DEP_1)
	v_fma_f64 v[6:7], v[6:7], v[12:13], -v[16:17]
	v_fmaak_f64 v[12:13], v[26:27], v[30:31], 0x3fa55555555502a1
	v_fmaak_f64 v[12:13], v[26:27], v[12:13], 0x3fc5555555555511
	s_delay_alu instid0(VALU_DEP_1) | instskip(NEXT) | instid1(VALU_DEP_1)
	v_fmaak_f64 v[12:13], v[26:27], v[12:13], 0x3fe000000000000b
	v_fma_f64 v[12:13], v[26:27], v[12:13], 1.0
	v_add_f64_e32 v[6:7], 0x3fe9be62aca809cb, v[6:7]
	s_delay_alu instid0(VALU_DEP_2) | instskip(NEXT) | instid1(VALU_DEP_2)
	v_fma_f64 v[12:13], v[26:27], v[12:13], 1.0
	v_add_f64_e64 v[6:7], v[6:7], -v[16:17]
	s_delay_alu instid0(VALU_DEP_2) | instskip(SKIP_1) | instid1(VALU_DEP_3)
	v_ldexp_f64 v[12:13], v[12:13], v15
	v_cndmask_b32_e64 v15, 0, 0xffffff80, s3
	v_mul_f64_e32 v[6:7], 0.5, v[6:7]
	s_delay_alu instid0(VALU_DEP_3) | instskip(NEXT) | instid1(VALU_DEP_4)
	v_cndmask_b32_e32 v9, 0x7ff00000, v13, vcc_lo
	v_cndmask_b32_e32 v8, 0, v12, vcc_lo
	s_delay_alu instid0(VALU_DEP_4) | instskip(SKIP_1) | instid1(VALU_DEP_3)
	v_ldexp_f64 v[12:13], v[24:25], v15
	v_cmp_class_f64_e64 vcc_lo, v[18:19], 0x260
	v_mul_f64_e32 v[6:7], v[8:9], v[6:7]
	s_delay_alu instid0(VALU_DEP_3) | instskip(NEXT) | instid1(VALU_DEP_1)
	v_dual_cndmask_b32 v9, v13, v19 :: v_dual_cndmask_b32 v8, v12, v18
	v_div_scale_f64 v[12:13], null, v[8:9], v[8:9], v[6:7]
	s_delay_alu instid0(VALU_DEP_1) | instskip(SKIP_1) | instid1(TRANS32_DEP_1)
	v_rcp_f64_e32 v[16:17], v[12:13]
	v_nop
	v_fma_f64 v[18:19], -v[12:13], v[16:17], 1.0
	s_delay_alu instid0(VALU_DEP_1) | instskip(NEXT) | instid1(VALU_DEP_1)
	v_fmac_f64_e32 v[16:17], v[16:17], v[18:19]
	v_fma_f64 v[18:19], -v[12:13], v[16:17], 1.0
	s_delay_alu instid0(VALU_DEP_1) | instskip(SKIP_1) | instid1(VALU_DEP_1)
	v_fmac_f64_e32 v[16:17], v[16:17], v[18:19]
	v_div_scale_f64 v[18:19], vcc_lo, v[6:7], v[8:9], v[6:7]
	v_mul_f64_e32 v[20:21], v[18:19], v[16:17]
	s_delay_alu instid0(VALU_DEP_1) | instskip(NEXT) | instid1(VALU_DEP_1)
	v_fma_f64 v[12:13], -v[12:13], v[20:21], v[18:19]
	v_div_fmas_f64 v[12:13], v[12:13], v[16:17], v[20:21]
	s_delay_alu instid0(VALU_DEP_1)
	v_div_fixup_f64 v[6:7], v[12:13], v[8:9], v[6:7]
.LBB1_4:
	s_or_b32 exec_lo, exec_lo, s2
	v_cmp_ge_f64_e64 s2, 0x40200000, |v[10:11]|
	s_and_saveexec_b32 s3, s2
	s_delay_alu instid0(SALU_CYCLE_1)
	s_xor_b32 s2, exec_lo, s3
	s_cbranch_execz .LBB1_6
; %bb.5:
	v_fma_f64 v[8:9], |v[10:11]|, 0.5, -2.0
	s_mov_b64 s[4:5], 0xbc545cb72134d0ef
	s_delay_alu instid0(VALU_DEP_1) | instid1(SALU_CYCLE_1)
	v_fmaak_f64 v[12:13], s[4:5], v[8:9], 0x3c833362977da589
	s_mov_b64 s[4:5], 0x3ff71547652b82fe
	s_delay_alu instid0(SALU_CYCLE_1) | instskip(SKIP_1) | instid1(VALU_DEP_2)
	v_mul_f64_e64 v[18:19], |v[10:11]|, s[4:5]
	s_mov_b64 s[4:5], 0xbfe62e42fefa39ef
	v_fmaak_f64 v[16:17], v[8:9], v[12:13], 0x3c545cb72134d0ef
	s_delay_alu instid0(VALU_DEP_1) | instskip(NEXT) | instid1(VALU_DEP_3)
	v_add_f64_e32 v[16:17], 0xbcb184eb721ebbb4, v[16:17]
	v_rndne_f64_e32 v[18:19], v[18:19]
	s_delay_alu instid0(VALU_DEP_2) | instskip(NEXT) | instid1(VALU_DEP_2)
	v_fma_f64 v[12:13], v[8:9], v[16:17], -v[12:13]
	v_fma_f64 v[10:11], v[18:19], s[4:5], |v[10:11]|
	s_mov_b64 s[4:5], 0x3e5ade156a5dcb37
	v_cvt_i32_f64_e32 v15, v[18:19]
	s_delay_alu instid0(VALU_DEP_3) | instskip(NEXT) | instid1(VALU_DEP_3)
	v_add_f64_e32 v[12:13], 0x3cdee6d893f65eba, v[12:13]
	v_fmamk_f64 v[10:11], v[18:19], 0xbc7abc9e3b39803f, v[10:11]
	s_delay_alu instid0(VALU_DEP_1) | instskip(NEXT) | instid1(VALU_DEP_3)
	v_fmaak_f64 v[20:21], s[4:5], v[10:11], 0x3e928af3fca7ab0c
	v_fma_f64 v[16:17], v[8:9], v[12:13], -v[16:17]
	s_delay_alu instid0(VALU_DEP_2) | instskip(NEXT) | instid1(VALU_DEP_1)
	v_fmaak_f64 v[20:21], v[10:11], v[20:21], 0x3ec71dee623fde64
	v_fmaak_f64 v[20:21], v[10:11], v[20:21], 0x3efa01997c89e6b0
	s_delay_alu instid0(VALU_DEP_1) | instskip(NEXT) | instid1(VALU_DEP_1)
	v_fmaak_f64 v[20:21], v[10:11], v[20:21], 0x3f2a01a014761f6e
	v_fmaak_f64 v[20:21], v[10:11], v[20:21], 0x3f56c16c1852b7b0
	v_add_f64_e32 v[16:17], 0xbd0a5022c297fbeb, v[16:17]
	s_delay_alu instid0(VALU_DEP_1) | instskip(NEXT) | instid1(VALU_DEP_1)
	v_fma_f64 v[12:13], v[8:9], v[16:17], -v[12:13]
	v_add_f64_e32 v[12:13], 0x3d359b464b262627, v[12:13]
	s_delay_alu instid0(VALU_DEP_1) | instskip(NEXT) | instid1(VALU_DEP_1)
	v_fma_f64 v[16:17], v[8:9], v[12:13], -v[16:17]
	;; [unrolled: 3-line block ×24, first 2 shown]
	v_add_f64_e32 v[16:17], 0xbfd37febc057cd8d, v[16:17]
	s_delay_alu instid0(VALU_DEP_1) | instskip(SKIP_1) | instid1(VALU_DEP_1)
	v_fma_f64 v[8:9], v[8:9], v[16:17], -v[12:13]
	v_fmaak_f64 v[16:17], v[10:11], v[20:21], 0x3f81111111122322
	v_fmaak_f64 v[16:17], v[10:11], v[16:17], 0x3fa55555555502a1
	s_delay_alu instid0(VALU_DEP_1) | instskip(NEXT) | instid1(VALU_DEP_1)
	v_fmaak_f64 v[16:17], v[10:11], v[16:17], 0x3fc5555555555511
	v_fmaak_f64 v[16:17], v[10:11], v[16:17], 0x3fe000000000000b
	s_delay_alu instid0(VALU_DEP_1) | instskip(SKIP_1) | instid1(VALU_DEP_2)
	v_fma_f64 v[16:17], v[10:11], v[16:17], 1.0
	v_add_f64_e32 v[8:9], 0x3fe5a84e9035a22a, v[8:9]
	v_fma_f64 v[10:11], v[10:11], v[16:17], 1.0
	s_delay_alu instid0(VALU_DEP_2) | instskip(NEXT) | instid1(VALU_DEP_2)
	v_add_f64_e64 v[8:9], v[8:9], -v[12:13]
	v_ldexp_f64 v[10:11], v[10:11], v15
	s_delay_alu instid0(VALU_DEP_2) | instskip(NEXT) | instid1(VALU_DEP_1)
	v_mul_f64_e32 v[8:9], 0.5, v[8:9]
	v_mul_f64_e32 v[8:9], v[10:11], v[8:9]
                                        ; implicit-def: $vgpr10_vgpr11
.LBB1_6:
	s_and_not1_saveexec_b32 s2, s2
	s_cbranch_execz .LBB1_8
; %bb.7:
	v_and_b32_e32 v9, 0x7fffffff, v11
	v_mov_b32_e32 v8, v10
	v_cmp_gt_f64_e64 s3, 0x10000000, |v[10:11]|
	s_mov_b64 s[4:5], 0xbc60adb754ca8b19
	v_div_scale_f64 v[12:13], null, v[8:9], v[8:9], 0x40400000
	v_div_scale_f64 v[8:9], vcc_lo, 0x40400000, v[8:9], 0x40400000
	v_cndmask_b32_e64 v15, 0, 0x100, s3
	s_delay_alu instid0(VALU_DEP_3) | instskip(SKIP_1) | instid1(TRANS32_DEP_1)
	v_rcp_f64_e32 v[16:17], v[12:13]
	v_nop
	v_fma_f64 v[18:19], -v[12:13], v[16:17], 1.0
	s_delay_alu instid0(VALU_DEP_1) | instskip(NEXT) | instid1(VALU_DEP_1)
	v_fmac_f64_e32 v[16:17], v[16:17], v[18:19]
	v_fma_f64 v[18:19], -v[12:13], v[16:17], 1.0
	s_delay_alu instid0(VALU_DEP_1) | instskip(NEXT) | instid1(VALU_DEP_1)
	v_fmac_f64_e32 v[16:17], v[16:17], v[18:19]
	v_mul_f64_e32 v[18:19], v[8:9], v[16:17]
	s_delay_alu instid0(VALU_DEP_1) | instskip(NEXT) | instid1(VALU_DEP_1)
	v_fma_f64 v[8:9], -v[12:13], v[18:19], v[8:9]
	v_div_fmas_f64 v[8:9], v[8:9], v[16:17], v[18:19]
	v_ldexp_f64 v[18:19], |v[10:11]|, v15
	v_cmp_nlt_f64_e64 vcc_lo, 0x40900000, |v[10:11]|
	s_delay_alu instid0(VALU_DEP_3) | instskip(NEXT) | instid1(VALU_DEP_3)
	v_div_fixup_f64 v[8:9], v[8:9], |v[10:11]|, 0x40400000
	v_rsq_f64_e32 v[22:23], v[18:19]
	s_delay_alu instid0(VALU_DEP_1) | instskip(NEXT) | instid1(TRANS32_DEP_1)
	v_add_f64_e32 v[8:9], -2.0, v[8:9]
	v_mul_f64_e32 v[24:25], v[18:19], v[22:23]
	v_mul_f64_e32 v[22:23], 0.5, v[22:23]
	s_delay_alu instid0(VALU_DEP_3) | instskip(SKIP_1) | instid1(SALU_CYCLE_1)
	v_fmaak_f64 v[12:13], s[4:5], v[8:9], 0xbc5646da66119130
	s_mov_b64 s[4:5], 0x3ff71547652b82fe
	v_mul_f64_e64 v[20:21], |v[10:11]|, s[4:5]
	s_mov_b64 s[4:5], 0xbfe62e42fefa39ef
	s_delay_alu instid0(VALU_DEP_2) | instskip(NEXT) | instid1(VALU_DEP_4)
	v_fmaak_f64 v[16:17], v[8:9], v[12:13], 0x3c60adb754ca8b19
	v_fma_f64 v[28:29], -v[22:23], v[24:25], 0.5
	s_delay_alu instid0(VALU_DEP_2) | instskip(NEXT) | instid1(VALU_DEP_4)
	v_add_f64_e32 v[16:17], 0x3c89be1812d98421, v[16:17]
	v_rndne_f64_e32 v[20:21], v[20:21]
	s_delay_alu instid0(VALU_DEP_3) | instskip(SKIP_1) | instid1(VALU_DEP_4)
	v_fmac_f64_e32 v[24:25], v[24:25], v[28:29]
	v_fmac_f64_e32 v[22:23], v[22:23], v[28:29]
	v_fma_f64 v[12:13], v[8:9], v[16:17], -v[12:13]
	s_delay_alu instid0(VALU_DEP_4) | instskip(SKIP_3) | instid1(VALU_DEP_4)
	v_fma_f64 v[26:27], v[20:21], s[4:5], |v[10:11]|
	s_mov_b64 s[4:5], 0x3e5ade156a5dcb37
	v_cvt_i32_f64_e32 v15, v[20:21]
	v_fma_f64 v[28:29], -v[24:25], v[24:25], v[18:19]
	v_add_f64_e32 v[12:13], 0x3c83f3dd076041cd, v[12:13]
	s_delay_alu instid0(VALU_DEP_4) | instskip(NEXT) | instid1(VALU_DEP_3)
	v_fmamk_f64 v[26:27], v[20:21], 0xbc7abc9e3b39803f, v[26:27]
	v_fmac_f64_e32 v[24:25], v[28:29], v[22:23]
	s_delay_alu instid0(VALU_DEP_2) | instskip(NEXT) | instid1(VALU_DEP_4)
	v_fmaak_f64 v[30:31], s[4:5], v[26:27], 0x3e928af3fca7ab0c
	v_fma_f64 v[16:17], v[8:9], v[12:13], -v[16:17]
	s_delay_alu instid0(VALU_DEP_2) | instskip(NEXT) | instid1(VALU_DEP_1)
	v_fmaak_f64 v[30:31], v[26:27], v[30:31], 0x3ec71dee623fde64
	v_fmaak_f64 v[30:31], v[26:27], v[30:31], 0x3efa01997c89e6b0
	s_delay_alu instid0(VALU_DEP_1) | instskip(NEXT) | instid1(VALU_DEP_1)
	v_fmaak_f64 v[30:31], v[26:27], v[30:31], 0x3f2a01a014761f6e
	v_fmaak_f64 v[30:31], v[26:27], v[30:31], 0x3f56c16c1852b7b0
	v_fma_f64 v[20:21], -v[24:25], v[24:25], v[18:19]
	s_delay_alu instid0(VALU_DEP_2) | instskip(SKIP_1) | instid1(VALU_DEP_3)
	v_fmaak_f64 v[30:31], v[26:27], v[30:31], 0x3f81111111122322
	v_add_f64_e32 v[16:17], 0xbcb4600babd21fe4, v[16:17]
	v_fmac_f64_e32 v[24:25], v[20:21], v[22:23]
	s_delay_alu instid0(VALU_DEP_2) | instskip(NEXT) | instid1(VALU_DEP_1)
	v_fma_f64 v[12:13], v[8:9], v[16:17], -v[12:13]
	v_add_f64_e32 v[12:13], 0xbcb8aee7d908de38, v[12:13]
	s_delay_alu instid0(VALU_DEP_1) | instskip(NEXT) | instid1(VALU_DEP_1)
	v_fma_f64 v[16:17], v[8:9], v[12:13], -v[16:17]
	v_add_f64_e32 v[16:17], 0x3cdfee7da3eafb1f, v[16:17]
	s_delay_alu instid0(VALU_DEP_1) | instskip(NEXT) | instid1(VALU_DEP_1)
	;; [unrolled: 3-line block ×18, first 2 shown]
	v_fma_f64 v[12:13], v[8:9], v[16:17], -v[12:13]
	v_add_f64_e32 v[12:13], 0x3f6b998ca2e59049, v[12:13]
	s_delay_alu instid0(VALU_DEP_1) | instskip(SKIP_1) | instid1(VALU_DEP_1)
	v_fma_f64 v[8:9], v[8:9], v[12:13], -v[16:17]
	v_fmaak_f64 v[12:13], v[26:27], v[30:31], 0x3fa55555555502a1
	v_fmaak_f64 v[12:13], v[26:27], v[12:13], 0x3fc5555555555511
	s_delay_alu instid0(VALU_DEP_1) | instskip(NEXT) | instid1(VALU_DEP_1)
	v_fmaak_f64 v[12:13], v[26:27], v[12:13], 0x3fe000000000000b
	v_fma_f64 v[12:13], v[26:27], v[12:13], 1.0
	v_add_f64_e32 v[8:9], 0x3fe9be62aca809cb, v[8:9]
	s_delay_alu instid0(VALU_DEP_2) | instskip(NEXT) | instid1(VALU_DEP_2)
	v_fma_f64 v[12:13], v[26:27], v[12:13], 1.0
	v_add_f64_e64 v[8:9], v[8:9], -v[16:17]
	s_delay_alu instid0(VALU_DEP_2) | instskip(SKIP_1) | instid1(VALU_DEP_2)
	v_ldexp_f64 v[12:13], v[12:13], v15
	v_cndmask_b32_e64 v15, 0, 0xffffff80, s3
	v_cndmask_b32_e32 v11, 0x7ff00000, v13, vcc_lo
	s_delay_alu instid0(VALU_DEP_3) | instskip(NEXT) | instid1(VALU_DEP_3)
	v_cndmask_b32_e32 v10, 0, v12, vcc_lo
	v_ldexp_f64 v[12:13], v[24:25], v15
	v_cmp_class_f64_e64 vcc_lo, v[18:19], 0x260
	v_mul_f64_e32 v[8:9], 0.5, v[8:9]
	s_delay_alu instid0(VALU_DEP_1) | instskip(NEXT) | instid1(VALU_DEP_4)
	v_dual_mul_f64 v[8:9], v[10:11], v[8:9] :: v_dual_cndmask_b32 v11, v13, v19, vcc_lo
	v_cndmask_b32_e32 v10, v12, v18, vcc_lo
	s_delay_alu instid0(VALU_DEP_1) | instskip(NEXT) | instid1(VALU_DEP_1)
	v_div_scale_f64 v[12:13], null, v[10:11], v[10:11], v[8:9]
	v_rcp_f64_e32 v[16:17], v[12:13]
	v_nop
	s_delay_alu instid0(TRANS32_DEP_1) | instskip(NEXT) | instid1(VALU_DEP_1)
	v_fma_f64 v[18:19], -v[12:13], v[16:17], 1.0
	v_fmac_f64_e32 v[16:17], v[16:17], v[18:19]
	s_delay_alu instid0(VALU_DEP_1) | instskip(NEXT) | instid1(VALU_DEP_1)
	v_fma_f64 v[18:19], -v[12:13], v[16:17], 1.0
	v_fmac_f64_e32 v[16:17], v[16:17], v[18:19]
	v_div_scale_f64 v[18:19], vcc_lo, v[8:9], v[10:11], v[8:9]
	s_delay_alu instid0(VALU_DEP_1) | instskip(NEXT) | instid1(VALU_DEP_1)
	v_mul_f64_e32 v[20:21], v[18:19], v[16:17]
	v_fma_f64 v[12:13], -v[12:13], v[20:21], v[18:19]
	s_delay_alu instid0(VALU_DEP_1) | instskip(NEXT) | instid1(VALU_DEP_1)
	v_div_fmas_f64 v[12:13], v[12:13], v[16:17], v[20:21]
	v_div_fixup_f64 v[8:9], v[12:13], v[10:11], v[8:9]
.LBB1_8:
	s_or_b32 exec_lo, exec_lo, s2
	s_wait_loadcnt_dscnt 0x0
	v_cmp_ge_f64_e64 s2, 0x40200000, |v[2:3]|
                                        ; implicit-def: $vgpr10_vgpr11
	s_and_saveexec_b32 s3, s2
	s_delay_alu instid0(SALU_CYCLE_1)
	s_xor_b32 s2, exec_lo, s3
	s_cbranch_execz .LBB1_10
; %bb.9:
	v_fma_f64 v[10:11], |v[2:3]|, 0.5, -2.0
	s_mov_b64 s[4:5], 0xbc545cb72134d0ef
	s_delay_alu instid0(VALU_DEP_1) | instid1(SALU_CYCLE_1)
	v_fmaak_f64 v[12:13], s[4:5], v[10:11], 0x3c833362977da589
	s_mov_b64 s[4:5], 0x3ff71547652b82fe
	s_delay_alu instid0(SALU_CYCLE_1) | instskip(SKIP_1) | instid1(VALU_DEP_2)
	v_mul_f64_e64 v[18:19], |v[2:3]|, s[4:5]
	s_mov_b64 s[4:5], 0xbfe62e42fefa39ef
	v_fmaak_f64 v[16:17], v[10:11], v[12:13], 0x3c545cb72134d0ef
	s_delay_alu instid0(VALU_DEP_1) | instskip(NEXT) | instid1(VALU_DEP_3)
	v_add_f64_e32 v[16:17], 0xbcb184eb721ebbb4, v[16:17]
	v_rndne_f64_e32 v[18:19], v[18:19]
	s_delay_alu instid0(VALU_DEP_2) | instskip(NEXT) | instid1(VALU_DEP_2)
	v_fma_f64 v[12:13], v[10:11], v[16:17], -v[12:13]
	v_fma_f64 v[20:21], v[18:19], s[4:5], |v[2:3]|
	s_mov_b64 s[4:5], 0x3e5ade156a5dcb37
	v_cvt_i32_f64_e32 v15, v[18:19]
	s_delay_alu instid0(VALU_DEP_3) | instskip(NEXT) | instid1(VALU_DEP_3)
	v_add_f64_e32 v[12:13], 0x3cdee6d893f65eba, v[12:13]
	v_fmamk_f64 v[20:21], v[18:19], 0xbc7abc9e3b39803f, v[20:21]
	s_delay_alu instid0(VALU_DEP_1) | instskip(NEXT) | instid1(VALU_DEP_3)
	v_fmaak_f64 v[22:23], s[4:5], v[20:21], 0x3e928af3fca7ab0c
	v_fma_f64 v[16:17], v[10:11], v[12:13], -v[16:17]
	s_delay_alu instid0(VALU_DEP_2) | instskip(NEXT) | instid1(VALU_DEP_1)
	v_fmaak_f64 v[22:23], v[20:21], v[22:23], 0x3ec71dee623fde64
	v_fmaak_f64 v[22:23], v[20:21], v[22:23], 0x3efa01997c89e6b0
	s_delay_alu instid0(VALU_DEP_1) | instskip(NEXT) | instid1(VALU_DEP_1)
	v_fmaak_f64 v[22:23], v[20:21], v[22:23], 0x3f2a01a014761f6e
	v_fmaak_f64 v[22:23], v[20:21], v[22:23], 0x3f56c16c1852b7b0
	v_add_f64_e32 v[16:17], 0xbd0a5022c297fbeb, v[16:17]
	s_delay_alu instid0(VALU_DEP_1) | instskip(NEXT) | instid1(VALU_DEP_1)
	v_fma_f64 v[12:13], v[10:11], v[16:17], -v[12:13]
	v_add_f64_e32 v[12:13], 0x3d359b464b262627, v[12:13]
	s_delay_alu instid0(VALU_DEP_1) | instskip(NEXT) | instid1(VALU_DEP_1)
	v_fma_f64 v[16:17], v[10:11], v[12:13], -v[16:17]
	;; [unrolled: 3-line block ×24, first 2 shown]
	v_add_f64_e32 v[16:17], 0xbfd37febc057cd8d, v[16:17]
	s_delay_alu instid0(VALU_DEP_1) | instskip(SKIP_1) | instid1(VALU_DEP_1)
	v_fma_f64 v[10:11], v[10:11], v[16:17], -v[12:13]
	v_fmaak_f64 v[16:17], v[20:21], v[22:23], 0x3f81111111122322
	v_fmaak_f64 v[16:17], v[20:21], v[16:17], 0x3fa55555555502a1
	s_delay_alu instid0(VALU_DEP_1) | instskip(NEXT) | instid1(VALU_DEP_1)
	v_fmaak_f64 v[16:17], v[20:21], v[16:17], 0x3fc5555555555511
	v_fmaak_f64 v[16:17], v[20:21], v[16:17], 0x3fe000000000000b
	s_delay_alu instid0(VALU_DEP_1) | instskip(SKIP_1) | instid1(VALU_DEP_2)
	v_fma_f64 v[16:17], v[20:21], v[16:17], 1.0
	v_add_f64_e32 v[10:11], 0x3fe5a84e9035a22a, v[10:11]
	v_fma_f64 v[16:17], v[20:21], v[16:17], 1.0
	s_delay_alu instid0(VALU_DEP_2) | instskip(NEXT) | instid1(VALU_DEP_2)
	v_add_f64_e64 v[10:11], v[10:11], -v[12:13]
	v_ldexp_f64 v[12:13], v[16:17], v15
	s_delay_alu instid0(VALU_DEP_2) | instskip(NEXT) | instid1(VALU_DEP_1)
	v_mul_f64_e32 v[10:11], 0.5, v[10:11]
	v_mul_f64_e32 v[10:11], v[12:13], v[10:11]
.LBB1_10:
	s_and_not1_saveexec_b32 s2, s2
	s_cbranch_execz .LBB1_12
; %bb.11:
	v_and_b32_e32 v11, 0x7fffffff, v3
	v_mov_b32_e32 v10, v2
	s_mov_b64 s[4:5], 0xbc60adb754ca8b19
	v_cmp_gt_f64_e64 s3, 0x10000000, |v[2:3]|
	s_delay_alu instid0(VALU_DEP_2) | instskip(SKIP_1) | instid1(VALU_DEP_3)
	v_div_scale_f64 v[12:13], null, v[10:11], v[10:11], 0x40400000
	v_div_scale_f64 v[10:11], vcc_lo, 0x40400000, v[10:11], 0x40400000
	v_cndmask_b32_e64 v15, 0, 0x100, s3
	s_delay_alu instid0(VALU_DEP_3) | instskip(SKIP_1) | instid1(TRANS32_DEP_1)
	v_rcp_f64_e32 v[16:17], v[12:13]
	v_nop
	v_fma_f64 v[18:19], -v[12:13], v[16:17], 1.0
	s_delay_alu instid0(VALU_DEP_1) | instskip(NEXT) | instid1(VALU_DEP_1)
	v_fmac_f64_e32 v[16:17], v[16:17], v[18:19]
	v_fma_f64 v[18:19], -v[12:13], v[16:17], 1.0
	s_delay_alu instid0(VALU_DEP_1) | instskip(NEXT) | instid1(VALU_DEP_1)
	v_fmac_f64_e32 v[16:17], v[16:17], v[18:19]
	v_mul_f64_e32 v[18:19], v[10:11], v[16:17]
	s_delay_alu instid0(VALU_DEP_1) | instskip(NEXT) | instid1(VALU_DEP_1)
	v_fma_f64 v[10:11], -v[12:13], v[18:19], v[10:11]
	v_div_fmas_f64 v[10:11], v[10:11], v[16:17], v[18:19]
	v_ldexp_f64 v[18:19], |v[2:3]|, v15
	v_cmp_nlt_f64_e64 vcc_lo, 0x40900000, |v[2:3]|
	s_delay_alu instid0(VALU_DEP_3) | instskip(NEXT) | instid1(VALU_DEP_3)
	v_div_fixup_f64 v[10:11], v[10:11], |v[2:3]|, 0x40400000
	v_rsq_f64_e32 v[22:23], v[18:19]
	s_delay_alu instid0(VALU_DEP_1) | instskip(NEXT) | instid1(VALU_DEP_1)
	v_add_f64_e32 v[10:11], -2.0, v[10:11]
	v_fmaak_f64 v[12:13], s[4:5], v[10:11], 0xbc5646da66119130
	s_mov_b64 s[4:5], 0x3ff71547652b82fe
	s_delay_alu instid0(SALU_CYCLE_1) | instskip(SKIP_1) | instid1(VALU_DEP_2)
	v_mul_f64_e64 v[20:21], |v[2:3]|, s[4:5]
	s_mov_b64 s[4:5], 0xbfe62e42fefa39ef
	v_fmaak_f64 v[16:17], v[10:11], v[12:13], 0x3c60adb754ca8b19
	s_delay_alu instid0(VALU_DEP_1) | instskip(NEXT) | instid1(VALU_DEP_3)
	v_add_f64_e32 v[16:17], 0x3c89be1812d98421, v[16:17]
	v_rndne_f64_e32 v[20:21], v[20:21]
	s_delay_alu instid0(VALU_DEP_2) | instskip(NEXT) | instid1(VALU_DEP_2)
	v_fma_f64 v[12:13], v[10:11], v[16:17], -v[12:13]
	v_fma_f64 v[26:27], v[20:21], s[4:5], |v[2:3]|
	s_mov_b64 s[4:5], 0x3e5ade156a5dcb37
	v_cvt_i32_f64_e32 v15, v[20:21]
	s_delay_alu instid0(VALU_DEP_3) | instskip(NEXT) | instid1(VALU_DEP_3)
	v_add_f64_e32 v[12:13], 0x3c83f3dd076041cd, v[12:13]
	v_fmamk_f64 v[26:27], v[20:21], 0xbc7abc9e3b39803f, v[26:27]
	s_delay_alu instid0(VALU_DEP_1) | instskip(NEXT) | instid1(VALU_DEP_3)
	v_fmaak_f64 v[30:31], s[4:5], v[26:27], 0x3e928af3fca7ab0c
	v_fma_f64 v[16:17], v[10:11], v[12:13], -v[16:17]
	s_delay_alu instid0(VALU_DEP_2) | instskip(NEXT) | instid1(VALU_DEP_1)
	v_fmaak_f64 v[30:31], v[26:27], v[30:31], 0x3ec71dee623fde64
	v_fmaak_f64 v[30:31], v[26:27], v[30:31], 0x3efa01997c89e6b0
	s_delay_alu instid0(VALU_DEP_1) | instskip(NEXT) | instid1(VALU_DEP_1)
	v_fmaak_f64 v[30:31], v[26:27], v[30:31], 0x3f2a01a014761f6e
	v_fmaak_f64 v[30:31], v[26:27], v[30:31], 0x3f56c16c1852b7b0
	s_delay_alu instid0(VALU_DEP_1) | instskip(SKIP_1) | instid1(VALU_DEP_1)
	v_fmaak_f64 v[30:31], v[26:27], v[30:31], 0x3f81111111122322
	v_add_f64_e32 v[16:17], 0xbcb4600babd21fe4, v[16:17]
	v_fma_f64 v[12:13], v[10:11], v[16:17], -v[12:13]
	s_delay_alu instid0(VALU_DEP_1) | instskip(NEXT) | instid1(VALU_DEP_1)
	v_add_f64_e32 v[12:13], 0xbcb8aee7d908de38, v[12:13]
	v_fma_f64 v[16:17], v[10:11], v[12:13], -v[16:17]
	s_delay_alu instid0(VALU_DEP_1) | instskip(NEXT) | instid1(VALU_DEP_1)
	;; [unrolled: 3-line block ×19, first 2 shown]
	v_add_f64_e32 v[12:13], 0x3f6b998ca2e59049, v[12:13]
	v_fma_f64 v[10:11], v[10:11], v[12:13], -v[16:17]
	v_fmaak_f64 v[12:13], v[26:27], v[30:31], 0x3fa55555555502a1
	s_delay_alu instid0(VALU_DEP_1) | instskip(NEXT) | instid1(VALU_DEP_1)
	v_fmaak_f64 v[12:13], v[26:27], v[12:13], 0x3fc5555555555511
	v_fmaak_f64 v[12:13], v[26:27], v[12:13], 0x3fe000000000000b
	s_delay_alu instid0(VALU_DEP_1) | instskip(SKIP_1) | instid1(VALU_DEP_2)
	v_fma_f64 v[12:13], v[26:27], v[12:13], 1.0
	v_add_f64_e32 v[10:11], 0x3fe9be62aca809cb, v[10:11]
	v_fma_f64 v[12:13], v[26:27], v[12:13], 1.0
	s_delay_alu instid0(VALU_DEP_2) | instskip(NEXT) | instid1(VALU_DEP_2)
	v_add_f64_e64 v[10:11], v[10:11], -v[16:17]
	v_ldexp_f64 v[12:13], v[12:13], v15
	v_mul_f64_e32 v[24:25], v[18:19], v[22:23]
	v_mul_f64_e32 v[22:23], 0.5, v[22:23]
	v_cndmask_b32_e64 v15, 0, 0xffffff80, s3
	s_delay_alu instid0(VALU_DEP_4) | instskip(SKIP_1) | instid1(VALU_DEP_4)
	v_dual_mul_f64 v[2:3], 0.5, v[10:11] :: v_dual_cndmask_b32 v10, 0, v12, vcc_lo
	v_cndmask_b32_e32 v11, 0x7ff00000, v13, vcc_lo
	v_fma_f64 v[28:29], -v[22:23], v[24:25], 0.5
	v_cmp_class_f64_e64 vcc_lo, v[18:19], 0x260
	s_delay_alu instid0(VALU_DEP_3) | instskip(NEXT) | instid1(VALU_DEP_3)
	v_mul_f64_e32 v[2:3], v[10:11], v[2:3]
	v_fmac_f64_e32 v[24:25], v[24:25], v[28:29]
	v_fmac_f64_e32 v[22:23], v[22:23], v[28:29]
	s_delay_alu instid0(VALU_DEP_2) | instskip(NEXT) | instid1(VALU_DEP_1)
	v_fma_f64 v[28:29], -v[24:25], v[24:25], v[18:19]
	v_fmac_f64_e32 v[24:25], v[28:29], v[22:23]
	s_delay_alu instid0(VALU_DEP_1) | instskip(NEXT) | instid1(VALU_DEP_1)
	v_fma_f64 v[20:21], -v[24:25], v[24:25], v[18:19]
	v_fmac_f64_e32 v[24:25], v[20:21], v[22:23]
	s_delay_alu instid0(VALU_DEP_1) | instskip(NEXT) | instid1(VALU_DEP_1)
	v_ldexp_f64 v[12:13], v[24:25], v15
	v_dual_cndmask_b32 v11, v13, v19 :: v_dual_cndmask_b32 v10, v12, v18
	s_delay_alu instid0(VALU_DEP_1) | instskip(NEXT) | instid1(VALU_DEP_1)
	v_div_scale_f64 v[12:13], null, v[10:11], v[10:11], v[2:3]
	v_rcp_f64_e32 v[16:17], v[12:13]
	v_nop
	s_delay_alu instid0(TRANS32_DEP_1) | instskip(NEXT) | instid1(VALU_DEP_1)
	v_fma_f64 v[18:19], -v[12:13], v[16:17], 1.0
	v_fmac_f64_e32 v[16:17], v[16:17], v[18:19]
	s_delay_alu instid0(VALU_DEP_1) | instskip(NEXT) | instid1(VALU_DEP_1)
	v_fma_f64 v[18:19], -v[12:13], v[16:17], 1.0
	v_fmac_f64_e32 v[16:17], v[16:17], v[18:19]
	v_div_scale_f64 v[18:19], vcc_lo, v[2:3], v[10:11], v[2:3]
	s_delay_alu instid0(VALU_DEP_1) | instskip(NEXT) | instid1(VALU_DEP_1)
	v_mul_f64_e32 v[20:21], v[18:19], v[16:17]
	v_fma_f64 v[12:13], -v[12:13], v[20:21], v[18:19]
	s_delay_alu instid0(VALU_DEP_1) | instskip(NEXT) | instid1(VALU_DEP_1)
	v_div_fmas_f64 v[12:13], v[12:13], v[16:17], v[20:21]
	v_div_fixup_f64 v[10:11], v[12:13], v[10:11], v[2:3]
.LBB1_12:
	s_or_b32 exec_lo, exec_lo, s2
	v_cmp_ge_f64_e64 s2, 0x40200000, |v[4:5]|
	s_and_saveexec_b32 s3, s2
	s_delay_alu instid0(SALU_CYCLE_1)
	s_xor_b32 s2, exec_lo, s3
	s_cbranch_execz .LBB1_14
; %bb.13:
	v_fma_f64 v[2:3], |v[4:5]|, 0.5, -2.0
	s_mov_b64 s[4:5], 0xbc545cb72134d0ef
	s_delay_alu instid0(VALU_DEP_1) | instid1(SALU_CYCLE_1)
	v_fmaak_f64 v[12:13], s[4:5], v[2:3], 0x3c833362977da589
	s_mov_b64 s[4:5], 0x3ff71547652b82fe
	s_delay_alu instid0(SALU_CYCLE_1) | instskip(SKIP_1) | instid1(VALU_DEP_2)
	v_mul_f64_e64 v[18:19], |v[4:5]|, s[4:5]
	s_mov_b64 s[4:5], 0xbfe62e42fefa39ef
	v_fmaak_f64 v[16:17], v[2:3], v[12:13], 0x3c545cb72134d0ef
	s_delay_alu instid0(VALU_DEP_1) | instskip(NEXT) | instid1(VALU_DEP_3)
	v_add_f64_e32 v[16:17], 0xbcb184eb721ebbb4, v[16:17]
	v_rndne_f64_e32 v[18:19], v[18:19]
	s_delay_alu instid0(VALU_DEP_2) | instskip(NEXT) | instid1(VALU_DEP_2)
	v_fma_f64 v[12:13], v[2:3], v[16:17], -v[12:13]
	v_fma_f64 v[4:5], v[18:19], s[4:5], |v[4:5]|
	s_mov_b64 s[4:5], 0x3e5ade156a5dcb37
	v_cvt_i32_f64_e32 v15, v[18:19]
	s_delay_alu instid0(VALU_DEP_3) | instskip(NEXT) | instid1(VALU_DEP_3)
	v_add_f64_e32 v[12:13], 0x3cdee6d893f65eba, v[12:13]
	v_fmamk_f64 v[4:5], v[18:19], 0xbc7abc9e3b39803f, v[4:5]
	s_delay_alu instid0(VALU_DEP_1) | instskip(NEXT) | instid1(VALU_DEP_3)
	v_fmaak_f64 v[20:21], s[4:5], v[4:5], 0x3e928af3fca7ab0c
	v_fma_f64 v[16:17], v[2:3], v[12:13], -v[16:17]
	s_delay_alu instid0(VALU_DEP_2) | instskip(NEXT) | instid1(VALU_DEP_1)
	v_fmaak_f64 v[20:21], v[4:5], v[20:21], 0x3ec71dee623fde64
	v_fmaak_f64 v[20:21], v[4:5], v[20:21], 0x3efa01997c89e6b0
	s_delay_alu instid0(VALU_DEP_1) | instskip(NEXT) | instid1(VALU_DEP_1)
	v_fmaak_f64 v[20:21], v[4:5], v[20:21], 0x3f2a01a014761f6e
	v_fmaak_f64 v[20:21], v[4:5], v[20:21], 0x3f56c16c1852b7b0
	v_add_f64_e32 v[16:17], 0xbd0a5022c297fbeb, v[16:17]
	s_delay_alu instid0(VALU_DEP_1) | instskip(NEXT) | instid1(VALU_DEP_1)
	v_fma_f64 v[12:13], v[2:3], v[16:17], -v[12:13]
	v_add_f64_e32 v[12:13], 0x3d359b464b262627, v[12:13]
	s_delay_alu instid0(VALU_DEP_1) | instskip(NEXT) | instid1(VALU_DEP_1)
	v_fma_f64 v[16:17], v[2:3], v[12:13], -v[16:17]
	;; [unrolled: 3-line block ×24, first 2 shown]
	v_add_f64_e32 v[16:17], 0xbfd37febc057cd8d, v[16:17]
	s_delay_alu instid0(VALU_DEP_1) | instskip(SKIP_1) | instid1(VALU_DEP_1)
	v_fma_f64 v[2:3], v[2:3], v[16:17], -v[12:13]
	v_fmaak_f64 v[16:17], v[4:5], v[20:21], 0x3f81111111122322
	v_fmaak_f64 v[16:17], v[4:5], v[16:17], 0x3fa55555555502a1
	s_delay_alu instid0(VALU_DEP_1) | instskip(NEXT) | instid1(VALU_DEP_1)
	v_fmaak_f64 v[16:17], v[4:5], v[16:17], 0x3fc5555555555511
	v_fmaak_f64 v[16:17], v[4:5], v[16:17], 0x3fe000000000000b
	s_delay_alu instid0(VALU_DEP_1) | instskip(SKIP_1) | instid1(VALU_DEP_2)
	v_fma_f64 v[16:17], v[4:5], v[16:17], 1.0
	v_add_f64_e32 v[2:3], 0x3fe5a84e9035a22a, v[2:3]
	v_fma_f64 v[4:5], v[4:5], v[16:17], 1.0
	s_delay_alu instid0(VALU_DEP_2) | instskip(NEXT) | instid1(VALU_DEP_2)
	v_add_f64_e64 v[2:3], v[2:3], -v[12:13]
	v_ldexp_f64 v[4:5], v[4:5], v15
	s_delay_alu instid0(VALU_DEP_2) | instskip(NEXT) | instid1(VALU_DEP_1)
	v_mul_f64_e32 v[2:3], 0.5, v[2:3]
	v_mul_f64_e32 v[12:13], v[4:5], v[2:3]
                                        ; implicit-def: $vgpr4_vgpr5
.LBB1_14:
	s_and_not1_saveexec_b32 s2, s2
	s_cbranch_execz .LBB1_16
; %bb.15:
	v_and_b32_e32 v3, 0x7fffffff, v5
	v_mov_b32_e32 v2, v4
	s_mov_b64 s[4:5], 0xbc60adb754ca8b19
	v_cmp_gt_f64_e64 s3, 0x10000000, |v[4:5]|
	s_delay_alu instid0(VALU_DEP_2) | instskip(SKIP_1) | instid1(VALU_DEP_3)
	v_div_scale_f64 v[12:13], null, v[2:3], v[2:3], 0x40400000
	v_div_scale_f64 v[2:3], vcc_lo, 0x40400000, v[2:3], 0x40400000
	v_cndmask_b32_e64 v15, 0, 0x100, s3
	s_delay_alu instid0(VALU_DEP_3) | instskip(SKIP_1) | instid1(TRANS32_DEP_1)
	v_rcp_f64_e32 v[16:17], v[12:13]
	v_nop
	v_fma_f64 v[18:19], -v[12:13], v[16:17], 1.0
	s_delay_alu instid0(VALU_DEP_1) | instskip(NEXT) | instid1(VALU_DEP_1)
	v_fmac_f64_e32 v[16:17], v[16:17], v[18:19]
	v_fma_f64 v[18:19], -v[12:13], v[16:17], 1.0
	s_delay_alu instid0(VALU_DEP_1) | instskip(NEXT) | instid1(VALU_DEP_1)
	v_fmac_f64_e32 v[16:17], v[16:17], v[18:19]
	v_mul_f64_e32 v[18:19], v[2:3], v[16:17]
	s_delay_alu instid0(VALU_DEP_1) | instskip(NEXT) | instid1(VALU_DEP_1)
	v_fma_f64 v[2:3], -v[12:13], v[18:19], v[2:3]
	v_div_fmas_f64 v[2:3], v[2:3], v[16:17], v[18:19]
	v_ldexp_f64 v[18:19], |v[4:5]|, v15
	v_cmp_nlt_f64_e64 vcc_lo, 0x40900000, |v[4:5]|
	s_delay_alu instid0(VALU_DEP_3) | instskip(NEXT) | instid1(VALU_DEP_3)
	v_div_fixup_f64 v[2:3], v[2:3], |v[4:5]|, 0x40400000
	v_rsq_f64_e32 v[22:23], v[18:19]
	s_delay_alu instid0(VALU_DEP_1) | instskip(NEXT) | instid1(TRANS32_DEP_1)
	v_add_f64_e32 v[2:3], -2.0, v[2:3]
	v_mul_f64_e32 v[24:25], v[18:19], v[22:23]
	v_mul_f64_e32 v[22:23], 0.5, v[22:23]
	s_delay_alu instid0(VALU_DEP_3) | instskip(SKIP_1) | instid1(SALU_CYCLE_1)
	v_fmaak_f64 v[12:13], s[4:5], v[2:3], 0xbc5646da66119130
	s_mov_b64 s[4:5], 0x3ff71547652b82fe
	v_mul_f64_e64 v[20:21], |v[4:5]|, s[4:5]
	s_mov_b64 s[4:5], 0xbfe62e42fefa39ef
	s_delay_alu instid0(VALU_DEP_2) | instskip(NEXT) | instid1(VALU_DEP_4)
	v_fmaak_f64 v[16:17], v[2:3], v[12:13], 0x3c60adb754ca8b19
	v_fma_f64 v[28:29], -v[22:23], v[24:25], 0.5
	s_delay_alu instid0(VALU_DEP_2) | instskip(NEXT) | instid1(VALU_DEP_4)
	v_add_f64_e32 v[16:17], 0x3c89be1812d98421, v[16:17]
	v_rndne_f64_e32 v[20:21], v[20:21]
	s_delay_alu instid0(VALU_DEP_3) | instskip(SKIP_1) | instid1(VALU_DEP_4)
	v_fmac_f64_e32 v[24:25], v[24:25], v[28:29]
	v_fmac_f64_e32 v[22:23], v[22:23], v[28:29]
	v_fma_f64 v[12:13], v[2:3], v[16:17], -v[12:13]
	s_delay_alu instid0(VALU_DEP_4) | instskip(SKIP_3) | instid1(VALU_DEP_4)
	v_fma_f64 v[26:27], v[20:21], s[4:5], |v[4:5]|
	s_mov_b64 s[4:5], 0x3e5ade156a5dcb37
	v_cvt_i32_f64_e32 v15, v[20:21]
	v_fma_f64 v[28:29], -v[24:25], v[24:25], v[18:19]
	v_add_f64_e32 v[12:13], 0x3c83f3dd076041cd, v[12:13]
	s_delay_alu instid0(VALU_DEP_4) | instskip(NEXT) | instid1(VALU_DEP_3)
	v_fmamk_f64 v[26:27], v[20:21], 0xbc7abc9e3b39803f, v[26:27]
	v_fmac_f64_e32 v[24:25], v[28:29], v[22:23]
	s_delay_alu instid0(VALU_DEP_2) | instskip(NEXT) | instid1(VALU_DEP_4)
	v_fmaak_f64 v[30:31], s[4:5], v[26:27], 0x3e928af3fca7ab0c
	v_fma_f64 v[16:17], v[2:3], v[12:13], -v[16:17]
	s_delay_alu instid0(VALU_DEP_2) | instskip(NEXT) | instid1(VALU_DEP_1)
	v_fmaak_f64 v[30:31], v[26:27], v[30:31], 0x3ec71dee623fde64
	v_fmaak_f64 v[30:31], v[26:27], v[30:31], 0x3efa01997c89e6b0
	s_delay_alu instid0(VALU_DEP_1) | instskip(NEXT) | instid1(VALU_DEP_1)
	v_fmaak_f64 v[30:31], v[26:27], v[30:31], 0x3f2a01a014761f6e
	v_fmaak_f64 v[30:31], v[26:27], v[30:31], 0x3f56c16c1852b7b0
	v_fma_f64 v[20:21], -v[24:25], v[24:25], v[18:19]
	s_delay_alu instid0(VALU_DEP_2) | instskip(SKIP_1) | instid1(VALU_DEP_3)
	v_fmaak_f64 v[30:31], v[26:27], v[30:31], 0x3f81111111122322
	v_add_f64_e32 v[16:17], 0xbcb4600babd21fe4, v[16:17]
	v_fmac_f64_e32 v[24:25], v[20:21], v[22:23]
	s_delay_alu instid0(VALU_DEP_2) | instskip(NEXT) | instid1(VALU_DEP_1)
	v_fma_f64 v[12:13], v[2:3], v[16:17], -v[12:13]
	v_add_f64_e32 v[12:13], 0xbcb8aee7d908de38, v[12:13]
	s_delay_alu instid0(VALU_DEP_1) | instskip(NEXT) | instid1(VALU_DEP_1)
	v_fma_f64 v[16:17], v[2:3], v[12:13], -v[16:17]
	v_add_f64_e32 v[16:17], 0x3cdfee7da3eafb1f, v[16:17]
	s_delay_alu instid0(VALU_DEP_1) | instskip(NEXT) | instid1(VALU_DEP_1)
	;; [unrolled: 3-line block ×18, first 2 shown]
	v_fma_f64 v[12:13], v[2:3], v[16:17], -v[12:13]
	v_add_f64_e32 v[12:13], 0x3f6b998ca2e59049, v[12:13]
	s_delay_alu instid0(VALU_DEP_1) | instskip(SKIP_1) | instid1(VALU_DEP_1)
	v_fma_f64 v[2:3], v[2:3], v[12:13], -v[16:17]
	v_fmaak_f64 v[12:13], v[26:27], v[30:31], 0x3fa55555555502a1
	v_fmaak_f64 v[12:13], v[26:27], v[12:13], 0x3fc5555555555511
	s_delay_alu instid0(VALU_DEP_1) | instskip(NEXT) | instid1(VALU_DEP_1)
	v_fmaak_f64 v[12:13], v[26:27], v[12:13], 0x3fe000000000000b
	v_fma_f64 v[12:13], v[26:27], v[12:13], 1.0
	v_add_f64_e32 v[2:3], 0x3fe9be62aca809cb, v[2:3]
	s_delay_alu instid0(VALU_DEP_2) | instskip(NEXT) | instid1(VALU_DEP_2)
	v_fma_f64 v[12:13], v[26:27], v[12:13], 1.0
	v_add_f64_e64 v[2:3], v[2:3], -v[16:17]
	s_delay_alu instid0(VALU_DEP_2) | instskip(SKIP_1) | instid1(VALU_DEP_3)
	v_ldexp_f64 v[12:13], v[12:13], v15
	v_cndmask_b32_e64 v15, 0, 0xffffff80, s3
	v_mul_f64_e32 v[2:3], 0.5, v[2:3]
	s_delay_alu instid0(VALU_DEP_3) | instskip(NEXT) | instid1(VALU_DEP_4)
	v_cndmask_b32_e32 v5, 0x7ff00000, v13, vcc_lo
	v_cndmask_b32_e32 v4, 0, v12, vcc_lo
	s_delay_alu instid0(VALU_DEP_4) | instskip(SKIP_1) | instid1(VALU_DEP_3)
	v_ldexp_f64 v[12:13], v[24:25], v15
	v_cmp_class_f64_e64 vcc_lo, v[18:19], 0x260
	v_mul_f64_e32 v[2:3], v[4:5], v[2:3]
	s_delay_alu instid0(VALU_DEP_3) | instskip(NEXT) | instid1(VALU_DEP_1)
	v_dual_cndmask_b32 v5, v13, v19 :: v_dual_cndmask_b32 v4, v12, v18
	v_div_scale_f64 v[12:13], null, v[4:5], v[4:5], v[2:3]
	s_delay_alu instid0(VALU_DEP_1) | instskip(SKIP_1) | instid1(TRANS32_DEP_1)
	v_rcp_f64_e32 v[16:17], v[12:13]
	v_nop
	v_fma_f64 v[18:19], -v[12:13], v[16:17], 1.0
	s_delay_alu instid0(VALU_DEP_1) | instskip(NEXT) | instid1(VALU_DEP_1)
	v_fmac_f64_e32 v[16:17], v[16:17], v[18:19]
	v_fma_f64 v[18:19], -v[12:13], v[16:17], 1.0
	s_delay_alu instid0(VALU_DEP_1) | instskip(SKIP_1) | instid1(VALU_DEP_1)
	v_fmac_f64_e32 v[16:17], v[16:17], v[18:19]
	v_div_scale_f64 v[18:19], vcc_lo, v[2:3], v[4:5], v[2:3]
	v_mul_f64_e32 v[20:21], v[18:19], v[16:17]
	s_delay_alu instid0(VALU_DEP_1) | instskip(NEXT) | instid1(VALU_DEP_1)
	v_fma_f64 v[12:13], -v[12:13], v[20:21], v[18:19]
	v_div_fmas_f64 v[12:13], v[12:13], v[16:17], v[20:21]
	s_delay_alu instid0(VALU_DEP_1)
	v_div_fixup_f64 v[12:13], v[12:13], v[4:5], v[2:3]
.LBB1_16:
	s_or_b32 exec_lo, exec_lo, s2
	v_lshl_add_u64 v[0:1], s[0:1], 3, v[0:1]
	v_mov_b32_e32 v15, 0
	s_delay_alu instid0(VALU_DEP_1)
	v_add_nc_u64_e32 v[0:1], v[0:1], v[14:15]
	s_clause 0x1
	flat_store_b128 v[0:1], v[6:9]
	flat_store_b128 v[0:1], v[10:13] offset:16
	s_wait_dscnt 0x0
	s_set_pc_i64 s[30:31]
.Lfunc_end1:
	.size	_ZN2at6native25elementwise_kernel_helperILb0EZZZNS0_12_GLOBAL__N_130modified_bessel_i0_kernel_cudaERNS_18TensorIteratorBaseEENKUlvE_clEvENKUlvE_clEvEUldE_NS0_6memory8policies10vectorizedILi4ESt5arrayIPcLm2EELi4EEEEEvT0_T1_, .Lfunc_end1-_ZN2at6native25elementwise_kernel_helperILb0EZZZNS0_12_GLOBAL__N_130modified_bessel_i0_kernel_cudaERNS_18TensorIteratorBaseEENKUlvE_clEvENKUlvE_clEvEUldE_NS0_6memory8policies10vectorizedILi4ESt5arrayIPcLm2EELi4EEEEEvT0_T1_
                                        ; -- End function
	.set .L_ZN2at6native25elementwise_kernel_helperILb0EZZZNS0_12_GLOBAL__N_130modified_bessel_i0_kernel_cudaERNS_18TensorIteratorBaseEENKUlvE_clEvENKUlvE_clEvEUldE_NS0_6memory8policies10vectorizedILi4ESt5arrayIPcLm2EELi4EEEEEvT0_T1_.num_vgpr, 32
	.set .L_ZN2at6native25elementwise_kernel_helperILb0EZZZNS0_12_GLOBAL__N_130modified_bessel_i0_kernel_cudaERNS_18TensorIteratorBaseEENKUlvE_clEvENKUlvE_clEvEUldE_NS0_6memory8policies10vectorizedILi4ESt5arrayIPcLm2EELi4EEEEEvT0_T1_.num_agpr, 0
	.set .L_ZN2at6native25elementwise_kernel_helperILb0EZZZNS0_12_GLOBAL__N_130modified_bessel_i0_kernel_cudaERNS_18TensorIteratorBaseEENKUlvE_clEvENKUlvE_clEvEUldE_NS0_6memory8policies10vectorizedILi4ESt5arrayIPcLm2EELi4EEEEEvT0_T1_.numbered_sgpr, 32
	.set .L_ZN2at6native25elementwise_kernel_helperILb0EZZZNS0_12_GLOBAL__N_130modified_bessel_i0_kernel_cudaERNS_18TensorIteratorBaseEENKUlvE_clEvENKUlvE_clEvEUldE_NS0_6memory8policies10vectorizedILi4ESt5arrayIPcLm2EELi4EEEEEvT0_T1_.num_named_barrier, 0
	.set .L_ZN2at6native25elementwise_kernel_helperILb0EZZZNS0_12_GLOBAL__N_130modified_bessel_i0_kernel_cudaERNS_18TensorIteratorBaseEENKUlvE_clEvENKUlvE_clEvEUldE_NS0_6memory8policies10vectorizedILi4ESt5arrayIPcLm2EELi4EEEEEvT0_T1_.private_seg_size, 0
	.set .L_ZN2at6native25elementwise_kernel_helperILb0EZZZNS0_12_GLOBAL__N_130modified_bessel_i0_kernel_cudaERNS_18TensorIteratorBaseEENKUlvE_clEvENKUlvE_clEvEUldE_NS0_6memory8policies10vectorizedILi4ESt5arrayIPcLm2EELi4EEEEEvT0_T1_.uses_vcc, 1
	.set .L_ZN2at6native25elementwise_kernel_helperILb0EZZZNS0_12_GLOBAL__N_130modified_bessel_i0_kernel_cudaERNS_18TensorIteratorBaseEENKUlvE_clEvENKUlvE_clEvEUldE_NS0_6memory8policies10vectorizedILi4ESt5arrayIPcLm2EELi4EEEEEvT0_T1_.uses_flat_scratch, 1
	.set .L_ZN2at6native25elementwise_kernel_helperILb0EZZZNS0_12_GLOBAL__N_130modified_bessel_i0_kernel_cudaERNS_18TensorIteratorBaseEENKUlvE_clEvENKUlvE_clEvEUldE_NS0_6memory8policies10vectorizedILi4ESt5arrayIPcLm2EELi4EEEEEvT0_T1_.has_dyn_sized_stack, 0
	.set .L_ZN2at6native25elementwise_kernel_helperILb0EZZZNS0_12_GLOBAL__N_130modified_bessel_i0_kernel_cudaERNS_18TensorIteratorBaseEENKUlvE_clEvENKUlvE_clEvEUldE_NS0_6memory8policies10vectorizedILi4ESt5arrayIPcLm2EELi4EEEEEvT0_T1_.has_recursion, 0
	.set .L_ZN2at6native25elementwise_kernel_helperILb0EZZZNS0_12_GLOBAL__N_130modified_bessel_i0_kernel_cudaERNS_18TensorIteratorBaseEENKUlvE_clEvENKUlvE_clEvEUldE_NS0_6memory8policies10vectorizedILi4ESt5arrayIPcLm2EELi4EEEEEvT0_T1_.has_indirect_call, 0
	.section	.AMDGPU.csdata,"",@progbits
; Function info:
; codeLenInByte = 9108
; TotalNumSgprs: 34
; NumVgprs: 32
; ScratchSize: 0
; MemoryBound: 0
	.section	.text._ZN2at6native29vectorized_elementwise_kernelILi16EZZZNS0_12_GLOBAL__N_130modified_bessel_i0_kernel_cudaERNS_18TensorIteratorBaseEENKUlvE_clEvENKUlvE_clEvEUldE_St5arrayIPcLm2EEEEviT0_T1_,"axG",@progbits,_ZN2at6native29vectorized_elementwise_kernelILi16EZZZNS0_12_GLOBAL__N_130modified_bessel_i0_kernel_cudaERNS_18TensorIteratorBaseEENKUlvE_clEvENKUlvE_clEvEUldE_St5arrayIPcLm2EEEEviT0_T1_,comdat
	.globl	_ZN2at6native29vectorized_elementwise_kernelILi16EZZZNS0_12_GLOBAL__N_130modified_bessel_i0_kernel_cudaERNS_18TensorIteratorBaseEENKUlvE_clEvENKUlvE_clEvEUldE_St5arrayIPcLm2EEEEviT0_T1_ ; -- Begin function _ZN2at6native29vectorized_elementwise_kernelILi16EZZZNS0_12_GLOBAL__N_130modified_bessel_i0_kernel_cudaERNS_18TensorIteratorBaseEENKUlvE_clEvENKUlvE_clEvEUldE_St5arrayIPcLm2EEEEviT0_T1_
	.p2align	8
	.type	_ZN2at6native29vectorized_elementwise_kernelILi16EZZZNS0_12_GLOBAL__N_130modified_bessel_i0_kernel_cudaERNS_18TensorIteratorBaseEENKUlvE_clEvENKUlvE_clEvEUldE_St5arrayIPcLm2EEEEviT0_T1_,@function
_ZN2at6native29vectorized_elementwise_kernelILi16EZZZNS0_12_GLOBAL__N_130modified_bessel_i0_kernel_cudaERNS_18TensorIteratorBaseEENKUlvE_clEvENKUlvE_clEvEUldE_St5arrayIPcLm2EEEEviT0_T1_: ; @_ZN2at6native29vectorized_elementwise_kernelILi16EZZZNS0_12_GLOBAL__N_130modified_bessel_i0_kernel_cudaERNS_18TensorIteratorBaseEENKUlvE_clEvENKUlvE_clEvEUldE_St5arrayIPcLm2EEEEviT0_T1_
; %bb.0:
	s_clause 0x1
	s_load_b32 s2, s[0:1], 0x0
	s_load_b128 s[8:11], s[0:1], 0x8
	s_wait_xcnt 0x0
	s_bfe_u32 s0, ttmp6, 0x4000c
	s_and_b32 s1, ttmp6, 15
	s_add_co_i32 s0, s0, 1
	s_getreg_b32 s3, hwreg(HW_REG_IB_STS2, 6, 4)
	s_mul_i32 s0, ttmp9, s0
	v_mov_b32_e32 v32, v0
	s_add_co_i32 s1, s1, s0
	s_cmp_eq_u32 s3, 0
	s_mov_b32 s32, 0
	s_cselect_b32 s0, ttmp9, s1
	s_delay_alu instid0(SALU_CYCLE_1)
	s_lshl_b32 s0, s0, 10
	s_wait_kmcnt 0x0
	s_sub_co_i32 s6, s2, s0
	s_mov_b32 s0, -1
	s_cmp_gt_i32 s6, 0x3ff
	s_cbranch_scc1 .LBB2_3
; %bb.1:
	s_and_not1_b32 vcc_lo, exec_lo, s0
	s_cbranch_vccz .LBB2_4
.LBB2_2:
	s_endpgm
.LBB2_3:
	v_dual_mov_b32 v31, v32 :: v_dual_mov_b32 v0, s8
	v_dual_mov_b32 v1, s9 :: v_dual_mov_b32 v2, s10
	v_mov_b32_e32 v3, s11
	s_get_pc_i64 s[0:1]
	s_add_nc_u64 s[0:1], s[0:1], _ZN2at6native25elementwise_kernel_helperILb0EZZZNS0_12_GLOBAL__N_130modified_bessel_i0_kernel_cudaERNS_18TensorIteratorBaseEENKUlvE_clEvENKUlvE_clEvEUldE_NS0_6memory8policies10vectorizedILi4ESt5arrayIPcLm2EELi4EEEEEvT0_T1_@rel64+4
	s_delay_alu instid0(SALU_CYCLE_1)
	s_swap_pc_i64 s[30:31], s[0:1]
	s_cbranch_execnz .LBB2_2
.LBB2_4:
	v_dual_mov_b32 v31, v32 :: v_dual_mov_b32 v0, s8
	v_dual_mov_b32 v1, s9 :: v_dual_mov_b32 v2, s10
	;; [unrolled: 1-line block ×3, first 2 shown]
	s_get_pc_i64 s[0:1]
	s_add_nc_u64 s[0:1], s[0:1], _ZN2at6native25elementwise_kernel_helperILb0EZZZNS0_12_GLOBAL__N_130modified_bessel_i0_kernel_cudaERNS_18TensorIteratorBaseEENKUlvE_clEvENKUlvE_clEvEUldE_NS0_6memory8policies11unroll_baseILi256ESt5arrayIPcLm2EE23TrivialOffsetCalculatorILi1EjESF_NS8_15LoadWithoutCastENS8_16StoreWithoutCastELi4ELi1EEEEEvT0_T1_@rel64+4
	s_delay_alu instid0(SALU_CYCLE_1)
	s_swap_pc_i64 s[30:31], s[0:1]
	s_endpgm
	.section	.rodata,"a",@progbits
	.p2align	6, 0x0
	.amdhsa_kernel _ZN2at6native29vectorized_elementwise_kernelILi16EZZZNS0_12_GLOBAL__N_130modified_bessel_i0_kernel_cudaERNS_18TensorIteratorBaseEENKUlvE_clEvENKUlvE_clEvEUldE_St5arrayIPcLm2EEEEviT0_T1_
		.amdhsa_group_segment_fixed_size 0
		.amdhsa_private_segment_fixed_size 0
		.amdhsa_kernarg_size 24
		.amdhsa_user_sgpr_count 2
		.amdhsa_user_sgpr_dispatch_ptr 0
		.amdhsa_user_sgpr_queue_ptr 0
		.amdhsa_user_sgpr_kernarg_segment_ptr 1
		.amdhsa_user_sgpr_dispatch_id 0
		.amdhsa_user_sgpr_kernarg_preload_length 0
		.amdhsa_user_sgpr_kernarg_preload_offset 0
		.amdhsa_user_sgpr_private_segment_size 0
		.amdhsa_wavefront_size32 1
		.amdhsa_uses_dynamic_stack 0
		.amdhsa_enable_private_segment 0
		.amdhsa_system_sgpr_workgroup_id_x 1
		.amdhsa_system_sgpr_workgroup_id_y 0
		.amdhsa_system_sgpr_workgroup_id_z 0
		.amdhsa_system_sgpr_workgroup_info 0
		.amdhsa_system_vgpr_workitem_id 0
		.amdhsa_next_free_vgpr 40
		.amdhsa_next_free_sgpr 33
		.amdhsa_named_barrier_count 0
		.amdhsa_reserve_vcc 1
		.amdhsa_float_round_mode_32 0
		.amdhsa_float_round_mode_16_64 0
		.amdhsa_float_denorm_mode_32 3
		.amdhsa_float_denorm_mode_16_64 3
		.amdhsa_fp16_overflow 0
		.amdhsa_memory_ordered 1
		.amdhsa_forward_progress 1
		.amdhsa_inst_pref_size 2
		.amdhsa_round_robin_scheduling 0
		.amdhsa_exception_fp_ieee_invalid_op 0
		.amdhsa_exception_fp_denorm_src 0
		.amdhsa_exception_fp_ieee_div_zero 0
		.amdhsa_exception_fp_ieee_overflow 0
		.amdhsa_exception_fp_ieee_underflow 0
		.amdhsa_exception_fp_ieee_inexact 0
		.amdhsa_exception_int_div_zero 0
	.end_amdhsa_kernel
	.section	.text._ZN2at6native29vectorized_elementwise_kernelILi16EZZZNS0_12_GLOBAL__N_130modified_bessel_i0_kernel_cudaERNS_18TensorIteratorBaseEENKUlvE_clEvENKUlvE_clEvEUldE_St5arrayIPcLm2EEEEviT0_T1_,"axG",@progbits,_ZN2at6native29vectorized_elementwise_kernelILi16EZZZNS0_12_GLOBAL__N_130modified_bessel_i0_kernel_cudaERNS_18TensorIteratorBaseEENKUlvE_clEvENKUlvE_clEvEUldE_St5arrayIPcLm2EEEEviT0_T1_,comdat
.Lfunc_end2:
	.size	_ZN2at6native29vectorized_elementwise_kernelILi16EZZZNS0_12_GLOBAL__N_130modified_bessel_i0_kernel_cudaERNS_18TensorIteratorBaseEENKUlvE_clEvENKUlvE_clEvEUldE_St5arrayIPcLm2EEEEviT0_T1_, .Lfunc_end2-_ZN2at6native29vectorized_elementwise_kernelILi16EZZZNS0_12_GLOBAL__N_130modified_bessel_i0_kernel_cudaERNS_18TensorIteratorBaseEENKUlvE_clEvENKUlvE_clEvEUldE_St5arrayIPcLm2EEEEviT0_T1_
                                        ; -- End function
	.set _ZN2at6native29vectorized_elementwise_kernelILi16EZZZNS0_12_GLOBAL__N_130modified_bessel_i0_kernel_cudaERNS_18TensorIteratorBaseEENKUlvE_clEvENKUlvE_clEvEUldE_St5arrayIPcLm2EEEEviT0_T1_.num_vgpr, max(33, .L_ZN2at6native25elementwise_kernel_helperILb0EZZZNS0_12_GLOBAL__N_130modified_bessel_i0_kernel_cudaERNS_18TensorIteratorBaseEENKUlvE_clEvENKUlvE_clEvEUldE_NS0_6memory8policies10vectorizedILi4ESt5arrayIPcLm2EELi4EEEEEvT0_T1_.num_vgpr, .L_ZN2at6native25elementwise_kernel_helperILb0EZZZNS0_12_GLOBAL__N_130modified_bessel_i0_kernel_cudaERNS_18TensorIteratorBaseEENKUlvE_clEvENKUlvE_clEvEUldE_NS0_6memory8policies11unroll_baseILi256ESt5arrayIPcLm2EE23TrivialOffsetCalculatorILi1EjESF_NS8_15LoadWithoutCastENS8_16StoreWithoutCastELi4ELi1EEEEEvT0_T1_.num_vgpr)
	.set _ZN2at6native29vectorized_elementwise_kernelILi16EZZZNS0_12_GLOBAL__N_130modified_bessel_i0_kernel_cudaERNS_18TensorIteratorBaseEENKUlvE_clEvENKUlvE_clEvEUldE_St5arrayIPcLm2EEEEviT0_T1_.num_agpr, max(0, .L_ZN2at6native25elementwise_kernel_helperILb0EZZZNS0_12_GLOBAL__N_130modified_bessel_i0_kernel_cudaERNS_18TensorIteratorBaseEENKUlvE_clEvENKUlvE_clEvEUldE_NS0_6memory8policies10vectorizedILi4ESt5arrayIPcLm2EELi4EEEEEvT0_T1_.num_agpr, .L_ZN2at6native25elementwise_kernel_helperILb0EZZZNS0_12_GLOBAL__N_130modified_bessel_i0_kernel_cudaERNS_18TensorIteratorBaseEENKUlvE_clEvENKUlvE_clEvEUldE_NS0_6memory8policies11unroll_baseILi256ESt5arrayIPcLm2EE23TrivialOffsetCalculatorILi1EjESF_NS8_15LoadWithoutCastENS8_16StoreWithoutCastELi4ELi1EEEEEvT0_T1_.num_agpr)
	.set _ZN2at6native29vectorized_elementwise_kernelILi16EZZZNS0_12_GLOBAL__N_130modified_bessel_i0_kernel_cudaERNS_18TensorIteratorBaseEENKUlvE_clEvENKUlvE_clEvEUldE_St5arrayIPcLm2EEEEviT0_T1_.numbered_sgpr, max(33, .L_ZN2at6native25elementwise_kernel_helperILb0EZZZNS0_12_GLOBAL__N_130modified_bessel_i0_kernel_cudaERNS_18TensorIteratorBaseEENKUlvE_clEvENKUlvE_clEvEUldE_NS0_6memory8policies10vectorizedILi4ESt5arrayIPcLm2EELi4EEEEEvT0_T1_.numbered_sgpr, .L_ZN2at6native25elementwise_kernel_helperILb0EZZZNS0_12_GLOBAL__N_130modified_bessel_i0_kernel_cudaERNS_18TensorIteratorBaseEENKUlvE_clEvENKUlvE_clEvEUldE_NS0_6memory8policies11unroll_baseILi256ESt5arrayIPcLm2EE23TrivialOffsetCalculatorILi1EjESF_NS8_15LoadWithoutCastENS8_16StoreWithoutCastELi4ELi1EEEEEvT0_T1_.numbered_sgpr)
	.set _ZN2at6native29vectorized_elementwise_kernelILi16EZZZNS0_12_GLOBAL__N_130modified_bessel_i0_kernel_cudaERNS_18TensorIteratorBaseEENKUlvE_clEvENKUlvE_clEvEUldE_St5arrayIPcLm2EEEEviT0_T1_.num_named_barrier, max(0, .L_ZN2at6native25elementwise_kernel_helperILb0EZZZNS0_12_GLOBAL__N_130modified_bessel_i0_kernel_cudaERNS_18TensorIteratorBaseEENKUlvE_clEvENKUlvE_clEvEUldE_NS0_6memory8policies10vectorizedILi4ESt5arrayIPcLm2EELi4EEEEEvT0_T1_.num_named_barrier, .L_ZN2at6native25elementwise_kernel_helperILb0EZZZNS0_12_GLOBAL__N_130modified_bessel_i0_kernel_cudaERNS_18TensorIteratorBaseEENKUlvE_clEvENKUlvE_clEvEUldE_NS0_6memory8policies11unroll_baseILi256ESt5arrayIPcLm2EE23TrivialOffsetCalculatorILi1EjESF_NS8_15LoadWithoutCastENS8_16StoreWithoutCastELi4ELi1EEEEEvT0_T1_.num_named_barrier)
	.set _ZN2at6native29vectorized_elementwise_kernelILi16EZZZNS0_12_GLOBAL__N_130modified_bessel_i0_kernel_cudaERNS_18TensorIteratorBaseEENKUlvE_clEvENKUlvE_clEvEUldE_St5arrayIPcLm2EEEEviT0_T1_.private_seg_size, 0+max(.L_ZN2at6native25elementwise_kernel_helperILb0EZZZNS0_12_GLOBAL__N_130modified_bessel_i0_kernel_cudaERNS_18TensorIteratorBaseEENKUlvE_clEvENKUlvE_clEvEUldE_NS0_6memory8policies10vectorizedILi4ESt5arrayIPcLm2EELi4EEEEEvT0_T1_.private_seg_size, .L_ZN2at6native25elementwise_kernel_helperILb0EZZZNS0_12_GLOBAL__N_130modified_bessel_i0_kernel_cudaERNS_18TensorIteratorBaseEENKUlvE_clEvENKUlvE_clEvEUldE_NS0_6memory8policies11unroll_baseILi256ESt5arrayIPcLm2EE23TrivialOffsetCalculatorILi1EjESF_NS8_15LoadWithoutCastENS8_16StoreWithoutCastELi4ELi1EEEEEvT0_T1_.private_seg_size)
	.set _ZN2at6native29vectorized_elementwise_kernelILi16EZZZNS0_12_GLOBAL__N_130modified_bessel_i0_kernel_cudaERNS_18TensorIteratorBaseEENKUlvE_clEvENKUlvE_clEvEUldE_St5arrayIPcLm2EEEEviT0_T1_.uses_vcc, or(1, .L_ZN2at6native25elementwise_kernel_helperILb0EZZZNS0_12_GLOBAL__N_130modified_bessel_i0_kernel_cudaERNS_18TensorIteratorBaseEENKUlvE_clEvENKUlvE_clEvEUldE_NS0_6memory8policies10vectorizedILi4ESt5arrayIPcLm2EELi4EEEEEvT0_T1_.uses_vcc, .L_ZN2at6native25elementwise_kernel_helperILb0EZZZNS0_12_GLOBAL__N_130modified_bessel_i0_kernel_cudaERNS_18TensorIteratorBaseEENKUlvE_clEvENKUlvE_clEvEUldE_NS0_6memory8policies11unroll_baseILi256ESt5arrayIPcLm2EE23TrivialOffsetCalculatorILi1EjESF_NS8_15LoadWithoutCastENS8_16StoreWithoutCastELi4ELi1EEEEEvT0_T1_.uses_vcc)
	.set _ZN2at6native29vectorized_elementwise_kernelILi16EZZZNS0_12_GLOBAL__N_130modified_bessel_i0_kernel_cudaERNS_18TensorIteratorBaseEENKUlvE_clEvENKUlvE_clEvEUldE_St5arrayIPcLm2EEEEviT0_T1_.uses_flat_scratch, or(0, .L_ZN2at6native25elementwise_kernel_helperILb0EZZZNS0_12_GLOBAL__N_130modified_bessel_i0_kernel_cudaERNS_18TensorIteratorBaseEENKUlvE_clEvENKUlvE_clEvEUldE_NS0_6memory8policies10vectorizedILi4ESt5arrayIPcLm2EELi4EEEEEvT0_T1_.uses_flat_scratch, .L_ZN2at6native25elementwise_kernel_helperILb0EZZZNS0_12_GLOBAL__N_130modified_bessel_i0_kernel_cudaERNS_18TensorIteratorBaseEENKUlvE_clEvENKUlvE_clEvEUldE_NS0_6memory8policies11unroll_baseILi256ESt5arrayIPcLm2EE23TrivialOffsetCalculatorILi1EjESF_NS8_15LoadWithoutCastENS8_16StoreWithoutCastELi4ELi1EEEEEvT0_T1_.uses_flat_scratch)
	.set _ZN2at6native29vectorized_elementwise_kernelILi16EZZZNS0_12_GLOBAL__N_130modified_bessel_i0_kernel_cudaERNS_18TensorIteratorBaseEENKUlvE_clEvENKUlvE_clEvEUldE_St5arrayIPcLm2EEEEviT0_T1_.has_dyn_sized_stack, or(0, .L_ZN2at6native25elementwise_kernel_helperILb0EZZZNS0_12_GLOBAL__N_130modified_bessel_i0_kernel_cudaERNS_18TensorIteratorBaseEENKUlvE_clEvENKUlvE_clEvEUldE_NS0_6memory8policies10vectorizedILi4ESt5arrayIPcLm2EELi4EEEEEvT0_T1_.has_dyn_sized_stack, .L_ZN2at6native25elementwise_kernel_helperILb0EZZZNS0_12_GLOBAL__N_130modified_bessel_i0_kernel_cudaERNS_18TensorIteratorBaseEENKUlvE_clEvENKUlvE_clEvEUldE_NS0_6memory8policies11unroll_baseILi256ESt5arrayIPcLm2EE23TrivialOffsetCalculatorILi1EjESF_NS8_15LoadWithoutCastENS8_16StoreWithoutCastELi4ELi1EEEEEvT0_T1_.has_dyn_sized_stack)
	.set _ZN2at6native29vectorized_elementwise_kernelILi16EZZZNS0_12_GLOBAL__N_130modified_bessel_i0_kernel_cudaERNS_18TensorIteratorBaseEENKUlvE_clEvENKUlvE_clEvEUldE_St5arrayIPcLm2EEEEviT0_T1_.has_recursion, or(0, .L_ZN2at6native25elementwise_kernel_helperILb0EZZZNS0_12_GLOBAL__N_130modified_bessel_i0_kernel_cudaERNS_18TensorIteratorBaseEENKUlvE_clEvENKUlvE_clEvEUldE_NS0_6memory8policies10vectorizedILi4ESt5arrayIPcLm2EELi4EEEEEvT0_T1_.has_recursion, .L_ZN2at6native25elementwise_kernel_helperILb0EZZZNS0_12_GLOBAL__N_130modified_bessel_i0_kernel_cudaERNS_18TensorIteratorBaseEENKUlvE_clEvENKUlvE_clEvEUldE_NS0_6memory8policies11unroll_baseILi256ESt5arrayIPcLm2EE23TrivialOffsetCalculatorILi1EjESF_NS8_15LoadWithoutCastENS8_16StoreWithoutCastELi4ELi1EEEEEvT0_T1_.has_recursion)
	.set _ZN2at6native29vectorized_elementwise_kernelILi16EZZZNS0_12_GLOBAL__N_130modified_bessel_i0_kernel_cudaERNS_18TensorIteratorBaseEENKUlvE_clEvENKUlvE_clEvEUldE_St5arrayIPcLm2EEEEviT0_T1_.has_indirect_call, or(0, .L_ZN2at6native25elementwise_kernel_helperILb0EZZZNS0_12_GLOBAL__N_130modified_bessel_i0_kernel_cudaERNS_18TensorIteratorBaseEENKUlvE_clEvENKUlvE_clEvEUldE_NS0_6memory8policies10vectorizedILi4ESt5arrayIPcLm2EELi4EEEEEvT0_T1_.has_indirect_call, .L_ZN2at6native25elementwise_kernel_helperILb0EZZZNS0_12_GLOBAL__N_130modified_bessel_i0_kernel_cudaERNS_18TensorIteratorBaseEENKUlvE_clEvENKUlvE_clEvEUldE_NS0_6memory8policies11unroll_baseILi256ESt5arrayIPcLm2EE23TrivialOffsetCalculatorILi1EjESF_NS8_15LoadWithoutCastENS8_16StoreWithoutCastELi4ELi1EEEEEvT0_T1_.has_indirect_call)
	.section	.AMDGPU.csdata,"",@progbits
; Kernel info:
; codeLenInByte = 212
; TotalNumSgprs: 35
; NumVgprs: 40
; ScratchSize: 0
; MemoryBound: 0
; FloatMode: 240
; IeeeMode: 1
; LDSByteSize: 0 bytes/workgroup (compile time only)
; SGPRBlocks: 0
; VGPRBlocks: 2
; NumSGPRsForWavesPerEU: 35
; NumVGPRsForWavesPerEU: 40
; NamedBarCnt: 0
; Occupancy: 16
; WaveLimiterHint : 0
; COMPUTE_PGM_RSRC2:SCRATCH_EN: 0
; COMPUTE_PGM_RSRC2:USER_SGPR: 2
; COMPUTE_PGM_RSRC2:TRAP_HANDLER: 0
; COMPUTE_PGM_RSRC2:TGID_X_EN: 1
; COMPUTE_PGM_RSRC2:TGID_Y_EN: 0
; COMPUTE_PGM_RSRC2:TGID_Z_EN: 0
; COMPUTE_PGM_RSRC2:TIDIG_COMP_CNT: 0
	.section	.text._ZN2at6native29vectorized_elementwise_kernelILi8EZZZNS0_12_GLOBAL__N_130modified_bessel_i0_kernel_cudaERNS_18TensorIteratorBaseEENKUlvE_clEvENKUlvE_clEvEUldE_St5arrayIPcLm2EEEEviT0_T1_,"axG",@progbits,_ZN2at6native29vectorized_elementwise_kernelILi8EZZZNS0_12_GLOBAL__N_130modified_bessel_i0_kernel_cudaERNS_18TensorIteratorBaseEENKUlvE_clEvENKUlvE_clEvEUldE_St5arrayIPcLm2EEEEviT0_T1_,comdat
	.globl	_ZN2at6native29vectorized_elementwise_kernelILi8EZZZNS0_12_GLOBAL__N_130modified_bessel_i0_kernel_cudaERNS_18TensorIteratorBaseEENKUlvE_clEvENKUlvE_clEvEUldE_St5arrayIPcLm2EEEEviT0_T1_ ; -- Begin function _ZN2at6native29vectorized_elementwise_kernelILi8EZZZNS0_12_GLOBAL__N_130modified_bessel_i0_kernel_cudaERNS_18TensorIteratorBaseEENKUlvE_clEvENKUlvE_clEvEUldE_St5arrayIPcLm2EEEEviT0_T1_
	.p2align	8
	.type	_ZN2at6native29vectorized_elementwise_kernelILi8EZZZNS0_12_GLOBAL__N_130modified_bessel_i0_kernel_cudaERNS_18TensorIteratorBaseEENKUlvE_clEvENKUlvE_clEvEUldE_St5arrayIPcLm2EEEEviT0_T1_,@function
_ZN2at6native29vectorized_elementwise_kernelILi8EZZZNS0_12_GLOBAL__N_130modified_bessel_i0_kernel_cudaERNS_18TensorIteratorBaseEENKUlvE_clEvENKUlvE_clEvEUldE_St5arrayIPcLm2EEEEviT0_T1_: ; @_ZN2at6native29vectorized_elementwise_kernelILi8EZZZNS0_12_GLOBAL__N_130modified_bessel_i0_kernel_cudaERNS_18TensorIteratorBaseEENKUlvE_clEvENKUlvE_clEvEUldE_St5arrayIPcLm2EEEEviT0_T1_
; %bb.0:
	s_clause 0x1
	s_load_b32 s2, s[0:1], 0x0
	s_load_b128 s[8:11], s[0:1], 0x8
	s_wait_xcnt 0x0
	s_bfe_u32 s0, ttmp6, 0x4000c
	s_and_b32 s1, ttmp6, 15
	s_add_co_i32 s0, s0, 1
	s_getreg_b32 s3, hwreg(HW_REG_IB_STS2, 6, 4)
	s_mul_i32 s0, ttmp9, s0
	v_mov_b32_e32 v32, v0
	s_add_co_i32 s1, s1, s0
	s_cmp_eq_u32 s3, 0
	s_mov_b32 s32, 0
	s_cselect_b32 s0, ttmp9, s1
	s_delay_alu instid0(SALU_CYCLE_1)
	s_lshl_b32 s0, s0, 10
	s_wait_kmcnt 0x0
	s_sub_co_i32 s6, s2, s0
	s_mov_b32 s0, -1
	s_cmp_gt_i32 s6, 0x3ff
	s_cbranch_scc1 .LBB3_3
; %bb.1:
	s_and_not1_b32 vcc_lo, exec_lo, s0
	s_cbranch_vccz .LBB3_4
.LBB3_2:
	s_endpgm
.LBB3_3:
	v_dual_mov_b32 v31, v32 :: v_dual_mov_b32 v0, s8
	v_dual_mov_b32 v1, s9 :: v_dual_mov_b32 v2, s10
	v_mov_b32_e32 v3, s11
	s_get_pc_i64 s[0:1]
	s_add_nc_u64 s[0:1], s[0:1], _ZN2at6native25elementwise_kernel_helperILb0EZZZNS0_12_GLOBAL__N_130modified_bessel_i0_kernel_cudaERNS_18TensorIteratorBaseEENKUlvE_clEvENKUlvE_clEvEUldE_NS0_6memory8policies10vectorizedILi4ESt5arrayIPcLm2EELi4EEEEEvT0_T1_@rel64+4
	s_delay_alu instid0(SALU_CYCLE_1)
	s_swap_pc_i64 s[30:31], s[0:1]
	s_cbranch_execnz .LBB3_2
.LBB3_4:
	v_dual_mov_b32 v31, v32 :: v_dual_mov_b32 v0, s8
	v_dual_mov_b32 v1, s9 :: v_dual_mov_b32 v2, s10
	;; [unrolled: 1-line block ×3, first 2 shown]
	s_get_pc_i64 s[0:1]
	s_add_nc_u64 s[0:1], s[0:1], _ZN2at6native25elementwise_kernel_helperILb0EZZZNS0_12_GLOBAL__N_130modified_bessel_i0_kernel_cudaERNS_18TensorIteratorBaseEENKUlvE_clEvENKUlvE_clEvEUldE_NS0_6memory8policies11unroll_baseILi256ESt5arrayIPcLm2EE23TrivialOffsetCalculatorILi1EjESF_NS8_15LoadWithoutCastENS8_16StoreWithoutCastELi4ELi1EEEEEvT0_T1_@rel64+4
	s_delay_alu instid0(SALU_CYCLE_1)
	s_swap_pc_i64 s[30:31], s[0:1]
	s_endpgm
	.section	.rodata,"a",@progbits
	.p2align	6, 0x0
	.amdhsa_kernel _ZN2at6native29vectorized_elementwise_kernelILi8EZZZNS0_12_GLOBAL__N_130modified_bessel_i0_kernel_cudaERNS_18TensorIteratorBaseEENKUlvE_clEvENKUlvE_clEvEUldE_St5arrayIPcLm2EEEEviT0_T1_
		.amdhsa_group_segment_fixed_size 0
		.amdhsa_private_segment_fixed_size 0
		.amdhsa_kernarg_size 24
		.amdhsa_user_sgpr_count 2
		.amdhsa_user_sgpr_dispatch_ptr 0
		.amdhsa_user_sgpr_queue_ptr 0
		.amdhsa_user_sgpr_kernarg_segment_ptr 1
		.amdhsa_user_sgpr_dispatch_id 0
		.amdhsa_user_sgpr_kernarg_preload_length 0
		.amdhsa_user_sgpr_kernarg_preload_offset 0
		.amdhsa_user_sgpr_private_segment_size 0
		.amdhsa_wavefront_size32 1
		.amdhsa_uses_dynamic_stack 0
		.amdhsa_enable_private_segment 0
		.amdhsa_system_sgpr_workgroup_id_x 1
		.amdhsa_system_sgpr_workgroup_id_y 0
		.amdhsa_system_sgpr_workgroup_id_z 0
		.amdhsa_system_sgpr_workgroup_info 0
		.amdhsa_system_vgpr_workitem_id 0
		.amdhsa_next_free_vgpr 40
		.amdhsa_next_free_sgpr 33
		.amdhsa_named_barrier_count 0
		.amdhsa_reserve_vcc 1
		.amdhsa_float_round_mode_32 0
		.amdhsa_float_round_mode_16_64 0
		.amdhsa_float_denorm_mode_32 3
		.amdhsa_float_denorm_mode_16_64 3
		.amdhsa_fp16_overflow 0
		.amdhsa_memory_ordered 1
		.amdhsa_forward_progress 1
		.amdhsa_inst_pref_size 2
		.amdhsa_round_robin_scheduling 0
		.amdhsa_exception_fp_ieee_invalid_op 0
		.amdhsa_exception_fp_denorm_src 0
		.amdhsa_exception_fp_ieee_div_zero 0
		.amdhsa_exception_fp_ieee_overflow 0
		.amdhsa_exception_fp_ieee_underflow 0
		.amdhsa_exception_fp_ieee_inexact 0
		.amdhsa_exception_int_div_zero 0
	.end_amdhsa_kernel
	.section	.text._ZN2at6native29vectorized_elementwise_kernelILi8EZZZNS0_12_GLOBAL__N_130modified_bessel_i0_kernel_cudaERNS_18TensorIteratorBaseEENKUlvE_clEvENKUlvE_clEvEUldE_St5arrayIPcLm2EEEEviT0_T1_,"axG",@progbits,_ZN2at6native29vectorized_elementwise_kernelILi8EZZZNS0_12_GLOBAL__N_130modified_bessel_i0_kernel_cudaERNS_18TensorIteratorBaseEENKUlvE_clEvENKUlvE_clEvEUldE_St5arrayIPcLm2EEEEviT0_T1_,comdat
.Lfunc_end3:
	.size	_ZN2at6native29vectorized_elementwise_kernelILi8EZZZNS0_12_GLOBAL__N_130modified_bessel_i0_kernel_cudaERNS_18TensorIteratorBaseEENKUlvE_clEvENKUlvE_clEvEUldE_St5arrayIPcLm2EEEEviT0_T1_, .Lfunc_end3-_ZN2at6native29vectorized_elementwise_kernelILi8EZZZNS0_12_GLOBAL__N_130modified_bessel_i0_kernel_cudaERNS_18TensorIteratorBaseEENKUlvE_clEvENKUlvE_clEvEUldE_St5arrayIPcLm2EEEEviT0_T1_
                                        ; -- End function
	.set _ZN2at6native29vectorized_elementwise_kernelILi8EZZZNS0_12_GLOBAL__N_130modified_bessel_i0_kernel_cudaERNS_18TensorIteratorBaseEENKUlvE_clEvENKUlvE_clEvEUldE_St5arrayIPcLm2EEEEviT0_T1_.num_vgpr, max(33, .L_ZN2at6native25elementwise_kernel_helperILb0EZZZNS0_12_GLOBAL__N_130modified_bessel_i0_kernel_cudaERNS_18TensorIteratorBaseEENKUlvE_clEvENKUlvE_clEvEUldE_NS0_6memory8policies10vectorizedILi4ESt5arrayIPcLm2EELi4EEEEEvT0_T1_.num_vgpr, .L_ZN2at6native25elementwise_kernel_helperILb0EZZZNS0_12_GLOBAL__N_130modified_bessel_i0_kernel_cudaERNS_18TensorIteratorBaseEENKUlvE_clEvENKUlvE_clEvEUldE_NS0_6memory8policies11unroll_baseILi256ESt5arrayIPcLm2EE23TrivialOffsetCalculatorILi1EjESF_NS8_15LoadWithoutCastENS8_16StoreWithoutCastELi4ELi1EEEEEvT0_T1_.num_vgpr)
	.set _ZN2at6native29vectorized_elementwise_kernelILi8EZZZNS0_12_GLOBAL__N_130modified_bessel_i0_kernel_cudaERNS_18TensorIteratorBaseEENKUlvE_clEvENKUlvE_clEvEUldE_St5arrayIPcLm2EEEEviT0_T1_.num_agpr, max(0, .L_ZN2at6native25elementwise_kernel_helperILb0EZZZNS0_12_GLOBAL__N_130modified_bessel_i0_kernel_cudaERNS_18TensorIteratorBaseEENKUlvE_clEvENKUlvE_clEvEUldE_NS0_6memory8policies10vectorizedILi4ESt5arrayIPcLm2EELi4EEEEEvT0_T1_.num_agpr, .L_ZN2at6native25elementwise_kernel_helperILb0EZZZNS0_12_GLOBAL__N_130modified_bessel_i0_kernel_cudaERNS_18TensorIteratorBaseEENKUlvE_clEvENKUlvE_clEvEUldE_NS0_6memory8policies11unroll_baseILi256ESt5arrayIPcLm2EE23TrivialOffsetCalculatorILi1EjESF_NS8_15LoadWithoutCastENS8_16StoreWithoutCastELi4ELi1EEEEEvT0_T1_.num_agpr)
	.set _ZN2at6native29vectorized_elementwise_kernelILi8EZZZNS0_12_GLOBAL__N_130modified_bessel_i0_kernel_cudaERNS_18TensorIteratorBaseEENKUlvE_clEvENKUlvE_clEvEUldE_St5arrayIPcLm2EEEEviT0_T1_.numbered_sgpr, max(33, .L_ZN2at6native25elementwise_kernel_helperILb0EZZZNS0_12_GLOBAL__N_130modified_bessel_i0_kernel_cudaERNS_18TensorIteratorBaseEENKUlvE_clEvENKUlvE_clEvEUldE_NS0_6memory8policies10vectorizedILi4ESt5arrayIPcLm2EELi4EEEEEvT0_T1_.numbered_sgpr, .L_ZN2at6native25elementwise_kernel_helperILb0EZZZNS0_12_GLOBAL__N_130modified_bessel_i0_kernel_cudaERNS_18TensorIteratorBaseEENKUlvE_clEvENKUlvE_clEvEUldE_NS0_6memory8policies11unroll_baseILi256ESt5arrayIPcLm2EE23TrivialOffsetCalculatorILi1EjESF_NS8_15LoadWithoutCastENS8_16StoreWithoutCastELi4ELi1EEEEEvT0_T1_.numbered_sgpr)
	.set _ZN2at6native29vectorized_elementwise_kernelILi8EZZZNS0_12_GLOBAL__N_130modified_bessel_i0_kernel_cudaERNS_18TensorIteratorBaseEENKUlvE_clEvENKUlvE_clEvEUldE_St5arrayIPcLm2EEEEviT0_T1_.num_named_barrier, max(0, .L_ZN2at6native25elementwise_kernel_helperILb0EZZZNS0_12_GLOBAL__N_130modified_bessel_i0_kernel_cudaERNS_18TensorIteratorBaseEENKUlvE_clEvENKUlvE_clEvEUldE_NS0_6memory8policies10vectorizedILi4ESt5arrayIPcLm2EELi4EEEEEvT0_T1_.num_named_barrier, .L_ZN2at6native25elementwise_kernel_helperILb0EZZZNS0_12_GLOBAL__N_130modified_bessel_i0_kernel_cudaERNS_18TensorIteratorBaseEENKUlvE_clEvENKUlvE_clEvEUldE_NS0_6memory8policies11unroll_baseILi256ESt5arrayIPcLm2EE23TrivialOffsetCalculatorILi1EjESF_NS8_15LoadWithoutCastENS8_16StoreWithoutCastELi4ELi1EEEEEvT0_T1_.num_named_barrier)
	.set _ZN2at6native29vectorized_elementwise_kernelILi8EZZZNS0_12_GLOBAL__N_130modified_bessel_i0_kernel_cudaERNS_18TensorIteratorBaseEENKUlvE_clEvENKUlvE_clEvEUldE_St5arrayIPcLm2EEEEviT0_T1_.private_seg_size, 0+max(.L_ZN2at6native25elementwise_kernel_helperILb0EZZZNS0_12_GLOBAL__N_130modified_bessel_i0_kernel_cudaERNS_18TensorIteratorBaseEENKUlvE_clEvENKUlvE_clEvEUldE_NS0_6memory8policies10vectorizedILi4ESt5arrayIPcLm2EELi4EEEEEvT0_T1_.private_seg_size, .L_ZN2at6native25elementwise_kernel_helperILb0EZZZNS0_12_GLOBAL__N_130modified_bessel_i0_kernel_cudaERNS_18TensorIteratorBaseEENKUlvE_clEvENKUlvE_clEvEUldE_NS0_6memory8policies11unroll_baseILi256ESt5arrayIPcLm2EE23TrivialOffsetCalculatorILi1EjESF_NS8_15LoadWithoutCastENS8_16StoreWithoutCastELi4ELi1EEEEEvT0_T1_.private_seg_size)
	.set _ZN2at6native29vectorized_elementwise_kernelILi8EZZZNS0_12_GLOBAL__N_130modified_bessel_i0_kernel_cudaERNS_18TensorIteratorBaseEENKUlvE_clEvENKUlvE_clEvEUldE_St5arrayIPcLm2EEEEviT0_T1_.uses_vcc, or(1, .L_ZN2at6native25elementwise_kernel_helperILb0EZZZNS0_12_GLOBAL__N_130modified_bessel_i0_kernel_cudaERNS_18TensorIteratorBaseEENKUlvE_clEvENKUlvE_clEvEUldE_NS0_6memory8policies10vectorizedILi4ESt5arrayIPcLm2EELi4EEEEEvT0_T1_.uses_vcc, .L_ZN2at6native25elementwise_kernel_helperILb0EZZZNS0_12_GLOBAL__N_130modified_bessel_i0_kernel_cudaERNS_18TensorIteratorBaseEENKUlvE_clEvENKUlvE_clEvEUldE_NS0_6memory8policies11unroll_baseILi256ESt5arrayIPcLm2EE23TrivialOffsetCalculatorILi1EjESF_NS8_15LoadWithoutCastENS8_16StoreWithoutCastELi4ELi1EEEEEvT0_T1_.uses_vcc)
	.set _ZN2at6native29vectorized_elementwise_kernelILi8EZZZNS0_12_GLOBAL__N_130modified_bessel_i0_kernel_cudaERNS_18TensorIteratorBaseEENKUlvE_clEvENKUlvE_clEvEUldE_St5arrayIPcLm2EEEEviT0_T1_.uses_flat_scratch, or(0, .L_ZN2at6native25elementwise_kernel_helperILb0EZZZNS0_12_GLOBAL__N_130modified_bessel_i0_kernel_cudaERNS_18TensorIteratorBaseEENKUlvE_clEvENKUlvE_clEvEUldE_NS0_6memory8policies10vectorizedILi4ESt5arrayIPcLm2EELi4EEEEEvT0_T1_.uses_flat_scratch, .L_ZN2at6native25elementwise_kernel_helperILb0EZZZNS0_12_GLOBAL__N_130modified_bessel_i0_kernel_cudaERNS_18TensorIteratorBaseEENKUlvE_clEvENKUlvE_clEvEUldE_NS0_6memory8policies11unroll_baseILi256ESt5arrayIPcLm2EE23TrivialOffsetCalculatorILi1EjESF_NS8_15LoadWithoutCastENS8_16StoreWithoutCastELi4ELi1EEEEEvT0_T1_.uses_flat_scratch)
	.set _ZN2at6native29vectorized_elementwise_kernelILi8EZZZNS0_12_GLOBAL__N_130modified_bessel_i0_kernel_cudaERNS_18TensorIteratorBaseEENKUlvE_clEvENKUlvE_clEvEUldE_St5arrayIPcLm2EEEEviT0_T1_.has_dyn_sized_stack, or(0, .L_ZN2at6native25elementwise_kernel_helperILb0EZZZNS0_12_GLOBAL__N_130modified_bessel_i0_kernel_cudaERNS_18TensorIteratorBaseEENKUlvE_clEvENKUlvE_clEvEUldE_NS0_6memory8policies10vectorizedILi4ESt5arrayIPcLm2EELi4EEEEEvT0_T1_.has_dyn_sized_stack, .L_ZN2at6native25elementwise_kernel_helperILb0EZZZNS0_12_GLOBAL__N_130modified_bessel_i0_kernel_cudaERNS_18TensorIteratorBaseEENKUlvE_clEvENKUlvE_clEvEUldE_NS0_6memory8policies11unroll_baseILi256ESt5arrayIPcLm2EE23TrivialOffsetCalculatorILi1EjESF_NS8_15LoadWithoutCastENS8_16StoreWithoutCastELi4ELi1EEEEEvT0_T1_.has_dyn_sized_stack)
	.set _ZN2at6native29vectorized_elementwise_kernelILi8EZZZNS0_12_GLOBAL__N_130modified_bessel_i0_kernel_cudaERNS_18TensorIteratorBaseEENKUlvE_clEvENKUlvE_clEvEUldE_St5arrayIPcLm2EEEEviT0_T1_.has_recursion, or(0, .L_ZN2at6native25elementwise_kernel_helperILb0EZZZNS0_12_GLOBAL__N_130modified_bessel_i0_kernel_cudaERNS_18TensorIteratorBaseEENKUlvE_clEvENKUlvE_clEvEUldE_NS0_6memory8policies10vectorizedILi4ESt5arrayIPcLm2EELi4EEEEEvT0_T1_.has_recursion, .L_ZN2at6native25elementwise_kernel_helperILb0EZZZNS0_12_GLOBAL__N_130modified_bessel_i0_kernel_cudaERNS_18TensorIteratorBaseEENKUlvE_clEvENKUlvE_clEvEUldE_NS0_6memory8policies11unroll_baseILi256ESt5arrayIPcLm2EE23TrivialOffsetCalculatorILi1EjESF_NS8_15LoadWithoutCastENS8_16StoreWithoutCastELi4ELi1EEEEEvT0_T1_.has_recursion)
	.set _ZN2at6native29vectorized_elementwise_kernelILi8EZZZNS0_12_GLOBAL__N_130modified_bessel_i0_kernel_cudaERNS_18TensorIteratorBaseEENKUlvE_clEvENKUlvE_clEvEUldE_St5arrayIPcLm2EEEEviT0_T1_.has_indirect_call, or(0, .L_ZN2at6native25elementwise_kernel_helperILb0EZZZNS0_12_GLOBAL__N_130modified_bessel_i0_kernel_cudaERNS_18TensorIteratorBaseEENKUlvE_clEvENKUlvE_clEvEUldE_NS0_6memory8policies10vectorizedILi4ESt5arrayIPcLm2EELi4EEEEEvT0_T1_.has_indirect_call, .L_ZN2at6native25elementwise_kernel_helperILb0EZZZNS0_12_GLOBAL__N_130modified_bessel_i0_kernel_cudaERNS_18TensorIteratorBaseEENKUlvE_clEvENKUlvE_clEvEUldE_NS0_6memory8policies11unroll_baseILi256ESt5arrayIPcLm2EE23TrivialOffsetCalculatorILi1EjESF_NS8_15LoadWithoutCastENS8_16StoreWithoutCastELi4ELi1EEEEEvT0_T1_.has_indirect_call)
	.section	.AMDGPU.csdata,"",@progbits
; Kernel info:
; codeLenInByte = 212
; TotalNumSgprs: 35
; NumVgprs: 40
; ScratchSize: 0
; MemoryBound: 0
; FloatMode: 240
; IeeeMode: 1
; LDSByteSize: 0 bytes/workgroup (compile time only)
; SGPRBlocks: 0
; VGPRBlocks: 2
; NumSGPRsForWavesPerEU: 35
; NumVGPRsForWavesPerEU: 40
; NamedBarCnt: 0
; Occupancy: 16
; WaveLimiterHint : 0
; COMPUTE_PGM_RSRC2:SCRATCH_EN: 0
; COMPUTE_PGM_RSRC2:USER_SGPR: 2
; COMPUTE_PGM_RSRC2:TRAP_HANDLER: 0
; COMPUTE_PGM_RSRC2:TGID_X_EN: 1
; COMPUTE_PGM_RSRC2:TGID_Y_EN: 0
; COMPUTE_PGM_RSRC2:TGID_Z_EN: 0
; COMPUTE_PGM_RSRC2:TIDIG_COMP_CNT: 0
	.section	.text._ZN2at6native29vectorized_elementwise_kernelILi4EZZZNS0_12_GLOBAL__N_130modified_bessel_i0_kernel_cudaERNS_18TensorIteratorBaseEENKUlvE_clEvENKUlvE_clEvEUldE_St5arrayIPcLm2EEEEviT0_T1_,"axG",@progbits,_ZN2at6native29vectorized_elementwise_kernelILi4EZZZNS0_12_GLOBAL__N_130modified_bessel_i0_kernel_cudaERNS_18TensorIteratorBaseEENKUlvE_clEvENKUlvE_clEvEUldE_St5arrayIPcLm2EEEEviT0_T1_,comdat
	.globl	_ZN2at6native29vectorized_elementwise_kernelILi4EZZZNS0_12_GLOBAL__N_130modified_bessel_i0_kernel_cudaERNS_18TensorIteratorBaseEENKUlvE_clEvENKUlvE_clEvEUldE_St5arrayIPcLm2EEEEviT0_T1_ ; -- Begin function _ZN2at6native29vectorized_elementwise_kernelILi4EZZZNS0_12_GLOBAL__N_130modified_bessel_i0_kernel_cudaERNS_18TensorIteratorBaseEENKUlvE_clEvENKUlvE_clEvEUldE_St5arrayIPcLm2EEEEviT0_T1_
	.p2align	8
	.type	_ZN2at6native29vectorized_elementwise_kernelILi4EZZZNS0_12_GLOBAL__N_130modified_bessel_i0_kernel_cudaERNS_18TensorIteratorBaseEENKUlvE_clEvENKUlvE_clEvEUldE_St5arrayIPcLm2EEEEviT0_T1_,@function
_ZN2at6native29vectorized_elementwise_kernelILi4EZZZNS0_12_GLOBAL__N_130modified_bessel_i0_kernel_cudaERNS_18TensorIteratorBaseEENKUlvE_clEvENKUlvE_clEvEUldE_St5arrayIPcLm2EEEEviT0_T1_: ; @_ZN2at6native29vectorized_elementwise_kernelILi4EZZZNS0_12_GLOBAL__N_130modified_bessel_i0_kernel_cudaERNS_18TensorIteratorBaseEENKUlvE_clEvENKUlvE_clEvEUldE_St5arrayIPcLm2EEEEviT0_T1_
; %bb.0:
	s_clause 0x1
	s_load_b32 s2, s[0:1], 0x0
	s_load_b128 s[8:11], s[0:1], 0x8
	s_wait_xcnt 0x0
	s_bfe_u32 s0, ttmp6, 0x4000c
	s_and_b32 s1, ttmp6, 15
	s_add_co_i32 s0, s0, 1
	s_getreg_b32 s3, hwreg(HW_REG_IB_STS2, 6, 4)
	s_mul_i32 s0, ttmp9, s0
	v_mov_b32_e32 v32, v0
	s_add_co_i32 s1, s1, s0
	s_cmp_eq_u32 s3, 0
	s_mov_b32 s32, 0
	s_cselect_b32 s0, ttmp9, s1
	s_delay_alu instid0(SALU_CYCLE_1)
	s_lshl_b32 s0, s0, 10
	s_wait_kmcnt 0x0
	s_sub_co_i32 s6, s2, s0
	s_mov_b32 s0, -1
	s_cmp_gt_i32 s6, 0x3ff
	s_cbranch_scc1 .LBB4_3
; %bb.1:
	s_and_not1_b32 vcc_lo, exec_lo, s0
	s_cbranch_vccz .LBB4_4
.LBB4_2:
	s_endpgm
.LBB4_3:
	v_dual_mov_b32 v31, v32 :: v_dual_mov_b32 v0, s8
	v_dual_mov_b32 v1, s9 :: v_dual_mov_b32 v2, s10
	v_mov_b32_e32 v3, s11
	s_get_pc_i64 s[0:1]
	s_add_nc_u64 s[0:1], s[0:1], _ZN2at6native25elementwise_kernel_helperILb0EZZZNS0_12_GLOBAL__N_130modified_bessel_i0_kernel_cudaERNS_18TensorIteratorBaseEENKUlvE_clEvENKUlvE_clEvEUldE_NS0_6memory8policies10vectorizedILi4ESt5arrayIPcLm2EELi4EEEEEvT0_T1_@rel64+4
	s_delay_alu instid0(SALU_CYCLE_1)
	s_swap_pc_i64 s[30:31], s[0:1]
	s_cbranch_execnz .LBB4_2
.LBB4_4:
	v_dual_mov_b32 v31, v32 :: v_dual_mov_b32 v0, s8
	v_dual_mov_b32 v1, s9 :: v_dual_mov_b32 v2, s10
	;; [unrolled: 1-line block ×3, first 2 shown]
	s_get_pc_i64 s[0:1]
	s_add_nc_u64 s[0:1], s[0:1], _ZN2at6native25elementwise_kernel_helperILb0EZZZNS0_12_GLOBAL__N_130modified_bessel_i0_kernel_cudaERNS_18TensorIteratorBaseEENKUlvE_clEvENKUlvE_clEvEUldE_NS0_6memory8policies11unroll_baseILi256ESt5arrayIPcLm2EE23TrivialOffsetCalculatorILi1EjESF_NS8_15LoadWithoutCastENS8_16StoreWithoutCastELi4ELi1EEEEEvT0_T1_@rel64+4
	s_delay_alu instid0(SALU_CYCLE_1)
	s_swap_pc_i64 s[30:31], s[0:1]
	s_endpgm
	.section	.rodata,"a",@progbits
	.p2align	6, 0x0
	.amdhsa_kernel _ZN2at6native29vectorized_elementwise_kernelILi4EZZZNS0_12_GLOBAL__N_130modified_bessel_i0_kernel_cudaERNS_18TensorIteratorBaseEENKUlvE_clEvENKUlvE_clEvEUldE_St5arrayIPcLm2EEEEviT0_T1_
		.amdhsa_group_segment_fixed_size 0
		.amdhsa_private_segment_fixed_size 0
		.amdhsa_kernarg_size 24
		.amdhsa_user_sgpr_count 2
		.amdhsa_user_sgpr_dispatch_ptr 0
		.amdhsa_user_sgpr_queue_ptr 0
		.amdhsa_user_sgpr_kernarg_segment_ptr 1
		.amdhsa_user_sgpr_dispatch_id 0
		.amdhsa_user_sgpr_kernarg_preload_length 0
		.amdhsa_user_sgpr_kernarg_preload_offset 0
		.amdhsa_user_sgpr_private_segment_size 0
		.amdhsa_wavefront_size32 1
		.amdhsa_uses_dynamic_stack 0
		.amdhsa_enable_private_segment 0
		.amdhsa_system_sgpr_workgroup_id_x 1
		.amdhsa_system_sgpr_workgroup_id_y 0
		.amdhsa_system_sgpr_workgroup_id_z 0
		.amdhsa_system_sgpr_workgroup_info 0
		.amdhsa_system_vgpr_workitem_id 0
		.amdhsa_next_free_vgpr 40
		.amdhsa_next_free_sgpr 33
		.amdhsa_named_barrier_count 0
		.amdhsa_reserve_vcc 1
		.amdhsa_float_round_mode_32 0
		.amdhsa_float_round_mode_16_64 0
		.amdhsa_float_denorm_mode_32 3
		.amdhsa_float_denorm_mode_16_64 3
		.amdhsa_fp16_overflow 0
		.amdhsa_memory_ordered 1
		.amdhsa_forward_progress 1
		.amdhsa_inst_pref_size 2
		.amdhsa_round_robin_scheduling 0
		.amdhsa_exception_fp_ieee_invalid_op 0
		.amdhsa_exception_fp_denorm_src 0
		.amdhsa_exception_fp_ieee_div_zero 0
		.amdhsa_exception_fp_ieee_overflow 0
		.amdhsa_exception_fp_ieee_underflow 0
		.amdhsa_exception_fp_ieee_inexact 0
		.amdhsa_exception_int_div_zero 0
	.end_amdhsa_kernel
	.section	.text._ZN2at6native29vectorized_elementwise_kernelILi4EZZZNS0_12_GLOBAL__N_130modified_bessel_i0_kernel_cudaERNS_18TensorIteratorBaseEENKUlvE_clEvENKUlvE_clEvEUldE_St5arrayIPcLm2EEEEviT0_T1_,"axG",@progbits,_ZN2at6native29vectorized_elementwise_kernelILi4EZZZNS0_12_GLOBAL__N_130modified_bessel_i0_kernel_cudaERNS_18TensorIteratorBaseEENKUlvE_clEvENKUlvE_clEvEUldE_St5arrayIPcLm2EEEEviT0_T1_,comdat
.Lfunc_end4:
	.size	_ZN2at6native29vectorized_elementwise_kernelILi4EZZZNS0_12_GLOBAL__N_130modified_bessel_i0_kernel_cudaERNS_18TensorIteratorBaseEENKUlvE_clEvENKUlvE_clEvEUldE_St5arrayIPcLm2EEEEviT0_T1_, .Lfunc_end4-_ZN2at6native29vectorized_elementwise_kernelILi4EZZZNS0_12_GLOBAL__N_130modified_bessel_i0_kernel_cudaERNS_18TensorIteratorBaseEENKUlvE_clEvENKUlvE_clEvEUldE_St5arrayIPcLm2EEEEviT0_T1_
                                        ; -- End function
	.set _ZN2at6native29vectorized_elementwise_kernelILi4EZZZNS0_12_GLOBAL__N_130modified_bessel_i0_kernel_cudaERNS_18TensorIteratorBaseEENKUlvE_clEvENKUlvE_clEvEUldE_St5arrayIPcLm2EEEEviT0_T1_.num_vgpr, max(33, .L_ZN2at6native25elementwise_kernel_helperILb0EZZZNS0_12_GLOBAL__N_130modified_bessel_i0_kernel_cudaERNS_18TensorIteratorBaseEENKUlvE_clEvENKUlvE_clEvEUldE_NS0_6memory8policies10vectorizedILi4ESt5arrayIPcLm2EELi4EEEEEvT0_T1_.num_vgpr, .L_ZN2at6native25elementwise_kernel_helperILb0EZZZNS0_12_GLOBAL__N_130modified_bessel_i0_kernel_cudaERNS_18TensorIteratorBaseEENKUlvE_clEvENKUlvE_clEvEUldE_NS0_6memory8policies11unroll_baseILi256ESt5arrayIPcLm2EE23TrivialOffsetCalculatorILi1EjESF_NS8_15LoadWithoutCastENS8_16StoreWithoutCastELi4ELi1EEEEEvT0_T1_.num_vgpr)
	.set _ZN2at6native29vectorized_elementwise_kernelILi4EZZZNS0_12_GLOBAL__N_130modified_bessel_i0_kernel_cudaERNS_18TensorIteratorBaseEENKUlvE_clEvENKUlvE_clEvEUldE_St5arrayIPcLm2EEEEviT0_T1_.num_agpr, max(0, .L_ZN2at6native25elementwise_kernel_helperILb0EZZZNS0_12_GLOBAL__N_130modified_bessel_i0_kernel_cudaERNS_18TensorIteratorBaseEENKUlvE_clEvENKUlvE_clEvEUldE_NS0_6memory8policies10vectorizedILi4ESt5arrayIPcLm2EELi4EEEEEvT0_T1_.num_agpr, .L_ZN2at6native25elementwise_kernel_helperILb0EZZZNS0_12_GLOBAL__N_130modified_bessel_i0_kernel_cudaERNS_18TensorIteratorBaseEENKUlvE_clEvENKUlvE_clEvEUldE_NS0_6memory8policies11unroll_baseILi256ESt5arrayIPcLm2EE23TrivialOffsetCalculatorILi1EjESF_NS8_15LoadWithoutCastENS8_16StoreWithoutCastELi4ELi1EEEEEvT0_T1_.num_agpr)
	.set _ZN2at6native29vectorized_elementwise_kernelILi4EZZZNS0_12_GLOBAL__N_130modified_bessel_i0_kernel_cudaERNS_18TensorIteratorBaseEENKUlvE_clEvENKUlvE_clEvEUldE_St5arrayIPcLm2EEEEviT0_T1_.numbered_sgpr, max(33, .L_ZN2at6native25elementwise_kernel_helperILb0EZZZNS0_12_GLOBAL__N_130modified_bessel_i0_kernel_cudaERNS_18TensorIteratorBaseEENKUlvE_clEvENKUlvE_clEvEUldE_NS0_6memory8policies10vectorizedILi4ESt5arrayIPcLm2EELi4EEEEEvT0_T1_.numbered_sgpr, .L_ZN2at6native25elementwise_kernel_helperILb0EZZZNS0_12_GLOBAL__N_130modified_bessel_i0_kernel_cudaERNS_18TensorIteratorBaseEENKUlvE_clEvENKUlvE_clEvEUldE_NS0_6memory8policies11unroll_baseILi256ESt5arrayIPcLm2EE23TrivialOffsetCalculatorILi1EjESF_NS8_15LoadWithoutCastENS8_16StoreWithoutCastELi4ELi1EEEEEvT0_T1_.numbered_sgpr)
	.set _ZN2at6native29vectorized_elementwise_kernelILi4EZZZNS0_12_GLOBAL__N_130modified_bessel_i0_kernel_cudaERNS_18TensorIteratorBaseEENKUlvE_clEvENKUlvE_clEvEUldE_St5arrayIPcLm2EEEEviT0_T1_.num_named_barrier, max(0, .L_ZN2at6native25elementwise_kernel_helperILb0EZZZNS0_12_GLOBAL__N_130modified_bessel_i0_kernel_cudaERNS_18TensorIteratorBaseEENKUlvE_clEvENKUlvE_clEvEUldE_NS0_6memory8policies10vectorizedILi4ESt5arrayIPcLm2EELi4EEEEEvT0_T1_.num_named_barrier, .L_ZN2at6native25elementwise_kernel_helperILb0EZZZNS0_12_GLOBAL__N_130modified_bessel_i0_kernel_cudaERNS_18TensorIteratorBaseEENKUlvE_clEvENKUlvE_clEvEUldE_NS0_6memory8policies11unroll_baseILi256ESt5arrayIPcLm2EE23TrivialOffsetCalculatorILi1EjESF_NS8_15LoadWithoutCastENS8_16StoreWithoutCastELi4ELi1EEEEEvT0_T1_.num_named_barrier)
	.set _ZN2at6native29vectorized_elementwise_kernelILi4EZZZNS0_12_GLOBAL__N_130modified_bessel_i0_kernel_cudaERNS_18TensorIteratorBaseEENKUlvE_clEvENKUlvE_clEvEUldE_St5arrayIPcLm2EEEEviT0_T1_.private_seg_size, 0+max(.L_ZN2at6native25elementwise_kernel_helperILb0EZZZNS0_12_GLOBAL__N_130modified_bessel_i0_kernel_cudaERNS_18TensorIteratorBaseEENKUlvE_clEvENKUlvE_clEvEUldE_NS0_6memory8policies10vectorizedILi4ESt5arrayIPcLm2EELi4EEEEEvT0_T1_.private_seg_size, .L_ZN2at6native25elementwise_kernel_helperILb0EZZZNS0_12_GLOBAL__N_130modified_bessel_i0_kernel_cudaERNS_18TensorIteratorBaseEENKUlvE_clEvENKUlvE_clEvEUldE_NS0_6memory8policies11unroll_baseILi256ESt5arrayIPcLm2EE23TrivialOffsetCalculatorILi1EjESF_NS8_15LoadWithoutCastENS8_16StoreWithoutCastELi4ELi1EEEEEvT0_T1_.private_seg_size)
	.set _ZN2at6native29vectorized_elementwise_kernelILi4EZZZNS0_12_GLOBAL__N_130modified_bessel_i0_kernel_cudaERNS_18TensorIteratorBaseEENKUlvE_clEvENKUlvE_clEvEUldE_St5arrayIPcLm2EEEEviT0_T1_.uses_vcc, or(1, .L_ZN2at6native25elementwise_kernel_helperILb0EZZZNS0_12_GLOBAL__N_130modified_bessel_i0_kernel_cudaERNS_18TensorIteratorBaseEENKUlvE_clEvENKUlvE_clEvEUldE_NS0_6memory8policies10vectorizedILi4ESt5arrayIPcLm2EELi4EEEEEvT0_T1_.uses_vcc, .L_ZN2at6native25elementwise_kernel_helperILb0EZZZNS0_12_GLOBAL__N_130modified_bessel_i0_kernel_cudaERNS_18TensorIteratorBaseEENKUlvE_clEvENKUlvE_clEvEUldE_NS0_6memory8policies11unroll_baseILi256ESt5arrayIPcLm2EE23TrivialOffsetCalculatorILi1EjESF_NS8_15LoadWithoutCastENS8_16StoreWithoutCastELi4ELi1EEEEEvT0_T1_.uses_vcc)
	.set _ZN2at6native29vectorized_elementwise_kernelILi4EZZZNS0_12_GLOBAL__N_130modified_bessel_i0_kernel_cudaERNS_18TensorIteratorBaseEENKUlvE_clEvENKUlvE_clEvEUldE_St5arrayIPcLm2EEEEviT0_T1_.uses_flat_scratch, or(0, .L_ZN2at6native25elementwise_kernel_helperILb0EZZZNS0_12_GLOBAL__N_130modified_bessel_i0_kernel_cudaERNS_18TensorIteratorBaseEENKUlvE_clEvENKUlvE_clEvEUldE_NS0_6memory8policies10vectorizedILi4ESt5arrayIPcLm2EELi4EEEEEvT0_T1_.uses_flat_scratch, .L_ZN2at6native25elementwise_kernel_helperILb0EZZZNS0_12_GLOBAL__N_130modified_bessel_i0_kernel_cudaERNS_18TensorIteratorBaseEENKUlvE_clEvENKUlvE_clEvEUldE_NS0_6memory8policies11unroll_baseILi256ESt5arrayIPcLm2EE23TrivialOffsetCalculatorILi1EjESF_NS8_15LoadWithoutCastENS8_16StoreWithoutCastELi4ELi1EEEEEvT0_T1_.uses_flat_scratch)
	.set _ZN2at6native29vectorized_elementwise_kernelILi4EZZZNS0_12_GLOBAL__N_130modified_bessel_i0_kernel_cudaERNS_18TensorIteratorBaseEENKUlvE_clEvENKUlvE_clEvEUldE_St5arrayIPcLm2EEEEviT0_T1_.has_dyn_sized_stack, or(0, .L_ZN2at6native25elementwise_kernel_helperILb0EZZZNS0_12_GLOBAL__N_130modified_bessel_i0_kernel_cudaERNS_18TensorIteratorBaseEENKUlvE_clEvENKUlvE_clEvEUldE_NS0_6memory8policies10vectorizedILi4ESt5arrayIPcLm2EELi4EEEEEvT0_T1_.has_dyn_sized_stack, .L_ZN2at6native25elementwise_kernel_helperILb0EZZZNS0_12_GLOBAL__N_130modified_bessel_i0_kernel_cudaERNS_18TensorIteratorBaseEENKUlvE_clEvENKUlvE_clEvEUldE_NS0_6memory8policies11unroll_baseILi256ESt5arrayIPcLm2EE23TrivialOffsetCalculatorILi1EjESF_NS8_15LoadWithoutCastENS8_16StoreWithoutCastELi4ELi1EEEEEvT0_T1_.has_dyn_sized_stack)
	.set _ZN2at6native29vectorized_elementwise_kernelILi4EZZZNS0_12_GLOBAL__N_130modified_bessel_i0_kernel_cudaERNS_18TensorIteratorBaseEENKUlvE_clEvENKUlvE_clEvEUldE_St5arrayIPcLm2EEEEviT0_T1_.has_recursion, or(0, .L_ZN2at6native25elementwise_kernel_helperILb0EZZZNS0_12_GLOBAL__N_130modified_bessel_i0_kernel_cudaERNS_18TensorIteratorBaseEENKUlvE_clEvENKUlvE_clEvEUldE_NS0_6memory8policies10vectorizedILi4ESt5arrayIPcLm2EELi4EEEEEvT0_T1_.has_recursion, .L_ZN2at6native25elementwise_kernel_helperILb0EZZZNS0_12_GLOBAL__N_130modified_bessel_i0_kernel_cudaERNS_18TensorIteratorBaseEENKUlvE_clEvENKUlvE_clEvEUldE_NS0_6memory8policies11unroll_baseILi256ESt5arrayIPcLm2EE23TrivialOffsetCalculatorILi1EjESF_NS8_15LoadWithoutCastENS8_16StoreWithoutCastELi4ELi1EEEEEvT0_T1_.has_recursion)
	.set _ZN2at6native29vectorized_elementwise_kernelILi4EZZZNS0_12_GLOBAL__N_130modified_bessel_i0_kernel_cudaERNS_18TensorIteratorBaseEENKUlvE_clEvENKUlvE_clEvEUldE_St5arrayIPcLm2EEEEviT0_T1_.has_indirect_call, or(0, .L_ZN2at6native25elementwise_kernel_helperILb0EZZZNS0_12_GLOBAL__N_130modified_bessel_i0_kernel_cudaERNS_18TensorIteratorBaseEENKUlvE_clEvENKUlvE_clEvEUldE_NS0_6memory8policies10vectorizedILi4ESt5arrayIPcLm2EELi4EEEEEvT0_T1_.has_indirect_call, .L_ZN2at6native25elementwise_kernel_helperILb0EZZZNS0_12_GLOBAL__N_130modified_bessel_i0_kernel_cudaERNS_18TensorIteratorBaseEENKUlvE_clEvENKUlvE_clEvEUldE_NS0_6memory8policies11unroll_baseILi256ESt5arrayIPcLm2EE23TrivialOffsetCalculatorILi1EjESF_NS8_15LoadWithoutCastENS8_16StoreWithoutCastELi4ELi1EEEEEvT0_T1_.has_indirect_call)
	.section	.AMDGPU.csdata,"",@progbits
; Kernel info:
; codeLenInByte = 212
; TotalNumSgprs: 35
; NumVgprs: 40
; ScratchSize: 0
; MemoryBound: 0
; FloatMode: 240
; IeeeMode: 1
; LDSByteSize: 0 bytes/workgroup (compile time only)
; SGPRBlocks: 0
; VGPRBlocks: 2
; NumSGPRsForWavesPerEU: 35
; NumVGPRsForWavesPerEU: 40
; NamedBarCnt: 0
; Occupancy: 16
; WaveLimiterHint : 0
; COMPUTE_PGM_RSRC2:SCRATCH_EN: 0
; COMPUTE_PGM_RSRC2:USER_SGPR: 2
; COMPUTE_PGM_RSRC2:TRAP_HANDLER: 0
; COMPUTE_PGM_RSRC2:TGID_X_EN: 1
; COMPUTE_PGM_RSRC2:TGID_Y_EN: 0
; COMPUTE_PGM_RSRC2:TGID_Z_EN: 0
; COMPUTE_PGM_RSRC2:TIDIG_COMP_CNT: 0
	.section	.text._ZN2at6native29vectorized_elementwise_kernelILi2EZZZNS0_12_GLOBAL__N_130modified_bessel_i0_kernel_cudaERNS_18TensorIteratorBaseEENKUlvE_clEvENKUlvE_clEvEUldE_St5arrayIPcLm2EEEEviT0_T1_,"axG",@progbits,_ZN2at6native29vectorized_elementwise_kernelILi2EZZZNS0_12_GLOBAL__N_130modified_bessel_i0_kernel_cudaERNS_18TensorIteratorBaseEENKUlvE_clEvENKUlvE_clEvEUldE_St5arrayIPcLm2EEEEviT0_T1_,comdat
	.globl	_ZN2at6native29vectorized_elementwise_kernelILi2EZZZNS0_12_GLOBAL__N_130modified_bessel_i0_kernel_cudaERNS_18TensorIteratorBaseEENKUlvE_clEvENKUlvE_clEvEUldE_St5arrayIPcLm2EEEEviT0_T1_ ; -- Begin function _ZN2at6native29vectorized_elementwise_kernelILi2EZZZNS0_12_GLOBAL__N_130modified_bessel_i0_kernel_cudaERNS_18TensorIteratorBaseEENKUlvE_clEvENKUlvE_clEvEUldE_St5arrayIPcLm2EEEEviT0_T1_
	.p2align	8
	.type	_ZN2at6native29vectorized_elementwise_kernelILi2EZZZNS0_12_GLOBAL__N_130modified_bessel_i0_kernel_cudaERNS_18TensorIteratorBaseEENKUlvE_clEvENKUlvE_clEvEUldE_St5arrayIPcLm2EEEEviT0_T1_,@function
_ZN2at6native29vectorized_elementwise_kernelILi2EZZZNS0_12_GLOBAL__N_130modified_bessel_i0_kernel_cudaERNS_18TensorIteratorBaseEENKUlvE_clEvENKUlvE_clEvEUldE_St5arrayIPcLm2EEEEviT0_T1_: ; @_ZN2at6native29vectorized_elementwise_kernelILi2EZZZNS0_12_GLOBAL__N_130modified_bessel_i0_kernel_cudaERNS_18TensorIteratorBaseEENKUlvE_clEvENKUlvE_clEvEUldE_St5arrayIPcLm2EEEEviT0_T1_
; %bb.0:
	s_clause 0x1
	s_load_b32 s2, s[0:1], 0x0
	s_load_b128 s[4:7], s[0:1], 0x8
	s_wait_xcnt 0x0
	s_bfe_u32 s0, ttmp6, 0x4000c
	s_and_b32 s1, ttmp6, 15
	s_add_co_i32 s0, s0, 1
	s_getreg_b32 s3, hwreg(HW_REG_IB_STS2, 6, 4)
	s_mul_i32 s0, ttmp9, s0
	s_mov_b32 s32, 0
	s_add_co_i32 s1, s1, s0
	s_cmp_eq_u32 s3, 0
	s_cselect_b32 s0, ttmp9, s1
	s_mov_b32 s1, -1
	s_lshl_b32 s0, s0, 10
	s_wait_kmcnt 0x0
	s_sub_co_i32 s2, s2, s0
	s_delay_alu instid0(SALU_CYCLE_1)
	s_cmp_gt_i32 s2, 0x3ff
	s_cbranch_scc1 .LBB5_3
; %bb.1:
	s_and_b32 vcc_lo, exec_lo, s1
	s_cbranch_vccnz .LBB5_20
.LBB5_2:
	s_sendmsg sendmsg(MSG_DEALLOC_VGPRS)
	s_endpgm
.LBB5_3:
	s_ashr_i32 s1, s0, 31
                                        ; implicit-def: $vgpr6_vgpr7
	s_delay_alu instid0(SALU_CYCLE_1) | instskip(NEXT) | instid1(SALU_CYCLE_1)
	s_lshl_b64 s[0:1], s[0:1], 3
	s_add_nc_u64 s[8:9], s[6:7], s[0:1]
	s_clause 0x1
	global_load_b128 v[8:11], v0, s[8:9] scale_offset
	global_load_b128 v[2:5], v0, s[8:9] offset:4096 scale_offset
	s_wait_loadcnt 0x1
	v_cmp_ge_f64_e64 s3, 0x40200000, |v[8:9]|
	s_wait_xcnt 0x0
	s_and_saveexec_b32 s8, s3
	s_delay_alu instid0(SALU_CYCLE_1)
	s_xor_b32 s3, exec_lo, s8
	s_cbranch_execz .LBB5_5
; %bb.4:
	v_fma_f64 v[6:7], |v[8:9]|, 0.5, -2.0
	s_mov_b64 s[8:9], 0xbc545cb72134d0ef
	s_delay_alu instid0(VALU_DEP_1) | instid1(SALU_CYCLE_1)
	v_fmaak_f64 v[12:13], s[8:9], v[6:7], 0x3c833362977da589
	s_mov_b64 s[8:9], 0x3ff71547652b82fe
	s_delay_alu instid0(SALU_CYCLE_1) | instskip(SKIP_1) | instid1(VALU_DEP_2)
	v_mul_f64_e64 v[16:17], |v[8:9]|, s[8:9]
	s_mov_b64 s[8:9], 0xbfe62e42fefa39ef
	v_fmaak_f64 v[14:15], v[6:7], v[12:13], 0x3c545cb72134d0ef
	s_delay_alu instid0(VALU_DEP_1) | instskip(NEXT) | instid1(VALU_DEP_3)
	v_add_f64_e32 v[14:15], 0xbcb184eb721ebbb4, v[14:15]
	v_rndne_f64_e32 v[16:17], v[16:17]
	s_delay_alu instid0(VALU_DEP_2) | instskip(NEXT) | instid1(VALU_DEP_2)
	v_fma_f64 v[12:13], v[6:7], v[14:15], -v[12:13]
	v_fma_f64 v[18:19], v[16:17], s[8:9], |v[8:9]|
	s_mov_b64 s[8:9], 0x3e5ade156a5dcb37
	v_cvt_i32_f64_e32 v1, v[16:17]
	s_delay_alu instid0(VALU_DEP_3) | instskip(NEXT) | instid1(VALU_DEP_3)
	v_add_f64_e32 v[12:13], 0x3cdee6d893f65eba, v[12:13]
	v_fmamk_f64 v[18:19], v[16:17], 0xbc7abc9e3b39803f, v[18:19]
	s_delay_alu instid0(VALU_DEP_1) | instskip(NEXT) | instid1(VALU_DEP_3)
	v_fmaak_f64 v[20:21], s[8:9], v[18:19], 0x3e928af3fca7ab0c
	v_fma_f64 v[14:15], v[6:7], v[12:13], -v[14:15]
	s_delay_alu instid0(VALU_DEP_2) | instskip(NEXT) | instid1(VALU_DEP_1)
	v_fmaak_f64 v[20:21], v[18:19], v[20:21], 0x3ec71dee623fde64
	v_fmaak_f64 v[20:21], v[18:19], v[20:21], 0x3efa01997c89e6b0
	s_delay_alu instid0(VALU_DEP_1) | instskip(NEXT) | instid1(VALU_DEP_1)
	v_fmaak_f64 v[20:21], v[18:19], v[20:21], 0x3f2a01a014761f6e
	v_fmaak_f64 v[20:21], v[18:19], v[20:21], 0x3f56c16c1852b7b0
	v_add_f64_e32 v[14:15], 0xbd0a5022c297fbeb, v[14:15]
	s_delay_alu instid0(VALU_DEP_1) | instskip(NEXT) | instid1(VALU_DEP_1)
	v_fma_f64 v[12:13], v[6:7], v[14:15], -v[12:13]
	v_add_f64_e32 v[12:13], 0x3d359b464b262627, v[12:13]
	s_delay_alu instid0(VALU_DEP_1) | instskip(NEXT) | instid1(VALU_DEP_1)
	v_fma_f64 v[14:15], v[6:7], v[12:13], -v[14:15]
	;; [unrolled: 3-line block ×24, first 2 shown]
	v_add_f64_e32 v[14:15], 0xbfd37febc057cd8d, v[14:15]
	s_delay_alu instid0(VALU_DEP_1) | instskip(SKIP_1) | instid1(VALU_DEP_1)
	v_fma_f64 v[6:7], v[6:7], v[14:15], -v[12:13]
	v_fmaak_f64 v[14:15], v[18:19], v[20:21], 0x3f81111111122322
	v_fmaak_f64 v[14:15], v[18:19], v[14:15], 0x3fa55555555502a1
	s_delay_alu instid0(VALU_DEP_1) | instskip(NEXT) | instid1(VALU_DEP_1)
	v_fmaak_f64 v[14:15], v[18:19], v[14:15], 0x3fc5555555555511
	v_fmaak_f64 v[14:15], v[18:19], v[14:15], 0x3fe000000000000b
	s_delay_alu instid0(VALU_DEP_1) | instskip(SKIP_1) | instid1(VALU_DEP_2)
	v_fma_f64 v[14:15], v[18:19], v[14:15], 1.0
	v_add_f64_e32 v[6:7], 0x3fe5a84e9035a22a, v[6:7]
	v_fma_f64 v[14:15], v[18:19], v[14:15], 1.0
	s_delay_alu instid0(VALU_DEP_2) | instskip(NEXT) | instid1(VALU_DEP_2)
	v_add_f64_e64 v[6:7], v[6:7], -v[12:13]
	v_ldexp_f64 v[12:13], v[14:15], v1
	s_delay_alu instid0(VALU_DEP_2) | instskip(NEXT) | instid1(VALU_DEP_1)
	v_mul_f64_e32 v[6:7], 0.5, v[6:7]
	v_mul_f64_e32 v[6:7], v[12:13], v[6:7]
.LBB5_5:
	s_and_not1_saveexec_b32 s3, s3
	s_cbranch_execz .LBB5_7
; %bb.6:
	v_and_b32_e32 v7, 0x7fffffff, v9
	v_mov_b32_e32 v6, v8
	v_cmp_gt_f64_e64 s10, 0x10000000, |v[8:9]|
	s_mov_b64 s[8:9], 0xbc60adb754ca8b19
	v_div_scale_f64 v[12:13], null, v[6:7], v[6:7], 0x40400000
	v_div_scale_f64 v[6:7], vcc_lo, 0x40400000, v[6:7], 0x40400000
	v_cndmask_b32_e64 v1, 0, 0x100, s10
	s_delay_alu instid0(VALU_DEP_3) | instskip(SKIP_1) | instid1(TRANS32_DEP_1)
	v_rcp_f64_e32 v[14:15], v[12:13]
	v_nop
	v_fma_f64 v[16:17], -v[12:13], v[14:15], 1.0
	s_delay_alu instid0(VALU_DEP_1) | instskip(NEXT) | instid1(VALU_DEP_1)
	v_fmac_f64_e32 v[14:15], v[14:15], v[16:17]
	v_fma_f64 v[16:17], -v[12:13], v[14:15], 1.0
	s_delay_alu instid0(VALU_DEP_1) | instskip(NEXT) | instid1(VALU_DEP_1)
	v_fmac_f64_e32 v[14:15], v[14:15], v[16:17]
	v_mul_f64_e32 v[16:17], v[6:7], v[14:15]
	s_delay_alu instid0(VALU_DEP_1) | instskip(NEXT) | instid1(VALU_DEP_1)
	v_fma_f64 v[6:7], -v[12:13], v[16:17], v[6:7]
	v_div_fmas_f64 v[6:7], v[6:7], v[14:15], v[16:17]
	v_ldexp_f64 v[16:17], |v[8:9]|, v1
	v_cmp_nlt_f64_e64 vcc_lo, 0x40900000, |v[8:9]|
	s_delay_alu instid0(VALU_DEP_3) | instskip(NEXT) | instid1(VALU_DEP_3)
	v_div_fixup_f64 v[6:7], v[6:7], |v[8:9]|, 0x40400000
	v_rsq_f64_e32 v[20:21], v[16:17]
	s_delay_alu instid0(VALU_DEP_1) | instskip(NEXT) | instid1(TRANS32_DEP_1)
	v_add_f64_e32 v[6:7], -2.0, v[6:7]
	v_mul_f64_e32 v[22:23], v[16:17], v[20:21]
	v_mul_f64_e32 v[20:21], 0.5, v[20:21]
	s_delay_alu instid0(VALU_DEP_3) | instskip(SKIP_1) | instid1(SALU_CYCLE_1)
	v_fmaak_f64 v[12:13], s[8:9], v[6:7], 0xbc5646da66119130
	s_mov_b64 s[8:9], 0x3ff71547652b82fe
	v_mul_f64_e64 v[18:19], |v[8:9]|, s[8:9]
	s_mov_b64 s[8:9], 0xbfe62e42fefa39ef
	s_delay_alu instid0(VALU_DEP_2) | instskip(NEXT) | instid1(VALU_DEP_4)
	v_fmaak_f64 v[14:15], v[6:7], v[12:13], 0x3c60adb754ca8b19
	v_fma_f64 v[26:27], -v[20:21], v[22:23], 0.5
	s_delay_alu instid0(VALU_DEP_2) | instskip(NEXT) | instid1(VALU_DEP_4)
	v_add_f64_e32 v[14:15], 0x3c89be1812d98421, v[14:15]
	v_rndne_f64_e32 v[18:19], v[18:19]
	s_delay_alu instid0(VALU_DEP_3) | instskip(SKIP_1) | instid1(VALU_DEP_4)
	v_fmac_f64_e32 v[22:23], v[22:23], v[26:27]
	v_fmac_f64_e32 v[20:21], v[20:21], v[26:27]
	v_fma_f64 v[12:13], v[6:7], v[14:15], -v[12:13]
	s_delay_alu instid0(VALU_DEP_4) | instskip(SKIP_2) | instid1(VALU_DEP_3)
	v_fma_f64 v[24:25], v[18:19], s[8:9], |v[8:9]|
	s_mov_b64 s[8:9], 0x3e5ade156a5dcb37
	v_cvt_i32_f64_e32 v1, v[18:19]
	v_add_f64_e32 v[12:13], 0x3c83f3dd076041cd, v[12:13]
	s_delay_alu instid0(VALU_DEP_3) | instskip(NEXT) | instid1(VALU_DEP_1)
	v_fmamk_f64 v[24:25], v[18:19], 0xbc7abc9e3b39803f, v[24:25]
	v_fmaak_f64 v[28:29], s[8:9], v[24:25], 0x3e928af3fca7ab0c
	s_delay_alu instid0(VALU_DEP_3) | instskip(NEXT) | instid1(VALU_DEP_2)
	v_fma_f64 v[14:15], v[6:7], v[12:13], -v[14:15]
	v_fmaak_f64 v[28:29], v[24:25], v[28:29], 0x3ec71dee623fde64
	s_delay_alu instid0(VALU_DEP_1) | instskip(NEXT) | instid1(VALU_DEP_1)
	v_fmaak_f64 v[28:29], v[24:25], v[28:29], 0x3efa01997c89e6b0
	v_fmaak_f64 v[28:29], v[24:25], v[28:29], 0x3f2a01a014761f6e
	s_delay_alu instid0(VALU_DEP_1) | instskip(NEXT) | instid1(VALU_DEP_1)
	v_fmaak_f64 v[28:29], v[24:25], v[28:29], 0x3f56c16c1852b7b0
	v_fmaak_f64 v[28:29], v[24:25], v[28:29], 0x3f81111111122322
	v_add_f64_e32 v[14:15], 0xbcb4600babd21fe4, v[14:15]
	s_delay_alu instid0(VALU_DEP_1) | instskip(NEXT) | instid1(VALU_DEP_1)
	v_fma_f64 v[12:13], v[6:7], v[14:15], -v[12:13]
	v_add_f64_e32 v[12:13], 0xbcb8aee7d908de38, v[12:13]
	s_delay_alu instid0(VALU_DEP_1) | instskip(NEXT) | instid1(VALU_DEP_1)
	v_fma_f64 v[14:15], v[6:7], v[12:13], -v[14:15]
	v_add_f64_e32 v[14:15], 0x3cdfee7da3eafb1f, v[14:15]
	s_delay_alu instid0(VALU_DEP_1) | instskip(NEXT) | instid1(VALU_DEP_1)
	v_fma_f64 v[12:13], v[6:7], v[14:15], -v[12:13]
	v_add_f64_e32 v[12:13], 0x3cf12a919094e6d7, v[12:13]
	s_delay_alu instid0(VALU_DEP_1) | instskip(NEXT) | instid1(VALU_DEP_1)
	v_fma_f64 v[14:15], v[6:7], v[12:13], -v[14:15]
	v_add_f64_e32 v[14:15], 0xbd0583fe7e65629a, v[14:15]
	s_delay_alu instid0(VALU_DEP_1) | instskip(NEXT) | instid1(VALU_DEP_1)
	v_fma_f64 v[12:13], v[6:7], v[14:15], -v[12:13]
	v_add_f64_e32 v[12:13], 0xbd275d99cf68bb32, v[12:13]
	s_delay_alu instid0(VALU_DEP_1) | instskip(NEXT) | instid1(VALU_DEP_1)
	v_fma_f64 v[14:15], v[6:7], v[12:13], -v[14:15]
	v_add_f64_e32 v[14:15], 0x3d1156ff0d5fc545, v[14:15]
	s_delay_alu instid0(VALU_DEP_1) | instskip(NEXT) | instid1(VALU_DEP_1)
	v_fma_f64 v[12:13], v[6:7], v[14:15], -v[12:13]
	v_add_f64_e32 v[12:13], 0x3d5b1c8c6b83c073, v[12:13]
	s_delay_alu instid0(VALU_DEP_1) | instskip(NEXT) | instid1(VALU_DEP_1)
	v_fma_f64 v[14:15], v[6:7], v[12:13], -v[14:15]
	v_add_f64_e32 v[14:15], 0x3d694347fa268cec, v[14:15]
	s_delay_alu instid0(VALU_DEP_1) | instskip(NEXT) | instid1(VALU_DEP_1)
	v_fma_f64 v[12:13], v[6:7], v[14:15], -v[12:13]
	v_add_f64_e32 v[12:13], 0xbd7f904303178d66, v[12:13]
	s_delay_alu instid0(VALU_DEP_1) | instskip(NEXT) | instid1(VALU_DEP_1)
	v_fma_f64 v[14:15], v[6:7], v[12:13], -v[14:15]
	v_add_f64_e32 v[14:15], 0xbdad0fd7357e7bf2, v[14:15]
	s_delay_alu instid0(VALU_DEP_1) | instskip(NEXT) | instid1(VALU_DEP_1)
	v_fma_f64 v[12:13], v[6:7], v[14:15], -v[12:13]
	v_add_f64_e32 v[12:13], 0xbdc1511d08397425, v[12:13]
	s_delay_alu instid0(VALU_DEP_1) | instskip(NEXT) | instid1(VALU_DEP_1)
	v_fma_f64 v[14:15], v[6:7], v[12:13], -v[14:15]
	v_add_f64_e32 v[14:15], 0x3daa24feabe8004f, v[14:15]
	s_delay_alu instid0(VALU_DEP_1) | instskip(NEXT) | instid1(VALU_DEP_1)
	v_fma_f64 v[12:13], v[6:7], v[14:15], -v[12:13]
	v_add_f64_e32 v[12:13], 0x3e00f9ccc0f46f75, v[12:13]
	s_delay_alu instid0(VALU_DEP_1) | instskip(NEXT) | instid1(VALU_DEP_1)
	v_fma_f64 v[14:15], v[6:7], v[12:13], -v[14:15]
	v_add_f64_e32 v[14:15], 0x3e2d2c64a9225b87, v[14:15]
	s_delay_alu instid0(VALU_DEP_1) | instskip(NEXT) | instid1(VALU_DEP_1)
	v_fma_f64 v[12:13], v[6:7], v[14:15], -v[12:13]
	v_add_f64_e32 v[12:13], 0x3e58569280d6d56d, v[12:13]
	s_delay_alu instid0(VALU_DEP_1) | instskip(NEXT) | instid1(VALU_DEP_1)
	v_fma_f64 v[14:15], v[6:7], v[12:13], -v[14:15]
	v_add_f64_e32 v[14:15], 0x3e8b8007d9cd616e, v[14:15]
	s_delay_alu instid0(VALU_DEP_1) | instskip(NEXT) | instid1(VALU_DEP_1)
	v_fma_f64 v[12:13], v[6:7], v[14:15], -v[12:13]
	v_add_f64_e32 v[12:13], 0x3ec8412bc101c586, v[12:13]
	s_delay_alu instid0(VALU_DEP_1) | instskip(NEXT) | instid1(VALU_DEP_1)
	v_fma_f64 v[14:15], v[6:7], v[12:13], -v[14:15]
	v_add_f64_e32 v[14:15], 0x3f120fa378999e52, v[14:15]
	s_delay_alu instid0(VALU_DEP_1) | instskip(NEXT) | instid1(VALU_DEP_1)
	v_fma_f64 v[12:13], v[6:7], v[14:15], -v[12:13]
	v_add_f64_e32 v[12:13], 0x3f6b998ca2e59049, v[12:13]
	s_delay_alu instid0(VALU_DEP_1) | instskip(SKIP_1) | instid1(VALU_DEP_1)
	v_fma_f64 v[6:7], v[6:7], v[12:13], -v[14:15]
	v_fmaak_f64 v[12:13], v[24:25], v[28:29], 0x3fa55555555502a1
	v_fmaak_f64 v[12:13], v[24:25], v[12:13], 0x3fc5555555555511
	s_delay_alu instid0(VALU_DEP_1) | instskip(NEXT) | instid1(VALU_DEP_1)
	v_fmaak_f64 v[12:13], v[24:25], v[12:13], 0x3fe000000000000b
	v_fma_f64 v[12:13], v[24:25], v[12:13], 1.0
	v_add_f64_e32 v[6:7], 0x3fe9be62aca809cb, v[6:7]
	s_delay_alu instid0(VALU_DEP_2) | instskip(NEXT) | instid1(VALU_DEP_2)
	v_fma_f64 v[12:13], v[24:25], v[12:13], 1.0
	v_add_f64_e64 v[6:7], v[6:7], -v[14:15]
	s_delay_alu instid0(VALU_DEP_2) | instskip(SKIP_1) | instid1(VALU_DEP_3)
	v_ldexp_f64 v[12:13], v[12:13], v1
	v_cndmask_b32_e64 v1, 0, 0xffffff80, s10
	v_mul_f64_e32 v[6:7], 0.5, v[6:7]
	s_delay_alu instid0(VALU_DEP_3) | instskip(NEXT) | instid1(VALU_DEP_4)
	v_cndmask_b32_e32 v9, 0x7ff00000, v13, vcc_lo
	v_cndmask_b32_e32 v8, 0, v12, vcc_lo
	v_cmp_class_f64_e64 vcc_lo, v[16:17], 0x260
	v_fma_f64 v[26:27], -v[22:23], v[22:23], v[16:17]
	s_delay_alu instid0(VALU_DEP_3) | instskip(NEXT) | instid1(VALU_DEP_2)
	v_mul_f64_e32 v[6:7], v[8:9], v[6:7]
	v_fmac_f64_e32 v[22:23], v[26:27], v[20:21]
	s_delay_alu instid0(VALU_DEP_1) | instskip(NEXT) | instid1(VALU_DEP_1)
	v_fma_f64 v[18:19], -v[22:23], v[22:23], v[16:17]
	v_fmac_f64_e32 v[22:23], v[18:19], v[20:21]
	s_delay_alu instid0(VALU_DEP_1) | instskip(NEXT) | instid1(VALU_DEP_1)
	v_ldexp_f64 v[12:13], v[22:23], v1
	v_dual_cndmask_b32 v9, v13, v17 :: v_dual_cndmask_b32 v8, v12, v16
	s_delay_alu instid0(VALU_DEP_1) | instskip(NEXT) | instid1(VALU_DEP_1)
	v_div_scale_f64 v[12:13], null, v[8:9], v[8:9], v[6:7]
	v_rcp_f64_e32 v[14:15], v[12:13]
	v_nop
	s_delay_alu instid0(TRANS32_DEP_1) | instskip(NEXT) | instid1(VALU_DEP_1)
	v_fma_f64 v[16:17], -v[12:13], v[14:15], 1.0
	v_fmac_f64_e32 v[14:15], v[14:15], v[16:17]
	s_delay_alu instid0(VALU_DEP_1) | instskip(NEXT) | instid1(VALU_DEP_1)
	v_fma_f64 v[16:17], -v[12:13], v[14:15], 1.0
	v_fmac_f64_e32 v[14:15], v[14:15], v[16:17]
	v_div_scale_f64 v[16:17], vcc_lo, v[6:7], v[8:9], v[6:7]
	s_delay_alu instid0(VALU_DEP_1) | instskip(NEXT) | instid1(VALU_DEP_1)
	v_mul_f64_e32 v[18:19], v[16:17], v[14:15]
	v_fma_f64 v[12:13], -v[12:13], v[18:19], v[16:17]
	s_delay_alu instid0(VALU_DEP_1) | instskip(NEXT) | instid1(VALU_DEP_1)
	v_div_fmas_f64 v[12:13], v[12:13], v[14:15], v[18:19]
	v_div_fixup_f64 v[6:7], v[12:13], v[8:9], v[6:7]
.LBB5_7:
	s_or_b32 exec_lo, exec_lo, s3
	v_cmp_ge_f64_e64 s3, 0x40200000, |v[10:11]|
	s_and_saveexec_b32 s8, s3
	s_delay_alu instid0(SALU_CYCLE_1)
	s_xor_b32 s3, exec_lo, s8
	s_cbranch_execz .LBB5_9
; %bb.8:
	v_fma_f64 v[8:9], |v[10:11]|, 0.5, -2.0
	s_mov_b64 s[8:9], 0xbc545cb72134d0ef
	s_delay_alu instid0(VALU_DEP_1) | instid1(SALU_CYCLE_1)
	v_fmaak_f64 v[12:13], s[8:9], v[8:9], 0x3c833362977da589
	s_mov_b64 s[8:9], 0x3ff71547652b82fe
	s_delay_alu instid0(SALU_CYCLE_1) | instskip(SKIP_1) | instid1(VALU_DEP_2)
	v_mul_f64_e64 v[16:17], |v[10:11]|, s[8:9]
	s_mov_b64 s[8:9], 0xbfe62e42fefa39ef
	v_fmaak_f64 v[14:15], v[8:9], v[12:13], 0x3c545cb72134d0ef
	s_delay_alu instid0(VALU_DEP_1) | instskip(NEXT) | instid1(VALU_DEP_3)
	v_add_f64_e32 v[14:15], 0xbcb184eb721ebbb4, v[14:15]
	v_rndne_f64_e32 v[16:17], v[16:17]
	s_delay_alu instid0(VALU_DEP_2) | instskip(NEXT) | instid1(VALU_DEP_2)
	v_fma_f64 v[12:13], v[8:9], v[14:15], -v[12:13]
	v_fma_f64 v[10:11], v[16:17], s[8:9], |v[10:11]|
	s_mov_b64 s[8:9], 0x3e5ade156a5dcb37
	v_cvt_i32_f64_e32 v1, v[16:17]
	s_delay_alu instid0(VALU_DEP_3) | instskip(NEXT) | instid1(VALU_DEP_3)
	v_add_f64_e32 v[12:13], 0x3cdee6d893f65eba, v[12:13]
	v_fmamk_f64 v[10:11], v[16:17], 0xbc7abc9e3b39803f, v[10:11]
	s_delay_alu instid0(VALU_DEP_1) | instskip(NEXT) | instid1(VALU_DEP_3)
	v_fmaak_f64 v[18:19], s[8:9], v[10:11], 0x3e928af3fca7ab0c
	v_fma_f64 v[14:15], v[8:9], v[12:13], -v[14:15]
	s_delay_alu instid0(VALU_DEP_2) | instskip(NEXT) | instid1(VALU_DEP_1)
	v_fmaak_f64 v[18:19], v[10:11], v[18:19], 0x3ec71dee623fde64
	v_fmaak_f64 v[18:19], v[10:11], v[18:19], 0x3efa01997c89e6b0
	s_delay_alu instid0(VALU_DEP_1) | instskip(NEXT) | instid1(VALU_DEP_1)
	v_fmaak_f64 v[18:19], v[10:11], v[18:19], 0x3f2a01a014761f6e
	v_fmaak_f64 v[18:19], v[10:11], v[18:19], 0x3f56c16c1852b7b0
	v_add_f64_e32 v[14:15], 0xbd0a5022c297fbeb, v[14:15]
	s_delay_alu instid0(VALU_DEP_1) | instskip(NEXT) | instid1(VALU_DEP_1)
	v_fma_f64 v[12:13], v[8:9], v[14:15], -v[12:13]
	v_add_f64_e32 v[12:13], 0x3d359b464b262627, v[12:13]
	s_delay_alu instid0(VALU_DEP_1) | instskip(NEXT) | instid1(VALU_DEP_1)
	v_fma_f64 v[14:15], v[8:9], v[12:13], -v[14:15]
	;; [unrolled: 3-line block ×24, first 2 shown]
	v_add_f64_e32 v[14:15], 0xbfd37febc057cd8d, v[14:15]
	s_delay_alu instid0(VALU_DEP_1) | instskip(SKIP_1) | instid1(VALU_DEP_1)
	v_fma_f64 v[8:9], v[8:9], v[14:15], -v[12:13]
	v_fmaak_f64 v[14:15], v[10:11], v[18:19], 0x3f81111111122322
	v_fmaak_f64 v[14:15], v[10:11], v[14:15], 0x3fa55555555502a1
	s_delay_alu instid0(VALU_DEP_1) | instskip(NEXT) | instid1(VALU_DEP_1)
	v_fmaak_f64 v[14:15], v[10:11], v[14:15], 0x3fc5555555555511
	v_fmaak_f64 v[14:15], v[10:11], v[14:15], 0x3fe000000000000b
	s_delay_alu instid0(VALU_DEP_1) | instskip(SKIP_1) | instid1(VALU_DEP_2)
	v_fma_f64 v[14:15], v[10:11], v[14:15], 1.0
	v_add_f64_e32 v[8:9], 0x3fe5a84e9035a22a, v[8:9]
	v_fma_f64 v[10:11], v[10:11], v[14:15], 1.0
	s_delay_alu instid0(VALU_DEP_2) | instskip(NEXT) | instid1(VALU_DEP_2)
	v_add_f64_e64 v[8:9], v[8:9], -v[12:13]
	v_ldexp_f64 v[10:11], v[10:11], v1
	s_delay_alu instid0(VALU_DEP_2) | instskip(NEXT) | instid1(VALU_DEP_1)
	v_mul_f64_e32 v[8:9], 0.5, v[8:9]
	v_mul_f64_e32 v[8:9], v[10:11], v[8:9]
                                        ; implicit-def: $vgpr10_vgpr11
.LBB5_9:
	s_and_not1_saveexec_b32 s3, s3
	s_cbranch_execz .LBB5_11
; %bb.10:
	v_and_b32_e32 v9, 0x7fffffff, v11
	v_mov_b32_e32 v8, v10
	s_mov_b64 s[8:9], 0xbc60adb754ca8b19
	v_cmp_gt_f64_e64 s10, 0x10000000, |v[10:11]|
	s_delay_alu instid0(VALU_DEP_2) | instskip(SKIP_1) | instid1(VALU_DEP_3)
	v_div_scale_f64 v[12:13], null, v[8:9], v[8:9], 0x40400000
	v_div_scale_f64 v[8:9], vcc_lo, 0x40400000, v[8:9], 0x40400000
	v_cndmask_b32_e64 v1, 0, 0x100, s10
	s_delay_alu instid0(VALU_DEP_3) | instskip(SKIP_1) | instid1(TRANS32_DEP_1)
	v_rcp_f64_e32 v[14:15], v[12:13]
	v_nop
	v_fma_f64 v[16:17], -v[12:13], v[14:15], 1.0
	s_delay_alu instid0(VALU_DEP_1) | instskip(NEXT) | instid1(VALU_DEP_1)
	v_fmac_f64_e32 v[14:15], v[14:15], v[16:17]
	v_fma_f64 v[16:17], -v[12:13], v[14:15], 1.0
	s_delay_alu instid0(VALU_DEP_1) | instskip(NEXT) | instid1(VALU_DEP_1)
	v_fmac_f64_e32 v[14:15], v[14:15], v[16:17]
	v_mul_f64_e32 v[16:17], v[8:9], v[14:15]
	s_delay_alu instid0(VALU_DEP_1) | instskip(NEXT) | instid1(VALU_DEP_1)
	v_fma_f64 v[8:9], -v[12:13], v[16:17], v[8:9]
	v_div_fmas_f64 v[8:9], v[8:9], v[14:15], v[16:17]
	v_ldexp_f64 v[16:17], |v[10:11]|, v1
	v_cmp_nlt_f64_e64 vcc_lo, 0x40900000, |v[10:11]|
	s_delay_alu instid0(VALU_DEP_3) | instskip(NEXT) | instid1(VALU_DEP_3)
	v_div_fixup_f64 v[8:9], v[8:9], |v[10:11]|, 0x40400000
	v_rsq_f64_e32 v[20:21], v[16:17]
	s_delay_alu instid0(VALU_DEP_1) | instskip(NEXT) | instid1(TRANS32_DEP_1)
	v_add_f64_e32 v[8:9], -2.0, v[8:9]
	v_mul_f64_e32 v[22:23], v[16:17], v[20:21]
	v_mul_f64_e32 v[20:21], 0.5, v[20:21]
	s_delay_alu instid0(VALU_DEP_3) | instskip(SKIP_1) | instid1(SALU_CYCLE_1)
	v_fmaak_f64 v[12:13], s[8:9], v[8:9], 0xbc5646da66119130
	s_mov_b64 s[8:9], 0x3ff71547652b82fe
	v_mul_f64_e64 v[18:19], |v[10:11]|, s[8:9]
	s_mov_b64 s[8:9], 0xbfe62e42fefa39ef
	s_delay_alu instid0(VALU_DEP_2) | instskip(NEXT) | instid1(VALU_DEP_4)
	v_fmaak_f64 v[14:15], v[8:9], v[12:13], 0x3c60adb754ca8b19
	v_fma_f64 v[26:27], -v[20:21], v[22:23], 0.5
	s_delay_alu instid0(VALU_DEP_2) | instskip(NEXT) | instid1(VALU_DEP_4)
	v_add_f64_e32 v[14:15], 0x3c89be1812d98421, v[14:15]
	v_rndne_f64_e32 v[18:19], v[18:19]
	s_delay_alu instid0(VALU_DEP_3) | instskip(SKIP_1) | instid1(VALU_DEP_4)
	v_fmac_f64_e32 v[22:23], v[22:23], v[26:27]
	v_fmac_f64_e32 v[20:21], v[20:21], v[26:27]
	v_fma_f64 v[12:13], v[8:9], v[14:15], -v[12:13]
	s_delay_alu instid0(VALU_DEP_4) | instskip(SKIP_2) | instid1(VALU_DEP_3)
	v_fma_f64 v[24:25], v[18:19], s[8:9], |v[10:11]|
	s_mov_b64 s[8:9], 0x3e5ade156a5dcb37
	v_cvt_i32_f64_e32 v1, v[18:19]
	v_add_f64_e32 v[12:13], 0x3c83f3dd076041cd, v[12:13]
	s_delay_alu instid0(VALU_DEP_3) | instskip(NEXT) | instid1(VALU_DEP_1)
	v_fmamk_f64 v[24:25], v[18:19], 0xbc7abc9e3b39803f, v[24:25]
	v_fmaak_f64 v[28:29], s[8:9], v[24:25], 0x3e928af3fca7ab0c
	s_delay_alu instid0(VALU_DEP_3) | instskip(NEXT) | instid1(VALU_DEP_2)
	v_fma_f64 v[14:15], v[8:9], v[12:13], -v[14:15]
	v_fmaak_f64 v[28:29], v[24:25], v[28:29], 0x3ec71dee623fde64
	s_delay_alu instid0(VALU_DEP_1) | instskip(NEXT) | instid1(VALU_DEP_1)
	v_fmaak_f64 v[28:29], v[24:25], v[28:29], 0x3efa01997c89e6b0
	v_fmaak_f64 v[28:29], v[24:25], v[28:29], 0x3f2a01a014761f6e
	s_delay_alu instid0(VALU_DEP_1) | instskip(NEXT) | instid1(VALU_DEP_1)
	v_fmaak_f64 v[28:29], v[24:25], v[28:29], 0x3f56c16c1852b7b0
	v_fmaak_f64 v[28:29], v[24:25], v[28:29], 0x3f81111111122322
	v_add_f64_e32 v[14:15], 0xbcb4600babd21fe4, v[14:15]
	s_delay_alu instid0(VALU_DEP_1) | instskip(NEXT) | instid1(VALU_DEP_1)
	v_fma_f64 v[12:13], v[8:9], v[14:15], -v[12:13]
	v_add_f64_e32 v[12:13], 0xbcb8aee7d908de38, v[12:13]
	s_delay_alu instid0(VALU_DEP_1) | instskip(NEXT) | instid1(VALU_DEP_1)
	v_fma_f64 v[14:15], v[8:9], v[12:13], -v[14:15]
	;; [unrolled: 3-line block ×19, first 2 shown]
	v_add_f64_e32 v[12:13], 0x3f6b998ca2e59049, v[12:13]
	s_delay_alu instid0(VALU_DEP_1) | instskip(SKIP_1) | instid1(VALU_DEP_1)
	v_fma_f64 v[8:9], v[8:9], v[12:13], -v[14:15]
	v_fmaak_f64 v[12:13], v[24:25], v[28:29], 0x3fa55555555502a1
	v_fmaak_f64 v[12:13], v[24:25], v[12:13], 0x3fc5555555555511
	s_delay_alu instid0(VALU_DEP_1) | instskip(NEXT) | instid1(VALU_DEP_1)
	v_fmaak_f64 v[12:13], v[24:25], v[12:13], 0x3fe000000000000b
	v_fma_f64 v[12:13], v[24:25], v[12:13], 1.0
	v_add_f64_e32 v[8:9], 0x3fe9be62aca809cb, v[8:9]
	s_delay_alu instid0(VALU_DEP_2) | instskip(NEXT) | instid1(VALU_DEP_2)
	v_fma_f64 v[12:13], v[24:25], v[12:13], 1.0
	v_add_f64_e64 v[8:9], v[8:9], -v[14:15]
	s_delay_alu instid0(VALU_DEP_2) | instskip(SKIP_1) | instid1(VALU_DEP_3)
	v_ldexp_f64 v[12:13], v[12:13], v1
	v_cndmask_b32_e64 v1, 0, 0xffffff80, s10
	v_mul_f64_e32 v[8:9], 0.5, v[8:9]
	s_delay_alu instid0(VALU_DEP_3) | instskip(NEXT) | instid1(VALU_DEP_4)
	v_cndmask_b32_e32 v11, 0x7ff00000, v13, vcc_lo
	v_cndmask_b32_e32 v10, 0, v12, vcc_lo
	v_cmp_class_f64_e64 vcc_lo, v[16:17], 0x260
	v_fma_f64 v[26:27], -v[22:23], v[22:23], v[16:17]
	s_delay_alu instid0(VALU_DEP_3) | instskip(NEXT) | instid1(VALU_DEP_2)
	v_mul_f64_e32 v[8:9], v[10:11], v[8:9]
	v_fmac_f64_e32 v[22:23], v[26:27], v[20:21]
	s_delay_alu instid0(VALU_DEP_1) | instskip(NEXT) | instid1(VALU_DEP_1)
	v_fma_f64 v[18:19], -v[22:23], v[22:23], v[16:17]
	v_fmac_f64_e32 v[22:23], v[18:19], v[20:21]
	s_delay_alu instid0(VALU_DEP_1) | instskip(NEXT) | instid1(VALU_DEP_1)
	v_ldexp_f64 v[12:13], v[22:23], v1
	v_dual_cndmask_b32 v11, v13, v17 :: v_dual_cndmask_b32 v10, v12, v16
	s_delay_alu instid0(VALU_DEP_1) | instskip(NEXT) | instid1(VALU_DEP_1)
	v_div_scale_f64 v[12:13], null, v[10:11], v[10:11], v[8:9]
	v_rcp_f64_e32 v[14:15], v[12:13]
	v_nop
	s_delay_alu instid0(TRANS32_DEP_1) | instskip(NEXT) | instid1(VALU_DEP_1)
	v_fma_f64 v[16:17], -v[12:13], v[14:15], 1.0
	v_fmac_f64_e32 v[14:15], v[14:15], v[16:17]
	s_delay_alu instid0(VALU_DEP_1) | instskip(NEXT) | instid1(VALU_DEP_1)
	v_fma_f64 v[16:17], -v[12:13], v[14:15], 1.0
	v_fmac_f64_e32 v[14:15], v[14:15], v[16:17]
	v_div_scale_f64 v[16:17], vcc_lo, v[8:9], v[10:11], v[8:9]
	s_delay_alu instid0(VALU_DEP_1) | instskip(NEXT) | instid1(VALU_DEP_1)
	v_mul_f64_e32 v[18:19], v[16:17], v[14:15]
	v_fma_f64 v[12:13], -v[12:13], v[18:19], v[16:17]
	s_delay_alu instid0(VALU_DEP_1) | instskip(NEXT) | instid1(VALU_DEP_1)
	v_div_fmas_f64 v[12:13], v[12:13], v[14:15], v[18:19]
	v_div_fixup_f64 v[8:9], v[12:13], v[10:11], v[8:9]
.LBB5_11:
	s_or_b32 exec_lo, exec_lo, s3
	s_wait_loadcnt 0x0
	v_cmp_ge_f64_e64 s3, 0x40200000, |v[2:3]|
                                        ; implicit-def: $vgpr10_vgpr11
	s_and_saveexec_b32 s8, s3
	s_delay_alu instid0(SALU_CYCLE_1)
	s_xor_b32 s3, exec_lo, s8
	s_cbranch_execz .LBB5_13
; %bb.12:
	v_fma_f64 v[10:11], |v[2:3]|, 0.5, -2.0
	s_mov_b64 s[8:9], 0xbc545cb72134d0ef
	s_delay_alu instid0(VALU_DEP_1) | instid1(SALU_CYCLE_1)
	v_fmaak_f64 v[12:13], s[8:9], v[10:11], 0x3c833362977da589
	s_mov_b64 s[8:9], 0x3ff71547652b82fe
	s_delay_alu instid0(SALU_CYCLE_1) | instskip(SKIP_1) | instid1(VALU_DEP_2)
	v_mul_f64_e64 v[16:17], |v[2:3]|, s[8:9]
	s_mov_b64 s[8:9], 0xbfe62e42fefa39ef
	v_fmaak_f64 v[14:15], v[10:11], v[12:13], 0x3c545cb72134d0ef
	s_delay_alu instid0(VALU_DEP_1) | instskip(NEXT) | instid1(VALU_DEP_3)
	v_add_f64_e32 v[14:15], 0xbcb184eb721ebbb4, v[14:15]
	v_rndne_f64_e32 v[16:17], v[16:17]
	s_delay_alu instid0(VALU_DEP_2) | instskip(NEXT) | instid1(VALU_DEP_2)
	v_fma_f64 v[12:13], v[10:11], v[14:15], -v[12:13]
	v_fma_f64 v[18:19], v[16:17], s[8:9], |v[2:3]|
	s_mov_b64 s[8:9], 0x3e5ade156a5dcb37
	v_cvt_i32_f64_e32 v1, v[16:17]
	s_delay_alu instid0(VALU_DEP_3) | instskip(NEXT) | instid1(VALU_DEP_3)
	v_add_f64_e32 v[12:13], 0x3cdee6d893f65eba, v[12:13]
	v_fmamk_f64 v[18:19], v[16:17], 0xbc7abc9e3b39803f, v[18:19]
	s_delay_alu instid0(VALU_DEP_1) | instskip(NEXT) | instid1(VALU_DEP_3)
	v_fmaak_f64 v[20:21], s[8:9], v[18:19], 0x3e928af3fca7ab0c
	v_fma_f64 v[14:15], v[10:11], v[12:13], -v[14:15]
	s_delay_alu instid0(VALU_DEP_2) | instskip(NEXT) | instid1(VALU_DEP_1)
	v_fmaak_f64 v[20:21], v[18:19], v[20:21], 0x3ec71dee623fde64
	v_fmaak_f64 v[20:21], v[18:19], v[20:21], 0x3efa01997c89e6b0
	s_delay_alu instid0(VALU_DEP_1) | instskip(NEXT) | instid1(VALU_DEP_1)
	v_fmaak_f64 v[20:21], v[18:19], v[20:21], 0x3f2a01a014761f6e
	v_fmaak_f64 v[20:21], v[18:19], v[20:21], 0x3f56c16c1852b7b0
	v_add_f64_e32 v[14:15], 0xbd0a5022c297fbeb, v[14:15]
	s_delay_alu instid0(VALU_DEP_1) | instskip(NEXT) | instid1(VALU_DEP_1)
	v_fma_f64 v[12:13], v[10:11], v[14:15], -v[12:13]
	v_add_f64_e32 v[12:13], 0x3d359b464b262627, v[12:13]
	s_delay_alu instid0(VALU_DEP_1) | instskip(NEXT) | instid1(VALU_DEP_1)
	v_fma_f64 v[14:15], v[10:11], v[12:13], -v[14:15]
	v_add_f64_e32 v[14:15], 0xbd61164c62ee1af0, v[14:15]
	s_delay_alu instid0(VALU_DEP_1) | instskip(NEXT) | instid1(VALU_DEP_1)
	v_fma_f64 v[12:13], v[10:11], v[14:15], -v[12:13]
	v_add_f64_e32 v[12:13], 0x3d89fe2fe19bd324, v[12:13]
	s_delay_alu instid0(VALU_DEP_1) | instskip(NEXT) | instid1(VALU_DEP_1)
	v_fma_f64 v[14:15], v[10:11], v[12:13], -v[14:15]
	v_add_f64_e32 v[14:15], 0xbdb2fc957a946abc, v[14:15]
	s_delay_alu instid0(VALU_DEP_1) | instskip(NEXT) | instid1(VALU_DEP_1)
	v_fma_f64 v[12:13], v[10:11], v[14:15], -v[12:13]
	v_add_f64_e32 v[12:13], 0x3dda98becc743c10, v[12:13]
	s_delay_alu instid0(VALU_DEP_1) | instskip(NEXT) | instid1(VALU_DEP_1)
	v_fma_f64 v[14:15], v[10:11], v[12:13], -v[14:15]
	v_add_f64_e32 v[14:15], 0xbe01d4fe13ae9556, v[14:15]
	s_delay_alu instid0(VALU_DEP_1) | instskip(NEXT) | instid1(VALU_DEP_1)
	v_fma_f64 v[12:13], v[10:11], v[14:15], -v[12:13]
	v_add_f64_e32 v[12:13], 0x3e26d903a454cb34, v[12:13]
	s_delay_alu instid0(VALU_DEP_1) | instskip(NEXT) | instid1(VALU_DEP_1)
	v_fma_f64 v[14:15], v[10:11], v[12:13], -v[14:15]
	v_add_f64_e32 v[14:15], 0xbe4beaf68c0b30ab, v[14:15]
	s_delay_alu instid0(VALU_DEP_1) | instskip(NEXT) | instid1(VALU_DEP_1)
	v_fma_f64 v[12:13], v[10:11], v[14:15], -v[12:13]
	v_add_f64_e32 v[12:13], 0x3e703b769d4d6435, v[12:13]
	s_delay_alu instid0(VALU_DEP_1) | instskip(NEXT) | instid1(VALU_DEP_1)
	v_fma_f64 v[14:15], v[10:11], v[12:13], -v[14:15]
	v_add_f64_e32 v[14:15], 0xbe91ec638f227f8d, v[14:15]
	s_delay_alu instid0(VALU_DEP_1) | instskip(NEXT) | instid1(VALU_DEP_1)
	v_fma_f64 v[12:13], v[10:11], v[14:15], -v[12:13]
	v_add_f64_e32 v[12:13], 0x3eb2bf24978cf4ac, v[12:13]
	s_delay_alu instid0(VALU_DEP_1) | instskip(NEXT) | instid1(VALU_DEP_1)
	v_fma_f64 v[14:15], v[10:11], v[12:13], -v[14:15]
	v_add_f64_e32 v[14:15], 0xbed2866fcba56427, v[14:15]
	s_delay_alu instid0(VALU_DEP_1) | instskip(NEXT) | instid1(VALU_DEP_1)
	v_fma_f64 v[12:13], v[10:11], v[14:15], -v[12:13]
	v_add_f64_e32 v[12:13], 0x3ef13f58be9a2859, v[12:13]
	s_delay_alu instid0(VALU_DEP_1) | instskip(NEXT) | instid1(VALU_DEP_1)
	v_fma_f64 v[14:15], v[10:11], v[12:13], -v[14:15]
	v_add_f64_e32 v[14:15], 0xbf0e2b2659c41d5a, v[14:15]
	s_delay_alu instid0(VALU_DEP_1) | instskip(NEXT) | instid1(VALU_DEP_1)
	v_fma_f64 v[12:13], v[10:11], v[14:15], -v[12:13]
	v_add_f64_e32 v[12:13], 0x3f28b51b74107cab, v[12:13]
	s_delay_alu instid0(VALU_DEP_1) | instskip(NEXT) | instid1(VALU_DEP_1)
	v_fma_f64 v[14:15], v[10:11], v[12:13], -v[14:15]
	v_add_f64_e32 v[14:15], 0xbf42e2fd1f15eb52, v[14:15]
	s_delay_alu instid0(VALU_DEP_1) | instskip(NEXT) | instid1(VALU_DEP_1)
	v_fma_f64 v[12:13], v[10:11], v[14:15], -v[12:13]
	v_add_f64_e32 v[12:13], 0x3f5adc758a12100e, v[12:13]
	s_delay_alu instid0(VALU_DEP_1) | instskip(NEXT) | instid1(VALU_DEP_1)
	v_fma_f64 v[14:15], v[10:11], v[12:13], -v[14:15]
	v_add_f64_e32 v[14:15], 0xbf71b65e201aa849, v[14:15]
	s_delay_alu instid0(VALU_DEP_1) | instskip(NEXT) | instid1(VALU_DEP_1)
	v_fma_f64 v[12:13], v[10:11], v[14:15], -v[12:13]
	v_add_f64_e32 v[12:13], 0x3f859961f3dde3dd, v[12:13]
	s_delay_alu instid0(VALU_DEP_1) | instskip(NEXT) | instid1(VALU_DEP_1)
	v_fma_f64 v[14:15], v[10:11], v[12:13], -v[14:15]
	v_add_f64_e32 v[14:15], 0xbf984e9ef121b6f0, v[14:15]
	s_delay_alu instid0(VALU_DEP_1) | instskip(NEXT) | instid1(VALU_DEP_1)
	v_fma_f64 v[12:13], v[10:11], v[14:15], -v[12:13]
	v_add_f64_e32 v[12:13], 0x3fa93e8acea8a32d, v[12:13]
	s_delay_alu instid0(VALU_DEP_1) | instskip(NEXT) | instid1(VALU_DEP_1)
	v_fma_f64 v[14:15], v[10:11], v[12:13], -v[14:15]
	v_add_f64_e32 v[14:15], 0xbfb84b70342d06ea, v[14:15]
	s_delay_alu instid0(VALU_DEP_1) | instskip(NEXT) | instid1(VALU_DEP_1)
	v_fma_f64 v[12:13], v[10:11], v[14:15], -v[12:13]
	v_add_f64_e32 v[12:13], 0x3fc5f7ac77ac88c0, v[12:13]
	s_delay_alu instid0(VALU_DEP_1) | instskip(NEXT) | instid1(VALU_DEP_1)
	v_fma_f64 v[14:15], v[10:11], v[12:13], -v[14:15]
	v_add_f64_e32 v[14:15], 0xbfd37febc057cd8d, v[14:15]
	s_delay_alu instid0(VALU_DEP_1) | instskip(SKIP_1) | instid1(VALU_DEP_1)
	v_fma_f64 v[10:11], v[10:11], v[14:15], -v[12:13]
	v_fmaak_f64 v[14:15], v[18:19], v[20:21], 0x3f81111111122322
	v_fmaak_f64 v[14:15], v[18:19], v[14:15], 0x3fa55555555502a1
	s_delay_alu instid0(VALU_DEP_1) | instskip(NEXT) | instid1(VALU_DEP_1)
	v_fmaak_f64 v[14:15], v[18:19], v[14:15], 0x3fc5555555555511
	v_fmaak_f64 v[14:15], v[18:19], v[14:15], 0x3fe000000000000b
	s_delay_alu instid0(VALU_DEP_1) | instskip(SKIP_1) | instid1(VALU_DEP_2)
	v_fma_f64 v[14:15], v[18:19], v[14:15], 1.0
	v_add_f64_e32 v[10:11], 0x3fe5a84e9035a22a, v[10:11]
	v_fma_f64 v[14:15], v[18:19], v[14:15], 1.0
	s_delay_alu instid0(VALU_DEP_2) | instskip(NEXT) | instid1(VALU_DEP_2)
	v_add_f64_e64 v[10:11], v[10:11], -v[12:13]
	v_ldexp_f64 v[12:13], v[14:15], v1
	s_delay_alu instid0(VALU_DEP_2) | instskip(NEXT) | instid1(VALU_DEP_1)
	v_mul_f64_e32 v[10:11], 0.5, v[10:11]
	v_mul_f64_e32 v[10:11], v[12:13], v[10:11]
.LBB5_13:
	s_and_not1_saveexec_b32 s3, s3
	s_cbranch_execz .LBB5_15
; %bb.14:
	v_and_b32_e32 v11, 0x7fffffff, v3
	v_mov_b32_e32 v10, v2
	s_mov_b64 s[8:9], 0xbc60adb754ca8b19
	v_cmp_gt_f64_e64 s10, 0x10000000, |v[2:3]|
	s_delay_alu instid0(VALU_DEP_2) | instskip(SKIP_1) | instid1(VALU_DEP_3)
	v_div_scale_f64 v[12:13], null, v[10:11], v[10:11], 0x40400000
	v_div_scale_f64 v[10:11], vcc_lo, 0x40400000, v[10:11], 0x40400000
	v_cndmask_b32_e64 v1, 0, 0x100, s10
	s_delay_alu instid0(VALU_DEP_3) | instskip(SKIP_1) | instid1(TRANS32_DEP_1)
	v_rcp_f64_e32 v[14:15], v[12:13]
	v_nop
	v_fma_f64 v[16:17], -v[12:13], v[14:15], 1.0
	s_delay_alu instid0(VALU_DEP_1) | instskip(NEXT) | instid1(VALU_DEP_1)
	v_fmac_f64_e32 v[14:15], v[14:15], v[16:17]
	v_fma_f64 v[16:17], -v[12:13], v[14:15], 1.0
	s_delay_alu instid0(VALU_DEP_1) | instskip(NEXT) | instid1(VALU_DEP_1)
	v_fmac_f64_e32 v[14:15], v[14:15], v[16:17]
	v_mul_f64_e32 v[16:17], v[10:11], v[14:15]
	s_delay_alu instid0(VALU_DEP_1) | instskip(NEXT) | instid1(VALU_DEP_1)
	v_fma_f64 v[10:11], -v[12:13], v[16:17], v[10:11]
	v_div_fmas_f64 v[10:11], v[10:11], v[14:15], v[16:17]
	v_ldexp_f64 v[16:17], |v[2:3]|, v1
	v_cmp_nlt_f64_e64 vcc_lo, 0x40900000, |v[2:3]|
	s_delay_alu instid0(VALU_DEP_3) | instskip(NEXT) | instid1(VALU_DEP_3)
	v_div_fixup_f64 v[10:11], v[10:11], |v[2:3]|, 0x40400000
	v_rsq_f64_e32 v[20:21], v[16:17]
	s_delay_alu instid0(VALU_DEP_1) | instskip(NEXT) | instid1(TRANS32_DEP_1)
	v_add_f64_e32 v[10:11], -2.0, v[10:11]
	v_mul_f64_e32 v[22:23], v[16:17], v[20:21]
	v_mul_f64_e32 v[20:21], 0.5, v[20:21]
	s_delay_alu instid0(VALU_DEP_3) | instskip(SKIP_1) | instid1(SALU_CYCLE_1)
	v_fmaak_f64 v[12:13], s[8:9], v[10:11], 0xbc5646da66119130
	s_mov_b64 s[8:9], 0x3ff71547652b82fe
	v_mul_f64_e64 v[18:19], |v[2:3]|, s[8:9]
	s_mov_b64 s[8:9], 0xbfe62e42fefa39ef
	s_delay_alu instid0(VALU_DEP_2) | instskip(NEXT) | instid1(VALU_DEP_4)
	v_fmaak_f64 v[14:15], v[10:11], v[12:13], 0x3c60adb754ca8b19
	v_fma_f64 v[26:27], -v[20:21], v[22:23], 0.5
	s_delay_alu instid0(VALU_DEP_2) | instskip(NEXT) | instid1(VALU_DEP_4)
	v_add_f64_e32 v[14:15], 0x3c89be1812d98421, v[14:15]
	v_rndne_f64_e32 v[18:19], v[18:19]
	s_delay_alu instid0(VALU_DEP_3) | instskip(SKIP_1) | instid1(VALU_DEP_4)
	v_fmac_f64_e32 v[22:23], v[22:23], v[26:27]
	v_fmac_f64_e32 v[20:21], v[20:21], v[26:27]
	v_fma_f64 v[12:13], v[10:11], v[14:15], -v[12:13]
	s_delay_alu instid0(VALU_DEP_4) | instskip(SKIP_2) | instid1(VALU_DEP_3)
	v_fma_f64 v[24:25], v[18:19], s[8:9], |v[2:3]|
	s_mov_b64 s[8:9], 0x3e5ade156a5dcb37
	v_cvt_i32_f64_e32 v1, v[18:19]
	v_add_f64_e32 v[12:13], 0x3c83f3dd076041cd, v[12:13]
	s_delay_alu instid0(VALU_DEP_3) | instskip(NEXT) | instid1(VALU_DEP_1)
	v_fmamk_f64 v[24:25], v[18:19], 0xbc7abc9e3b39803f, v[24:25]
	v_fmaak_f64 v[28:29], s[8:9], v[24:25], 0x3e928af3fca7ab0c
	s_delay_alu instid0(VALU_DEP_3) | instskip(NEXT) | instid1(VALU_DEP_2)
	v_fma_f64 v[14:15], v[10:11], v[12:13], -v[14:15]
	v_fmaak_f64 v[28:29], v[24:25], v[28:29], 0x3ec71dee623fde64
	s_delay_alu instid0(VALU_DEP_1) | instskip(NEXT) | instid1(VALU_DEP_1)
	v_fmaak_f64 v[28:29], v[24:25], v[28:29], 0x3efa01997c89e6b0
	v_fmaak_f64 v[28:29], v[24:25], v[28:29], 0x3f2a01a014761f6e
	s_delay_alu instid0(VALU_DEP_1) | instskip(NEXT) | instid1(VALU_DEP_1)
	v_fmaak_f64 v[28:29], v[24:25], v[28:29], 0x3f56c16c1852b7b0
	v_fmaak_f64 v[28:29], v[24:25], v[28:29], 0x3f81111111122322
	v_add_f64_e32 v[14:15], 0xbcb4600babd21fe4, v[14:15]
	s_delay_alu instid0(VALU_DEP_1) | instskip(NEXT) | instid1(VALU_DEP_1)
	v_fma_f64 v[12:13], v[10:11], v[14:15], -v[12:13]
	v_add_f64_e32 v[12:13], 0xbcb8aee7d908de38, v[12:13]
	s_delay_alu instid0(VALU_DEP_1) | instskip(NEXT) | instid1(VALU_DEP_1)
	v_fma_f64 v[14:15], v[10:11], v[12:13], -v[14:15]
	;; [unrolled: 3-line block ×19, first 2 shown]
	v_add_f64_e32 v[12:13], 0x3f6b998ca2e59049, v[12:13]
	s_delay_alu instid0(VALU_DEP_1) | instskip(SKIP_1) | instid1(VALU_DEP_1)
	v_fma_f64 v[10:11], v[10:11], v[12:13], -v[14:15]
	v_fmaak_f64 v[12:13], v[24:25], v[28:29], 0x3fa55555555502a1
	v_fmaak_f64 v[12:13], v[24:25], v[12:13], 0x3fc5555555555511
	s_delay_alu instid0(VALU_DEP_1) | instskip(NEXT) | instid1(VALU_DEP_1)
	v_fmaak_f64 v[12:13], v[24:25], v[12:13], 0x3fe000000000000b
	v_fma_f64 v[12:13], v[24:25], v[12:13], 1.0
	v_add_f64_e32 v[10:11], 0x3fe9be62aca809cb, v[10:11]
	s_delay_alu instid0(VALU_DEP_2) | instskip(NEXT) | instid1(VALU_DEP_2)
	v_fma_f64 v[12:13], v[24:25], v[12:13], 1.0
	v_add_f64_e64 v[10:11], v[10:11], -v[14:15]
	s_delay_alu instid0(VALU_DEP_2) | instskip(SKIP_1) | instid1(VALU_DEP_3)
	v_ldexp_f64 v[12:13], v[12:13], v1
	v_cndmask_b32_e64 v1, 0, 0xffffff80, s10
	v_mul_f64_e32 v[2:3], 0.5, v[10:11]
	s_delay_alu instid0(VALU_DEP_3) | instskip(NEXT) | instid1(VALU_DEP_4)
	v_cndmask_b32_e32 v11, 0x7ff00000, v13, vcc_lo
	v_cndmask_b32_e32 v10, 0, v12, vcc_lo
	v_cmp_class_f64_e64 vcc_lo, v[16:17], 0x260
	v_fma_f64 v[26:27], -v[22:23], v[22:23], v[16:17]
	s_delay_alu instid0(VALU_DEP_3) | instskip(NEXT) | instid1(VALU_DEP_2)
	v_mul_f64_e32 v[2:3], v[10:11], v[2:3]
	v_fmac_f64_e32 v[22:23], v[26:27], v[20:21]
	s_delay_alu instid0(VALU_DEP_1) | instskip(NEXT) | instid1(VALU_DEP_1)
	v_fma_f64 v[18:19], -v[22:23], v[22:23], v[16:17]
	v_fmac_f64_e32 v[22:23], v[18:19], v[20:21]
	s_delay_alu instid0(VALU_DEP_1) | instskip(NEXT) | instid1(VALU_DEP_1)
	v_ldexp_f64 v[12:13], v[22:23], v1
	v_dual_cndmask_b32 v11, v13, v17 :: v_dual_cndmask_b32 v10, v12, v16
	s_delay_alu instid0(VALU_DEP_1) | instskip(NEXT) | instid1(VALU_DEP_1)
	v_div_scale_f64 v[12:13], null, v[10:11], v[10:11], v[2:3]
	v_rcp_f64_e32 v[14:15], v[12:13]
	v_nop
	s_delay_alu instid0(TRANS32_DEP_1) | instskip(NEXT) | instid1(VALU_DEP_1)
	v_fma_f64 v[16:17], -v[12:13], v[14:15], 1.0
	v_fmac_f64_e32 v[14:15], v[14:15], v[16:17]
	s_delay_alu instid0(VALU_DEP_1) | instskip(NEXT) | instid1(VALU_DEP_1)
	v_fma_f64 v[16:17], -v[12:13], v[14:15], 1.0
	v_fmac_f64_e32 v[14:15], v[14:15], v[16:17]
	v_div_scale_f64 v[16:17], vcc_lo, v[2:3], v[10:11], v[2:3]
	s_delay_alu instid0(VALU_DEP_1) | instskip(NEXT) | instid1(VALU_DEP_1)
	v_mul_f64_e32 v[18:19], v[16:17], v[14:15]
	v_fma_f64 v[12:13], -v[12:13], v[18:19], v[16:17]
	s_delay_alu instid0(VALU_DEP_1) | instskip(NEXT) | instid1(VALU_DEP_1)
	v_div_fmas_f64 v[12:13], v[12:13], v[14:15], v[18:19]
	v_div_fixup_f64 v[10:11], v[12:13], v[10:11], v[2:3]
.LBB5_15:
	s_or_b32 exec_lo, exec_lo, s3
	v_cmp_ge_f64_e64 s3, 0x40200000, |v[4:5]|
	s_and_saveexec_b32 s8, s3
	s_delay_alu instid0(SALU_CYCLE_1)
	s_xor_b32 s3, exec_lo, s8
	s_cbranch_execz .LBB5_17
; %bb.16:
	v_fma_f64 v[2:3], |v[4:5]|, 0.5, -2.0
	s_mov_b64 s[8:9], 0xbc545cb72134d0ef
	s_delay_alu instid0(VALU_DEP_1) | instid1(SALU_CYCLE_1)
	v_fmaak_f64 v[12:13], s[8:9], v[2:3], 0x3c833362977da589
	s_mov_b64 s[8:9], 0x3ff71547652b82fe
	s_delay_alu instid0(SALU_CYCLE_1) | instskip(SKIP_1) | instid1(VALU_DEP_2)
	v_mul_f64_e64 v[16:17], |v[4:5]|, s[8:9]
	s_mov_b64 s[8:9], 0xbfe62e42fefa39ef
	v_fmaak_f64 v[14:15], v[2:3], v[12:13], 0x3c545cb72134d0ef
	s_delay_alu instid0(VALU_DEP_1) | instskip(NEXT) | instid1(VALU_DEP_3)
	v_add_f64_e32 v[14:15], 0xbcb184eb721ebbb4, v[14:15]
	v_rndne_f64_e32 v[16:17], v[16:17]
	s_delay_alu instid0(VALU_DEP_2) | instskip(NEXT) | instid1(VALU_DEP_2)
	v_fma_f64 v[12:13], v[2:3], v[14:15], -v[12:13]
	v_fma_f64 v[4:5], v[16:17], s[8:9], |v[4:5]|
	s_mov_b64 s[8:9], 0x3e5ade156a5dcb37
	v_cvt_i32_f64_e32 v1, v[16:17]
	s_delay_alu instid0(VALU_DEP_3) | instskip(NEXT) | instid1(VALU_DEP_3)
	v_add_f64_e32 v[12:13], 0x3cdee6d893f65eba, v[12:13]
	v_fmamk_f64 v[4:5], v[16:17], 0xbc7abc9e3b39803f, v[4:5]
	s_delay_alu instid0(VALU_DEP_1) | instskip(NEXT) | instid1(VALU_DEP_3)
	v_fmaak_f64 v[18:19], s[8:9], v[4:5], 0x3e928af3fca7ab0c
	v_fma_f64 v[14:15], v[2:3], v[12:13], -v[14:15]
	s_delay_alu instid0(VALU_DEP_2) | instskip(NEXT) | instid1(VALU_DEP_1)
	v_fmaak_f64 v[18:19], v[4:5], v[18:19], 0x3ec71dee623fde64
	v_fmaak_f64 v[18:19], v[4:5], v[18:19], 0x3efa01997c89e6b0
	s_delay_alu instid0(VALU_DEP_1) | instskip(NEXT) | instid1(VALU_DEP_1)
	v_fmaak_f64 v[18:19], v[4:5], v[18:19], 0x3f2a01a014761f6e
	v_fmaak_f64 v[18:19], v[4:5], v[18:19], 0x3f56c16c1852b7b0
	v_add_f64_e32 v[14:15], 0xbd0a5022c297fbeb, v[14:15]
	s_delay_alu instid0(VALU_DEP_1) | instskip(NEXT) | instid1(VALU_DEP_1)
	v_fma_f64 v[12:13], v[2:3], v[14:15], -v[12:13]
	v_add_f64_e32 v[12:13], 0x3d359b464b262627, v[12:13]
	s_delay_alu instid0(VALU_DEP_1) | instskip(NEXT) | instid1(VALU_DEP_1)
	v_fma_f64 v[14:15], v[2:3], v[12:13], -v[14:15]
	v_add_f64_e32 v[14:15], 0xbd61164c62ee1af0, v[14:15]
	s_delay_alu instid0(VALU_DEP_1) | instskip(NEXT) | instid1(VALU_DEP_1)
	v_fma_f64 v[12:13], v[2:3], v[14:15], -v[12:13]
	v_add_f64_e32 v[12:13], 0x3d89fe2fe19bd324, v[12:13]
	s_delay_alu instid0(VALU_DEP_1) | instskip(NEXT) | instid1(VALU_DEP_1)
	v_fma_f64 v[14:15], v[2:3], v[12:13], -v[14:15]
	v_add_f64_e32 v[14:15], 0xbdb2fc957a946abc, v[14:15]
	s_delay_alu instid0(VALU_DEP_1) | instskip(NEXT) | instid1(VALU_DEP_1)
	v_fma_f64 v[12:13], v[2:3], v[14:15], -v[12:13]
	v_add_f64_e32 v[12:13], 0x3dda98becc743c10, v[12:13]
	s_delay_alu instid0(VALU_DEP_1) | instskip(NEXT) | instid1(VALU_DEP_1)
	v_fma_f64 v[14:15], v[2:3], v[12:13], -v[14:15]
	v_add_f64_e32 v[14:15], 0xbe01d4fe13ae9556, v[14:15]
	s_delay_alu instid0(VALU_DEP_1) | instskip(NEXT) | instid1(VALU_DEP_1)
	v_fma_f64 v[12:13], v[2:3], v[14:15], -v[12:13]
	v_add_f64_e32 v[12:13], 0x3e26d903a454cb34, v[12:13]
	s_delay_alu instid0(VALU_DEP_1) | instskip(NEXT) | instid1(VALU_DEP_1)
	v_fma_f64 v[14:15], v[2:3], v[12:13], -v[14:15]
	v_add_f64_e32 v[14:15], 0xbe4beaf68c0b30ab, v[14:15]
	s_delay_alu instid0(VALU_DEP_1) | instskip(NEXT) | instid1(VALU_DEP_1)
	v_fma_f64 v[12:13], v[2:3], v[14:15], -v[12:13]
	v_add_f64_e32 v[12:13], 0x3e703b769d4d6435, v[12:13]
	s_delay_alu instid0(VALU_DEP_1) | instskip(NEXT) | instid1(VALU_DEP_1)
	v_fma_f64 v[14:15], v[2:3], v[12:13], -v[14:15]
	v_add_f64_e32 v[14:15], 0xbe91ec638f227f8d, v[14:15]
	s_delay_alu instid0(VALU_DEP_1) | instskip(NEXT) | instid1(VALU_DEP_1)
	v_fma_f64 v[12:13], v[2:3], v[14:15], -v[12:13]
	v_add_f64_e32 v[12:13], 0x3eb2bf24978cf4ac, v[12:13]
	s_delay_alu instid0(VALU_DEP_1) | instskip(NEXT) | instid1(VALU_DEP_1)
	v_fma_f64 v[14:15], v[2:3], v[12:13], -v[14:15]
	v_add_f64_e32 v[14:15], 0xbed2866fcba56427, v[14:15]
	s_delay_alu instid0(VALU_DEP_1) | instskip(NEXT) | instid1(VALU_DEP_1)
	v_fma_f64 v[12:13], v[2:3], v[14:15], -v[12:13]
	v_add_f64_e32 v[12:13], 0x3ef13f58be9a2859, v[12:13]
	s_delay_alu instid0(VALU_DEP_1) | instskip(NEXT) | instid1(VALU_DEP_1)
	v_fma_f64 v[14:15], v[2:3], v[12:13], -v[14:15]
	v_add_f64_e32 v[14:15], 0xbf0e2b2659c41d5a, v[14:15]
	s_delay_alu instid0(VALU_DEP_1) | instskip(NEXT) | instid1(VALU_DEP_1)
	v_fma_f64 v[12:13], v[2:3], v[14:15], -v[12:13]
	v_add_f64_e32 v[12:13], 0x3f28b51b74107cab, v[12:13]
	s_delay_alu instid0(VALU_DEP_1) | instskip(NEXT) | instid1(VALU_DEP_1)
	v_fma_f64 v[14:15], v[2:3], v[12:13], -v[14:15]
	v_add_f64_e32 v[14:15], 0xbf42e2fd1f15eb52, v[14:15]
	s_delay_alu instid0(VALU_DEP_1) | instskip(NEXT) | instid1(VALU_DEP_1)
	v_fma_f64 v[12:13], v[2:3], v[14:15], -v[12:13]
	v_add_f64_e32 v[12:13], 0x3f5adc758a12100e, v[12:13]
	s_delay_alu instid0(VALU_DEP_1) | instskip(NEXT) | instid1(VALU_DEP_1)
	v_fma_f64 v[14:15], v[2:3], v[12:13], -v[14:15]
	v_add_f64_e32 v[14:15], 0xbf71b65e201aa849, v[14:15]
	s_delay_alu instid0(VALU_DEP_1) | instskip(NEXT) | instid1(VALU_DEP_1)
	v_fma_f64 v[12:13], v[2:3], v[14:15], -v[12:13]
	v_add_f64_e32 v[12:13], 0x3f859961f3dde3dd, v[12:13]
	s_delay_alu instid0(VALU_DEP_1) | instskip(NEXT) | instid1(VALU_DEP_1)
	v_fma_f64 v[14:15], v[2:3], v[12:13], -v[14:15]
	v_add_f64_e32 v[14:15], 0xbf984e9ef121b6f0, v[14:15]
	s_delay_alu instid0(VALU_DEP_1) | instskip(NEXT) | instid1(VALU_DEP_1)
	v_fma_f64 v[12:13], v[2:3], v[14:15], -v[12:13]
	v_add_f64_e32 v[12:13], 0x3fa93e8acea8a32d, v[12:13]
	s_delay_alu instid0(VALU_DEP_1) | instskip(NEXT) | instid1(VALU_DEP_1)
	v_fma_f64 v[14:15], v[2:3], v[12:13], -v[14:15]
	v_add_f64_e32 v[14:15], 0xbfb84b70342d06ea, v[14:15]
	s_delay_alu instid0(VALU_DEP_1) | instskip(NEXT) | instid1(VALU_DEP_1)
	v_fma_f64 v[12:13], v[2:3], v[14:15], -v[12:13]
	v_add_f64_e32 v[12:13], 0x3fc5f7ac77ac88c0, v[12:13]
	s_delay_alu instid0(VALU_DEP_1) | instskip(NEXT) | instid1(VALU_DEP_1)
	v_fma_f64 v[14:15], v[2:3], v[12:13], -v[14:15]
	v_add_f64_e32 v[14:15], 0xbfd37febc057cd8d, v[14:15]
	s_delay_alu instid0(VALU_DEP_1) | instskip(SKIP_1) | instid1(VALU_DEP_1)
	v_fma_f64 v[2:3], v[2:3], v[14:15], -v[12:13]
	v_fmaak_f64 v[14:15], v[4:5], v[18:19], 0x3f81111111122322
	v_fmaak_f64 v[14:15], v[4:5], v[14:15], 0x3fa55555555502a1
	s_delay_alu instid0(VALU_DEP_1) | instskip(NEXT) | instid1(VALU_DEP_1)
	v_fmaak_f64 v[14:15], v[4:5], v[14:15], 0x3fc5555555555511
	v_fmaak_f64 v[14:15], v[4:5], v[14:15], 0x3fe000000000000b
	s_delay_alu instid0(VALU_DEP_1) | instskip(SKIP_1) | instid1(VALU_DEP_2)
	v_fma_f64 v[14:15], v[4:5], v[14:15], 1.0
	v_add_f64_e32 v[2:3], 0x3fe5a84e9035a22a, v[2:3]
	v_fma_f64 v[4:5], v[4:5], v[14:15], 1.0
	s_delay_alu instid0(VALU_DEP_2) | instskip(NEXT) | instid1(VALU_DEP_2)
	v_add_f64_e64 v[2:3], v[2:3], -v[12:13]
	v_ldexp_f64 v[4:5], v[4:5], v1
	s_delay_alu instid0(VALU_DEP_2) | instskip(NEXT) | instid1(VALU_DEP_1)
	v_mul_f64_e32 v[2:3], 0.5, v[2:3]
	v_mul_f64_e32 v[12:13], v[4:5], v[2:3]
                                        ; implicit-def: $vgpr4_vgpr5
.LBB5_17:
	s_and_not1_saveexec_b32 s3, s3
	s_cbranch_execz .LBB5_19
; %bb.18:
	v_and_b32_e32 v3, 0x7fffffff, v5
	v_mov_b32_e32 v2, v4
	v_cmp_gt_f64_e64 s10, 0x10000000, |v[4:5]|
	s_mov_b64 s[8:9], 0xbc60adb754ca8b19
	v_div_scale_f64 v[12:13], null, v[2:3], v[2:3], 0x40400000
	v_div_scale_f64 v[2:3], vcc_lo, 0x40400000, v[2:3], 0x40400000
	v_cndmask_b32_e64 v1, 0, 0x100, s10
	s_delay_alu instid0(VALU_DEP_3) | instskip(SKIP_1) | instid1(TRANS32_DEP_1)
	v_rcp_f64_e32 v[14:15], v[12:13]
	v_nop
	v_fma_f64 v[16:17], -v[12:13], v[14:15], 1.0
	s_delay_alu instid0(VALU_DEP_1) | instskip(NEXT) | instid1(VALU_DEP_1)
	v_fmac_f64_e32 v[14:15], v[14:15], v[16:17]
	v_fma_f64 v[16:17], -v[12:13], v[14:15], 1.0
	s_delay_alu instid0(VALU_DEP_1) | instskip(NEXT) | instid1(VALU_DEP_1)
	v_fmac_f64_e32 v[14:15], v[14:15], v[16:17]
	v_mul_f64_e32 v[16:17], v[2:3], v[14:15]
	s_delay_alu instid0(VALU_DEP_1) | instskip(NEXT) | instid1(VALU_DEP_1)
	v_fma_f64 v[2:3], -v[12:13], v[16:17], v[2:3]
	v_div_fmas_f64 v[2:3], v[2:3], v[14:15], v[16:17]
	v_ldexp_f64 v[16:17], |v[4:5]|, v1
	v_cmp_nlt_f64_e64 vcc_lo, 0x40900000, |v[4:5]|
	s_delay_alu instid0(VALU_DEP_3) | instskip(NEXT) | instid1(VALU_DEP_3)
	v_div_fixup_f64 v[2:3], v[2:3], |v[4:5]|, 0x40400000
	v_rsq_f64_e32 v[20:21], v[16:17]
	s_delay_alu instid0(VALU_DEP_1) | instskip(NEXT) | instid1(TRANS32_DEP_1)
	v_add_f64_e32 v[2:3], -2.0, v[2:3]
	v_mul_f64_e32 v[22:23], v[16:17], v[20:21]
	v_mul_f64_e32 v[20:21], 0.5, v[20:21]
	s_delay_alu instid0(VALU_DEP_3) | instskip(SKIP_1) | instid1(SALU_CYCLE_1)
	v_fmaak_f64 v[12:13], s[8:9], v[2:3], 0xbc5646da66119130
	s_mov_b64 s[8:9], 0x3ff71547652b82fe
	v_mul_f64_e64 v[18:19], |v[4:5]|, s[8:9]
	s_mov_b64 s[8:9], 0xbfe62e42fefa39ef
	s_delay_alu instid0(VALU_DEP_2) | instskip(NEXT) | instid1(VALU_DEP_4)
	v_fmaak_f64 v[14:15], v[2:3], v[12:13], 0x3c60adb754ca8b19
	v_fma_f64 v[26:27], -v[20:21], v[22:23], 0.5
	s_delay_alu instid0(VALU_DEP_2) | instskip(NEXT) | instid1(VALU_DEP_4)
	v_add_f64_e32 v[14:15], 0x3c89be1812d98421, v[14:15]
	v_rndne_f64_e32 v[18:19], v[18:19]
	s_delay_alu instid0(VALU_DEP_3) | instskip(SKIP_1) | instid1(VALU_DEP_4)
	v_fmac_f64_e32 v[22:23], v[22:23], v[26:27]
	v_fmac_f64_e32 v[20:21], v[20:21], v[26:27]
	v_fma_f64 v[12:13], v[2:3], v[14:15], -v[12:13]
	s_delay_alu instid0(VALU_DEP_4) | instskip(SKIP_2) | instid1(VALU_DEP_3)
	v_fma_f64 v[24:25], v[18:19], s[8:9], |v[4:5]|
	s_mov_b64 s[8:9], 0x3e5ade156a5dcb37
	v_cvt_i32_f64_e32 v1, v[18:19]
	v_add_f64_e32 v[12:13], 0x3c83f3dd076041cd, v[12:13]
	s_delay_alu instid0(VALU_DEP_3) | instskip(NEXT) | instid1(VALU_DEP_1)
	v_fmamk_f64 v[24:25], v[18:19], 0xbc7abc9e3b39803f, v[24:25]
	v_fmaak_f64 v[28:29], s[8:9], v[24:25], 0x3e928af3fca7ab0c
	s_delay_alu instid0(VALU_DEP_3) | instskip(NEXT) | instid1(VALU_DEP_2)
	v_fma_f64 v[14:15], v[2:3], v[12:13], -v[14:15]
	v_fmaak_f64 v[28:29], v[24:25], v[28:29], 0x3ec71dee623fde64
	s_delay_alu instid0(VALU_DEP_1) | instskip(NEXT) | instid1(VALU_DEP_1)
	v_fmaak_f64 v[28:29], v[24:25], v[28:29], 0x3efa01997c89e6b0
	v_fmaak_f64 v[28:29], v[24:25], v[28:29], 0x3f2a01a014761f6e
	s_delay_alu instid0(VALU_DEP_1) | instskip(NEXT) | instid1(VALU_DEP_1)
	v_fmaak_f64 v[28:29], v[24:25], v[28:29], 0x3f56c16c1852b7b0
	v_fmaak_f64 v[28:29], v[24:25], v[28:29], 0x3f81111111122322
	v_add_f64_e32 v[14:15], 0xbcb4600babd21fe4, v[14:15]
	s_delay_alu instid0(VALU_DEP_1) | instskip(NEXT) | instid1(VALU_DEP_1)
	v_fma_f64 v[12:13], v[2:3], v[14:15], -v[12:13]
	v_add_f64_e32 v[12:13], 0xbcb8aee7d908de38, v[12:13]
	s_delay_alu instid0(VALU_DEP_1) | instskip(NEXT) | instid1(VALU_DEP_1)
	v_fma_f64 v[14:15], v[2:3], v[12:13], -v[14:15]
	;; [unrolled: 3-line block ×19, first 2 shown]
	v_add_f64_e32 v[12:13], 0x3f6b998ca2e59049, v[12:13]
	s_delay_alu instid0(VALU_DEP_1) | instskip(SKIP_1) | instid1(VALU_DEP_1)
	v_fma_f64 v[2:3], v[2:3], v[12:13], -v[14:15]
	v_fmaak_f64 v[12:13], v[24:25], v[28:29], 0x3fa55555555502a1
	v_fmaak_f64 v[12:13], v[24:25], v[12:13], 0x3fc5555555555511
	s_delay_alu instid0(VALU_DEP_1) | instskip(NEXT) | instid1(VALU_DEP_1)
	v_fmaak_f64 v[12:13], v[24:25], v[12:13], 0x3fe000000000000b
	v_fma_f64 v[12:13], v[24:25], v[12:13], 1.0
	v_add_f64_e32 v[2:3], 0x3fe9be62aca809cb, v[2:3]
	s_delay_alu instid0(VALU_DEP_2) | instskip(NEXT) | instid1(VALU_DEP_2)
	v_fma_f64 v[12:13], v[24:25], v[12:13], 1.0
	v_add_f64_e64 v[2:3], v[2:3], -v[14:15]
	s_delay_alu instid0(VALU_DEP_2) | instskip(SKIP_1) | instid1(VALU_DEP_3)
	v_ldexp_f64 v[12:13], v[12:13], v1
	v_cndmask_b32_e64 v1, 0, 0xffffff80, s10
	v_mul_f64_e32 v[2:3], 0.5, v[2:3]
	s_delay_alu instid0(VALU_DEP_3) | instskip(NEXT) | instid1(VALU_DEP_4)
	v_cndmask_b32_e32 v5, 0x7ff00000, v13, vcc_lo
	v_cndmask_b32_e32 v4, 0, v12, vcc_lo
	v_cmp_class_f64_e64 vcc_lo, v[16:17], 0x260
	v_fma_f64 v[26:27], -v[22:23], v[22:23], v[16:17]
	s_delay_alu instid0(VALU_DEP_3) | instskip(NEXT) | instid1(VALU_DEP_2)
	v_mul_f64_e32 v[2:3], v[4:5], v[2:3]
	v_fmac_f64_e32 v[22:23], v[26:27], v[20:21]
	s_delay_alu instid0(VALU_DEP_1) | instskip(NEXT) | instid1(VALU_DEP_1)
	v_fma_f64 v[18:19], -v[22:23], v[22:23], v[16:17]
	v_fmac_f64_e32 v[22:23], v[18:19], v[20:21]
	s_delay_alu instid0(VALU_DEP_1) | instskip(NEXT) | instid1(VALU_DEP_1)
	v_ldexp_f64 v[12:13], v[22:23], v1
	v_dual_cndmask_b32 v5, v13, v17 :: v_dual_cndmask_b32 v4, v12, v16
	s_delay_alu instid0(VALU_DEP_1) | instskip(NEXT) | instid1(VALU_DEP_1)
	v_div_scale_f64 v[12:13], null, v[4:5], v[4:5], v[2:3]
	v_rcp_f64_e32 v[14:15], v[12:13]
	v_nop
	s_delay_alu instid0(TRANS32_DEP_1) | instskip(NEXT) | instid1(VALU_DEP_1)
	v_fma_f64 v[16:17], -v[12:13], v[14:15], 1.0
	v_fmac_f64_e32 v[14:15], v[14:15], v[16:17]
	s_delay_alu instid0(VALU_DEP_1) | instskip(NEXT) | instid1(VALU_DEP_1)
	v_fma_f64 v[16:17], -v[12:13], v[14:15], 1.0
	v_fmac_f64_e32 v[14:15], v[14:15], v[16:17]
	v_div_scale_f64 v[16:17], vcc_lo, v[2:3], v[4:5], v[2:3]
	s_delay_alu instid0(VALU_DEP_1) | instskip(NEXT) | instid1(VALU_DEP_1)
	v_mul_f64_e32 v[18:19], v[16:17], v[14:15]
	v_fma_f64 v[12:13], -v[12:13], v[18:19], v[16:17]
	s_delay_alu instid0(VALU_DEP_1) | instskip(NEXT) | instid1(VALU_DEP_1)
	v_div_fmas_f64 v[12:13], v[12:13], v[14:15], v[18:19]
	v_div_fixup_f64 v[12:13], v[12:13], v[4:5], v[2:3]
.LBB5_19:
	s_or_b32 exec_lo, exec_lo, s3
	s_add_nc_u64 s[8:9], s[4:5], s[0:1]
	s_clause 0x1
	global_store_b128 v0, v[6:9], s[8:9] scale_offset
	global_store_b128 v0, v[10:13], s[8:9] offset:4096 scale_offset
	s_branch .LBB5_2
.LBB5_20:
	s_wait_xcnt 0x0
	v_dual_mov_b32 v31, v0 :: v_dual_mov_b32 v0, s4
	v_dual_mov_b32 v1, s5 :: v_dual_mov_b32 v2, s6
	v_dual_mov_b32 v3, s7 :: v_dual_mov_b32 v4, s2
	s_get_pc_i64 s[0:1]
	s_add_nc_u64 s[0:1], s[0:1], _ZN2at6native25elementwise_kernel_helperILb0EZZZNS0_12_GLOBAL__N_130modified_bessel_i0_kernel_cudaERNS_18TensorIteratorBaseEENKUlvE_clEvENKUlvE_clEvEUldE_NS0_6memory8policies11unroll_baseILi256ESt5arrayIPcLm2EE23TrivialOffsetCalculatorILi1EjESF_NS8_15LoadWithoutCastENS8_16StoreWithoutCastELi4ELi1EEEEEvT0_T1_@rel64+4
	s_delay_alu instid0(SALU_CYCLE_1)
	s_swap_pc_i64 s[30:31], s[0:1]
	s_endpgm
	.section	.rodata,"a",@progbits
	.p2align	6, 0x0
	.amdhsa_kernel _ZN2at6native29vectorized_elementwise_kernelILi2EZZZNS0_12_GLOBAL__N_130modified_bessel_i0_kernel_cudaERNS_18TensorIteratorBaseEENKUlvE_clEvENKUlvE_clEvEUldE_St5arrayIPcLm2EEEEviT0_T1_
		.amdhsa_group_segment_fixed_size 0
		.amdhsa_private_segment_fixed_size 0
		.amdhsa_kernarg_size 24
		.amdhsa_user_sgpr_count 2
		.amdhsa_user_sgpr_dispatch_ptr 0
		.amdhsa_user_sgpr_queue_ptr 0
		.amdhsa_user_sgpr_kernarg_segment_ptr 1
		.amdhsa_user_sgpr_dispatch_id 0
		.amdhsa_user_sgpr_kernarg_preload_length 0
		.amdhsa_user_sgpr_kernarg_preload_offset 0
		.amdhsa_user_sgpr_private_segment_size 0
		.amdhsa_wavefront_size32 1
		.amdhsa_uses_dynamic_stack 0
		.amdhsa_enable_private_segment 0
		.amdhsa_system_sgpr_workgroup_id_x 1
		.amdhsa_system_sgpr_workgroup_id_y 0
		.amdhsa_system_sgpr_workgroup_id_z 0
		.amdhsa_system_sgpr_workgroup_info 0
		.amdhsa_system_vgpr_workitem_id 0
		.amdhsa_next_free_vgpr 40
		.amdhsa_next_free_sgpr 33
		.amdhsa_named_barrier_count 0
		.amdhsa_reserve_vcc 1
		.amdhsa_float_round_mode_32 0
		.amdhsa_float_round_mode_16_64 0
		.amdhsa_float_denorm_mode_32 3
		.amdhsa_float_denorm_mode_16_64 3
		.amdhsa_fp16_overflow 0
		.amdhsa_memory_ordered 1
		.amdhsa_forward_progress 1
		.amdhsa_inst_pref_size 72
		.amdhsa_round_robin_scheduling 0
		.amdhsa_exception_fp_ieee_invalid_op 0
		.amdhsa_exception_fp_denorm_src 0
		.amdhsa_exception_fp_ieee_div_zero 0
		.amdhsa_exception_fp_ieee_overflow 0
		.amdhsa_exception_fp_ieee_underflow 0
		.amdhsa_exception_fp_ieee_inexact 0
		.amdhsa_exception_int_div_zero 0
	.end_amdhsa_kernel
	.section	.text._ZN2at6native29vectorized_elementwise_kernelILi2EZZZNS0_12_GLOBAL__N_130modified_bessel_i0_kernel_cudaERNS_18TensorIteratorBaseEENKUlvE_clEvENKUlvE_clEvEUldE_St5arrayIPcLm2EEEEviT0_T1_,"axG",@progbits,_ZN2at6native29vectorized_elementwise_kernelILi2EZZZNS0_12_GLOBAL__N_130modified_bessel_i0_kernel_cudaERNS_18TensorIteratorBaseEENKUlvE_clEvENKUlvE_clEvEUldE_St5arrayIPcLm2EEEEviT0_T1_,comdat
.Lfunc_end5:
	.size	_ZN2at6native29vectorized_elementwise_kernelILi2EZZZNS0_12_GLOBAL__N_130modified_bessel_i0_kernel_cudaERNS_18TensorIteratorBaseEENKUlvE_clEvENKUlvE_clEvEUldE_St5arrayIPcLm2EEEEviT0_T1_, .Lfunc_end5-_ZN2at6native29vectorized_elementwise_kernelILi2EZZZNS0_12_GLOBAL__N_130modified_bessel_i0_kernel_cudaERNS_18TensorIteratorBaseEENKUlvE_clEvENKUlvE_clEvEUldE_St5arrayIPcLm2EEEEviT0_T1_
                                        ; -- End function
	.set _ZN2at6native29vectorized_elementwise_kernelILi2EZZZNS0_12_GLOBAL__N_130modified_bessel_i0_kernel_cudaERNS_18TensorIteratorBaseEENKUlvE_clEvENKUlvE_clEvEUldE_St5arrayIPcLm2EEEEviT0_T1_.num_vgpr, max(32, .L_ZN2at6native25elementwise_kernel_helperILb0EZZZNS0_12_GLOBAL__N_130modified_bessel_i0_kernel_cudaERNS_18TensorIteratorBaseEENKUlvE_clEvENKUlvE_clEvEUldE_NS0_6memory8policies11unroll_baseILi256ESt5arrayIPcLm2EE23TrivialOffsetCalculatorILi1EjESF_NS8_15LoadWithoutCastENS8_16StoreWithoutCastELi4ELi1EEEEEvT0_T1_.num_vgpr)
	.set _ZN2at6native29vectorized_elementwise_kernelILi2EZZZNS0_12_GLOBAL__N_130modified_bessel_i0_kernel_cudaERNS_18TensorIteratorBaseEENKUlvE_clEvENKUlvE_clEvEUldE_St5arrayIPcLm2EEEEviT0_T1_.num_agpr, max(0, .L_ZN2at6native25elementwise_kernel_helperILb0EZZZNS0_12_GLOBAL__N_130modified_bessel_i0_kernel_cudaERNS_18TensorIteratorBaseEENKUlvE_clEvENKUlvE_clEvEUldE_NS0_6memory8policies11unroll_baseILi256ESt5arrayIPcLm2EE23TrivialOffsetCalculatorILi1EjESF_NS8_15LoadWithoutCastENS8_16StoreWithoutCastELi4ELi1EEEEEvT0_T1_.num_agpr)
	.set _ZN2at6native29vectorized_elementwise_kernelILi2EZZZNS0_12_GLOBAL__N_130modified_bessel_i0_kernel_cudaERNS_18TensorIteratorBaseEENKUlvE_clEvENKUlvE_clEvEUldE_St5arrayIPcLm2EEEEviT0_T1_.numbered_sgpr, max(33, .L_ZN2at6native25elementwise_kernel_helperILb0EZZZNS0_12_GLOBAL__N_130modified_bessel_i0_kernel_cudaERNS_18TensorIteratorBaseEENKUlvE_clEvENKUlvE_clEvEUldE_NS0_6memory8policies11unroll_baseILi256ESt5arrayIPcLm2EE23TrivialOffsetCalculatorILi1EjESF_NS8_15LoadWithoutCastENS8_16StoreWithoutCastELi4ELi1EEEEEvT0_T1_.numbered_sgpr)
	.set _ZN2at6native29vectorized_elementwise_kernelILi2EZZZNS0_12_GLOBAL__N_130modified_bessel_i0_kernel_cudaERNS_18TensorIteratorBaseEENKUlvE_clEvENKUlvE_clEvEUldE_St5arrayIPcLm2EEEEviT0_T1_.num_named_barrier, max(0, .L_ZN2at6native25elementwise_kernel_helperILb0EZZZNS0_12_GLOBAL__N_130modified_bessel_i0_kernel_cudaERNS_18TensorIteratorBaseEENKUlvE_clEvENKUlvE_clEvEUldE_NS0_6memory8policies11unroll_baseILi256ESt5arrayIPcLm2EE23TrivialOffsetCalculatorILi1EjESF_NS8_15LoadWithoutCastENS8_16StoreWithoutCastELi4ELi1EEEEEvT0_T1_.num_named_barrier)
	.set _ZN2at6native29vectorized_elementwise_kernelILi2EZZZNS0_12_GLOBAL__N_130modified_bessel_i0_kernel_cudaERNS_18TensorIteratorBaseEENKUlvE_clEvENKUlvE_clEvEUldE_St5arrayIPcLm2EEEEviT0_T1_.private_seg_size, 0+max(.L_ZN2at6native25elementwise_kernel_helperILb0EZZZNS0_12_GLOBAL__N_130modified_bessel_i0_kernel_cudaERNS_18TensorIteratorBaseEENKUlvE_clEvENKUlvE_clEvEUldE_NS0_6memory8policies11unroll_baseILi256ESt5arrayIPcLm2EE23TrivialOffsetCalculatorILi1EjESF_NS8_15LoadWithoutCastENS8_16StoreWithoutCastELi4ELi1EEEEEvT0_T1_.private_seg_size)
	.set _ZN2at6native29vectorized_elementwise_kernelILi2EZZZNS0_12_GLOBAL__N_130modified_bessel_i0_kernel_cudaERNS_18TensorIteratorBaseEENKUlvE_clEvENKUlvE_clEvEUldE_St5arrayIPcLm2EEEEviT0_T1_.uses_vcc, or(1, .L_ZN2at6native25elementwise_kernel_helperILb0EZZZNS0_12_GLOBAL__N_130modified_bessel_i0_kernel_cudaERNS_18TensorIteratorBaseEENKUlvE_clEvENKUlvE_clEvEUldE_NS0_6memory8policies11unroll_baseILi256ESt5arrayIPcLm2EE23TrivialOffsetCalculatorILi1EjESF_NS8_15LoadWithoutCastENS8_16StoreWithoutCastELi4ELi1EEEEEvT0_T1_.uses_vcc)
	.set _ZN2at6native29vectorized_elementwise_kernelILi2EZZZNS0_12_GLOBAL__N_130modified_bessel_i0_kernel_cudaERNS_18TensorIteratorBaseEENKUlvE_clEvENKUlvE_clEvEUldE_St5arrayIPcLm2EEEEviT0_T1_.uses_flat_scratch, or(0, .L_ZN2at6native25elementwise_kernel_helperILb0EZZZNS0_12_GLOBAL__N_130modified_bessel_i0_kernel_cudaERNS_18TensorIteratorBaseEENKUlvE_clEvENKUlvE_clEvEUldE_NS0_6memory8policies11unroll_baseILi256ESt5arrayIPcLm2EE23TrivialOffsetCalculatorILi1EjESF_NS8_15LoadWithoutCastENS8_16StoreWithoutCastELi4ELi1EEEEEvT0_T1_.uses_flat_scratch)
	.set _ZN2at6native29vectorized_elementwise_kernelILi2EZZZNS0_12_GLOBAL__N_130modified_bessel_i0_kernel_cudaERNS_18TensorIteratorBaseEENKUlvE_clEvENKUlvE_clEvEUldE_St5arrayIPcLm2EEEEviT0_T1_.has_dyn_sized_stack, or(0, .L_ZN2at6native25elementwise_kernel_helperILb0EZZZNS0_12_GLOBAL__N_130modified_bessel_i0_kernel_cudaERNS_18TensorIteratorBaseEENKUlvE_clEvENKUlvE_clEvEUldE_NS0_6memory8policies11unroll_baseILi256ESt5arrayIPcLm2EE23TrivialOffsetCalculatorILi1EjESF_NS8_15LoadWithoutCastENS8_16StoreWithoutCastELi4ELi1EEEEEvT0_T1_.has_dyn_sized_stack)
	.set _ZN2at6native29vectorized_elementwise_kernelILi2EZZZNS0_12_GLOBAL__N_130modified_bessel_i0_kernel_cudaERNS_18TensorIteratorBaseEENKUlvE_clEvENKUlvE_clEvEUldE_St5arrayIPcLm2EEEEviT0_T1_.has_recursion, or(0, .L_ZN2at6native25elementwise_kernel_helperILb0EZZZNS0_12_GLOBAL__N_130modified_bessel_i0_kernel_cudaERNS_18TensorIteratorBaseEENKUlvE_clEvENKUlvE_clEvEUldE_NS0_6memory8policies11unroll_baseILi256ESt5arrayIPcLm2EE23TrivialOffsetCalculatorILi1EjESF_NS8_15LoadWithoutCastENS8_16StoreWithoutCastELi4ELi1EEEEEvT0_T1_.has_recursion)
	.set _ZN2at6native29vectorized_elementwise_kernelILi2EZZZNS0_12_GLOBAL__N_130modified_bessel_i0_kernel_cudaERNS_18TensorIteratorBaseEENKUlvE_clEvENKUlvE_clEvEUldE_St5arrayIPcLm2EEEEviT0_T1_.has_indirect_call, or(0, .L_ZN2at6native25elementwise_kernel_helperILb0EZZZNS0_12_GLOBAL__N_130modified_bessel_i0_kernel_cudaERNS_18TensorIteratorBaseEENKUlvE_clEvENKUlvE_clEvEUldE_NS0_6memory8policies11unroll_baseILi256ESt5arrayIPcLm2EE23TrivialOffsetCalculatorILi1EjESF_NS8_15LoadWithoutCastENS8_16StoreWithoutCastELi4ELi1EEEEEvT0_T1_.has_indirect_call)
	.section	.AMDGPU.csdata,"",@progbits
; Kernel info:
; codeLenInByte = 9180
; TotalNumSgprs: 35
; NumVgprs: 40
; ScratchSize: 0
; MemoryBound: 0
; FloatMode: 240
; IeeeMode: 1
; LDSByteSize: 0 bytes/workgroup (compile time only)
; SGPRBlocks: 0
; VGPRBlocks: 2
; NumSGPRsForWavesPerEU: 35
; NumVGPRsForWavesPerEU: 40
; NamedBarCnt: 0
; Occupancy: 16
; WaveLimiterHint : 1
; COMPUTE_PGM_RSRC2:SCRATCH_EN: 0
; COMPUTE_PGM_RSRC2:USER_SGPR: 2
; COMPUTE_PGM_RSRC2:TRAP_HANDLER: 0
; COMPUTE_PGM_RSRC2:TGID_X_EN: 1
; COMPUTE_PGM_RSRC2:TGID_Y_EN: 0
; COMPUTE_PGM_RSRC2:TGID_Z_EN: 0
; COMPUTE_PGM_RSRC2:TIDIG_COMP_CNT: 0
	.section	.text._ZN2at6native27unrolled_elementwise_kernelIZZZNS0_12_GLOBAL__N_130modified_bessel_i0_kernel_cudaERNS_18TensorIteratorBaseEENKUlvE_clEvENKUlvE_clEvEUldE_St5arrayIPcLm2EELi4E23TrivialOffsetCalculatorILi1EjESC_NS0_6memory15LoadWithoutCastENSD_16StoreWithoutCastEEEviT_T0_T2_T3_T4_T5_,"axG",@progbits,_ZN2at6native27unrolled_elementwise_kernelIZZZNS0_12_GLOBAL__N_130modified_bessel_i0_kernel_cudaERNS_18TensorIteratorBaseEENKUlvE_clEvENKUlvE_clEvEUldE_St5arrayIPcLm2EELi4E23TrivialOffsetCalculatorILi1EjESC_NS0_6memory15LoadWithoutCastENSD_16StoreWithoutCastEEEviT_T0_T2_T3_T4_T5_,comdat
	.globl	_ZN2at6native27unrolled_elementwise_kernelIZZZNS0_12_GLOBAL__N_130modified_bessel_i0_kernel_cudaERNS_18TensorIteratorBaseEENKUlvE_clEvENKUlvE_clEvEUldE_St5arrayIPcLm2EELi4E23TrivialOffsetCalculatorILi1EjESC_NS0_6memory15LoadWithoutCastENSD_16StoreWithoutCastEEEviT_T0_T2_T3_T4_T5_ ; -- Begin function _ZN2at6native27unrolled_elementwise_kernelIZZZNS0_12_GLOBAL__N_130modified_bessel_i0_kernel_cudaERNS_18TensorIteratorBaseEENKUlvE_clEvENKUlvE_clEvEUldE_St5arrayIPcLm2EELi4E23TrivialOffsetCalculatorILi1EjESC_NS0_6memory15LoadWithoutCastENSD_16StoreWithoutCastEEEviT_T0_T2_T3_T4_T5_
	.p2align	8
	.type	_ZN2at6native27unrolled_elementwise_kernelIZZZNS0_12_GLOBAL__N_130modified_bessel_i0_kernel_cudaERNS_18TensorIteratorBaseEENKUlvE_clEvENKUlvE_clEvEUldE_St5arrayIPcLm2EELi4E23TrivialOffsetCalculatorILi1EjESC_NS0_6memory15LoadWithoutCastENSD_16StoreWithoutCastEEEviT_T0_T2_T3_T4_T5_,@function
_ZN2at6native27unrolled_elementwise_kernelIZZZNS0_12_GLOBAL__N_130modified_bessel_i0_kernel_cudaERNS_18TensorIteratorBaseEENKUlvE_clEvENKUlvE_clEvEUldE_St5arrayIPcLm2EELi4E23TrivialOffsetCalculatorILi1EjESC_NS0_6memory15LoadWithoutCastENSD_16StoreWithoutCastEEEviT_T0_T2_T3_T4_T5_: ; @_ZN2at6native27unrolled_elementwise_kernelIZZZNS0_12_GLOBAL__N_130modified_bessel_i0_kernel_cudaERNS_18TensorIteratorBaseEENKUlvE_clEvENKUlvE_clEvEUldE_St5arrayIPcLm2EELi4E23TrivialOffsetCalculatorILi1EjESC_NS0_6memory15LoadWithoutCastENSD_16StoreWithoutCastEEEviT_T0_T2_T3_T4_T5_
; %bb.0:
	s_clause 0x1
	s_load_b32 s2, s[0:1], 0x0
	s_load_b128 s[4:7], s[0:1], 0x8
	s_wait_xcnt 0x0
	s_bfe_u32 s0, ttmp6, 0x4000c
	s_and_b32 s1, ttmp6, 15
	s_add_co_i32 s0, s0, 1
	s_getreg_b32 s3, hwreg(HW_REG_IB_STS2, 6, 4)
	s_mul_i32 s0, ttmp9, s0
	v_mov_b32_e32 v31, v0
	s_add_co_i32 s1, s1, s0
	s_cmp_eq_u32 s3, 0
	s_mov_b32 s32, 0
	s_cselect_b32 s3, ttmp9, s1
	s_get_pc_i64 s[0:1]
	s_add_nc_u64 s[0:1], s[0:1], _ZN2at6native25elementwise_kernel_helperILb0EZZZNS0_12_GLOBAL__N_130modified_bessel_i0_kernel_cudaERNS_18TensorIteratorBaseEENKUlvE_clEvENKUlvE_clEvEUldE_NS0_6memory8policies11unroll_baseILi256ESt5arrayIPcLm2EE23TrivialOffsetCalculatorILi1EjESF_NS8_15LoadWithoutCastENS8_16StoreWithoutCastELi4ELi1EEEEEvT0_T1_@rel64+4
	s_lshl_b32 s3, s3, 10
	s_wait_kmcnt 0x0
	s_sub_co_i32 s2, s2, s3
	v_dual_mov_b32 v0, s4 :: v_dual_mov_b32 v1, s5
	v_dual_mov_b32 v2, s6 :: v_dual_mov_b32 v3, s7
	v_mov_b32_e32 v4, s2
	s_swap_pc_i64 s[30:31], s[0:1]
	s_endpgm
	.section	.rodata,"a",@progbits
	.p2align	6, 0x0
	.amdhsa_kernel _ZN2at6native27unrolled_elementwise_kernelIZZZNS0_12_GLOBAL__N_130modified_bessel_i0_kernel_cudaERNS_18TensorIteratorBaseEENKUlvE_clEvENKUlvE_clEvEUldE_St5arrayIPcLm2EELi4E23TrivialOffsetCalculatorILi1EjESC_NS0_6memory15LoadWithoutCastENSD_16StoreWithoutCastEEEviT_T0_T2_T3_T4_T5_
		.amdhsa_group_segment_fixed_size 0
		.amdhsa_private_segment_fixed_size 0
		.amdhsa_kernarg_size 28
		.amdhsa_user_sgpr_count 2
		.amdhsa_user_sgpr_dispatch_ptr 0
		.amdhsa_user_sgpr_queue_ptr 0
		.amdhsa_user_sgpr_kernarg_segment_ptr 1
		.amdhsa_user_sgpr_dispatch_id 0
		.amdhsa_user_sgpr_kernarg_preload_length 0
		.amdhsa_user_sgpr_kernarg_preload_offset 0
		.amdhsa_user_sgpr_private_segment_size 0
		.amdhsa_wavefront_size32 1
		.amdhsa_uses_dynamic_stack 0
		.amdhsa_enable_private_segment 0
		.amdhsa_system_sgpr_workgroup_id_x 1
		.amdhsa_system_sgpr_workgroup_id_y 0
		.amdhsa_system_sgpr_workgroup_id_z 0
		.amdhsa_system_sgpr_workgroup_info 0
		.amdhsa_system_vgpr_workitem_id 0
		.amdhsa_next_free_vgpr 40
		.amdhsa_next_free_sgpr 33
		.amdhsa_named_barrier_count 0
		.amdhsa_reserve_vcc 1
		.amdhsa_float_round_mode_32 0
		.amdhsa_float_round_mode_16_64 0
		.amdhsa_float_denorm_mode_32 3
		.amdhsa_float_denorm_mode_16_64 3
		.amdhsa_fp16_overflow 0
		.amdhsa_memory_ordered 1
		.amdhsa_forward_progress 1
		.amdhsa_inst_pref_size 1
		.amdhsa_round_robin_scheduling 0
		.amdhsa_exception_fp_ieee_invalid_op 0
		.amdhsa_exception_fp_denorm_src 0
		.amdhsa_exception_fp_ieee_div_zero 0
		.amdhsa_exception_fp_ieee_overflow 0
		.amdhsa_exception_fp_ieee_underflow 0
		.amdhsa_exception_fp_ieee_inexact 0
		.amdhsa_exception_int_div_zero 0
	.end_amdhsa_kernel
	.section	.text._ZN2at6native27unrolled_elementwise_kernelIZZZNS0_12_GLOBAL__N_130modified_bessel_i0_kernel_cudaERNS_18TensorIteratorBaseEENKUlvE_clEvENKUlvE_clEvEUldE_St5arrayIPcLm2EELi4E23TrivialOffsetCalculatorILi1EjESC_NS0_6memory15LoadWithoutCastENSD_16StoreWithoutCastEEEviT_T0_T2_T3_T4_T5_,"axG",@progbits,_ZN2at6native27unrolled_elementwise_kernelIZZZNS0_12_GLOBAL__N_130modified_bessel_i0_kernel_cudaERNS_18TensorIteratorBaseEENKUlvE_clEvENKUlvE_clEvEUldE_St5arrayIPcLm2EELi4E23TrivialOffsetCalculatorILi1EjESC_NS0_6memory15LoadWithoutCastENSD_16StoreWithoutCastEEEviT_T0_T2_T3_T4_T5_,comdat
.Lfunc_end6:
	.size	_ZN2at6native27unrolled_elementwise_kernelIZZZNS0_12_GLOBAL__N_130modified_bessel_i0_kernel_cudaERNS_18TensorIteratorBaseEENKUlvE_clEvENKUlvE_clEvEUldE_St5arrayIPcLm2EELi4E23TrivialOffsetCalculatorILi1EjESC_NS0_6memory15LoadWithoutCastENSD_16StoreWithoutCastEEEviT_T0_T2_T3_T4_T5_, .Lfunc_end6-_ZN2at6native27unrolled_elementwise_kernelIZZZNS0_12_GLOBAL__N_130modified_bessel_i0_kernel_cudaERNS_18TensorIteratorBaseEENKUlvE_clEvENKUlvE_clEvEUldE_St5arrayIPcLm2EELi4E23TrivialOffsetCalculatorILi1EjESC_NS0_6memory15LoadWithoutCastENSD_16StoreWithoutCastEEEviT_T0_T2_T3_T4_T5_
                                        ; -- End function
	.set _ZN2at6native27unrolled_elementwise_kernelIZZZNS0_12_GLOBAL__N_130modified_bessel_i0_kernel_cudaERNS_18TensorIteratorBaseEENKUlvE_clEvENKUlvE_clEvEUldE_St5arrayIPcLm2EELi4E23TrivialOffsetCalculatorILi1EjESC_NS0_6memory15LoadWithoutCastENSD_16StoreWithoutCastEEEviT_T0_T2_T3_T4_T5_.num_vgpr, max(32, .L_ZN2at6native25elementwise_kernel_helperILb0EZZZNS0_12_GLOBAL__N_130modified_bessel_i0_kernel_cudaERNS_18TensorIteratorBaseEENKUlvE_clEvENKUlvE_clEvEUldE_NS0_6memory8policies11unroll_baseILi256ESt5arrayIPcLm2EE23TrivialOffsetCalculatorILi1EjESF_NS8_15LoadWithoutCastENS8_16StoreWithoutCastELi4ELi1EEEEEvT0_T1_.num_vgpr)
	.set _ZN2at6native27unrolled_elementwise_kernelIZZZNS0_12_GLOBAL__N_130modified_bessel_i0_kernel_cudaERNS_18TensorIteratorBaseEENKUlvE_clEvENKUlvE_clEvEUldE_St5arrayIPcLm2EELi4E23TrivialOffsetCalculatorILi1EjESC_NS0_6memory15LoadWithoutCastENSD_16StoreWithoutCastEEEviT_T0_T2_T3_T4_T5_.num_agpr, max(0, .L_ZN2at6native25elementwise_kernel_helperILb0EZZZNS0_12_GLOBAL__N_130modified_bessel_i0_kernel_cudaERNS_18TensorIteratorBaseEENKUlvE_clEvENKUlvE_clEvEUldE_NS0_6memory8policies11unroll_baseILi256ESt5arrayIPcLm2EE23TrivialOffsetCalculatorILi1EjESF_NS8_15LoadWithoutCastENS8_16StoreWithoutCastELi4ELi1EEEEEvT0_T1_.num_agpr)
	.set _ZN2at6native27unrolled_elementwise_kernelIZZZNS0_12_GLOBAL__N_130modified_bessel_i0_kernel_cudaERNS_18TensorIteratorBaseEENKUlvE_clEvENKUlvE_clEvEUldE_St5arrayIPcLm2EELi4E23TrivialOffsetCalculatorILi1EjESC_NS0_6memory15LoadWithoutCastENSD_16StoreWithoutCastEEEviT_T0_T2_T3_T4_T5_.numbered_sgpr, max(33, .L_ZN2at6native25elementwise_kernel_helperILb0EZZZNS0_12_GLOBAL__N_130modified_bessel_i0_kernel_cudaERNS_18TensorIteratorBaseEENKUlvE_clEvENKUlvE_clEvEUldE_NS0_6memory8policies11unroll_baseILi256ESt5arrayIPcLm2EE23TrivialOffsetCalculatorILi1EjESF_NS8_15LoadWithoutCastENS8_16StoreWithoutCastELi4ELi1EEEEEvT0_T1_.numbered_sgpr)
	.set _ZN2at6native27unrolled_elementwise_kernelIZZZNS0_12_GLOBAL__N_130modified_bessel_i0_kernel_cudaERNS_18TensorIteratorBaseEENKUlvE_clEvENKUlvE_clEvEUldE_St5arrayIPcLm2EELi4E23TrivialOffsetCalculatorILi1EjESC_NS0_6memory15LoadWithoutCastENSD_16StoreWithoutCastEEEviT_T0_T2_T3_T4_T5_.num_named_barrier, max(0, .L_ZN2at6native25elementwise_kernel_helperILb0EZZZNS0_12_GLOBAL__N_130modified_bessel_i0_kernel_cudaERNS_18TensorIteratorBaseEENKUlvE_clEvENKUlvE_clEvEUldE_NS0_6memory8policies11unroll_baseILi256ESt5arrayIPcLm2EE23TrivialOffsetCalculatorILi1EjESF_NS8_15LoadWithoutCastENS8_16StoreWithoutCastELi4ELi1EEEEEvT0_T1_.num_named_barrier)
	.set _ZN2at6native27unrolled_elementwise_kernelIZZZNS0_12_GLOBAL__N_130modified_bessel_i0_kernel_cudaERNS_18TensorIteratorBaseEENKUlvE_clEvENKUlvE_clEvEUldE_St5arrayIPcLm2EELi4E23TrivialOffsetCalculatorILi1EjESC_NS0_6memory15LoadWithoutCastENSD_16StoreWithoutCastEEEviT_T0_T2_T3_T4_T5_.private_seg_size, 0+max(.L_ZN2at6native25elementwise_kernel_helperILb0EZZZNS0_12_GLOBAL__N_130modified_bessel_i0_kernel_cudaERNS_18TensorIteratorBaseEENKUlvE_clEvENKUlvE_clEvEUldE_NS0_6memory8policies11unroll_baseILi256ESt5arrayIPcLm2EE23TrivialOffsetCalculatorILi1EjESF_NS8_15LoadWithoutCastENS8_16StoreWithoutCastELi4ELi1EEEEEvT0_T1_.private_seg_size)
	.set _ZN2at6native27unrolled_elementwise_kernelIZZZNS0_12_GLOBAL__N_130modified_bessel_i0_kernel_cudaERNS_18TensorIteratorBaseEENKUlvE_clEvENKUlvE_clEvEUldE_St5arrayIPcLm2EELi4E23TrivialOffsetCalculatorILi1EjESC_NS0_6memory15LoadWithoutCastENSD_16StoreWithoutCastEEEviT_T0_T2_T3_T4_T5_.uses_vcc, or(1, .L_ZN2at6native25elementwise_kernel_helperILb0EZZZNS0_12_GLOBAL__N_130modified_bessel_i0_kernel_cudaERNS_18TensorIteratorBaseEENKUlvE_clEvENKUlvE_clEvEUldE_NS0_6memory8policies11unroll_baseILi256ESt5arrayIPcLm2EE23TrivialOffsetCalculatorILi1EjESF_NS8_15LoadWithoutCastENS8_16StoreWithoutCastELi4ELi1EEEEEvT0_T1_.uses_vcc)
	.set _ZN2at6native27unrolled_elementwise_kernelIZZZNS0_12_GLOBAL__N_130modified_bessel_i0_kernel_cudaERNS_18TensorIteratorBaseEENKUlvE_clEvENKUlvE_clEvEUldE_St5arrayIPcLm2EELi4E23TrivialOffsetCalculatorILi1EjESC_NS0_6memory15LoadWithoutCastENSD_16StoreWithoutCastEEEviT_T0_T2_T3_T4_T5_.uses_flat_scratch, or(0, .L_ZN2at6native25elementwise_kernel_helperILb0EZZZNS0_12_GLOBAL__N_130modified_bessel_i0_kernel_cudaERNS_18TensorIteratorBaseEENKUlvE_clEvENKUlvE_clEvEUldE_NS0_6memory8policies11unroll_baseILi256ESt5arrayIPcLm2EE23TrivialOffsetCalculatorILi1EjESF_NS8_15LoadWithoutCastENS8_16StoreWithoutCastELi4ELi1EEEEEvT0_T1_.uses_flat_scratch)
	.set _ZN2at6native27unrolled_elementwise_kernelIZZZNS0_12_GLOBAL__N_130modified_bessel_i0_kernel_cudaERNS_18TensorIteratorBaseEENKUlvE_clEvENKUlvE_clEvEUldE_St5arrayIPcLm2EELi4E23TrivialOffsetCalculatorILi1EjESC_NS0_6memory15LoadWithoutCastENSD_16StoreWithoutCastEEEviT_T0_T2_T3_T4_T5_.has_dyn_sized_stack, or(0, .L_ZN2at6native25elementwise_kernel_helperILb0EZZZNS0_12_GLOBAL__N_130modified_bessel_i0_kernel_cudaERNS_18TensorIteratorBaseEENKUlvE_clEvENKUlvE_clEvEUldE_NS0_6memory8policies11unroll_baseILi256ESt5arrayIPcLm2EE23TrivialOffsetCalculatorILi1EjESF_NS8_15LoadWithoutCastENS8_16StoreWithoutCastELi4ELi1EEEEEvT0_T1_.has_dyn_sized_stack)
	.set _ZN2at6native27unrolled_elementwise_kernelIZZZNS0_12_GLOBAL__N_130modified_bessel_i0_kernel_cudaERNS_18TensorIteratorBaseEENKUlvE_clEvENKUlvE_clEvEUldE_St5arrayIPcLm2EELi4E23TrivialOffsetCalculatorILi1EjESC_NS0_6memory15LoadWithoutCastENSD_16StoreWithoutCastEEEviT_T0_T2_T3_T4_T5_.has_recursion, or(0, .L_ZN2at6native25elementwise_kernel_helperILb0EZZZNS0_12_GLOBAL__N_130modified_bessel_i0_kernel_cudaERNS_18TensorIteratorBaseEENKUlvE_clEvENKUlvE_clEvEUldE_NS0_6memory8policies11unroll_baseILi256ESt5arrayIPcLm2EE23TrivialOffsetCalculatorILi1EjESF_NS8_15LoadWithoutCastENS8_16StoreWithoutCastELi4ELi1EEEEEvT0_T1_.has_recursion)
	.set _ZN2at6native27unrolled_elementwise_kernelIZZZNS0_12_GLOBAL__N_130modified_bessel_i0_kernel_cudaERNS_18TensorIteratorBaseEENKUlvE_clEvENKUlvE_clEvEUldE_St5arrayIPcLm2EELi4E23TrivialOffsetCalculatorILi1EjESC_NS0_6memory15LoadWithoutCastENSD_16StoreWithoutCastEEEviT_T0_T2_T3_T4_T5_.has_indirect_call, or(0, .L_ZN2at6native25elementwise_kernel_helperILb0EZZZNS0_12_GLOBAL__N_130modified_bessel_i0_kernel_cudaERNS_18TensorIteratorBaseEENKUlvE_clEvENKUlvE_clEvEUldE_NS0_6memory8policies11unroll_baseILi256ESt5arrayIPcLm2EE23TrivialOffsetCalculatorILi1EjESF_NS8_15LoadWithoutCastENS8_16StoreWithoutCastELi4ELi1EEEEEvT0_T1_.has_indirect_call)
	.section	.AMDGPU.csdata,"",@progbits
; Kernel info:
; codeLenInByte = 124
; TotalNumSgprs: 35
; NumVgprs: 40
; ScratchSize: 0
; MemoryBound: 0
; FloatMode: 240
; IeeeMode: 1
; LDSByteSize: 0 bytes/workgroup (compile time only)
; SGPRBlocks: 0
; VGPRBlocks: 2
; NumSGPRsForWavesPerEU: 35
; NumVGPRsForWavesPerEU: 40
; NamedBarCnt: 0
; Occupancy: 16
; WaveLimiterHint : 0
; COMPUTE_PGM_RSRC2:SCRATCH_EN: 0
; COMPUTE_PGM_RSRC2:USER_SGPR: 2
; COMPUTE_PGM_RSRC2:TRAP_HANDLER: 0
; COMPUTE_PGM_RSRC2:TGID_X_EN: 1
; COMPUTE_PGM_RSRC2:TGID_Y_EN: 0
; COMPUTE_PGM_RSRC2:TGID_Z_EN: 0
; COMPUTE_PGM_RSRC2:TIDIG_COMP_CNT: 0
	.section	.text._ZN2at6native32elementwise_kernel_manual_unrollILi128ELi4EZNS0_22gpu_kernel_impl_nocastIZZZNS0_12_GLOBAL__N_130modified_bessel_i0_kernel_cudaERNS_18TensorIteratorBaseEENKUlvE_clEvENKUlvE_clEvEUldE_EEvS5_RKT_EUlibE_EEviT1_,"axG",@progbits,_ZN2at6native32elementwise_kernel_manual_unrollILi128ELi4EZNS0_22gpu_kernel_impl_nocastIZZZNS0_12_GLOBAL__N_130modified_bessel_i0_kernel_cudaERNS_18TensorIteratorBaseEENKUlvE_clEvENKUlvE_clEvEUldE_EEvS5_RKT_EUlibE_EEviT1_,comdat
	.globl	_ZN2at6native32elementwise_kernel_manual_unrollILi128ELi4EZNS0_22gpu_kernel_impl_nocastIZZZNS0_12_GLOBAL__N_130modified_bessel_i0_kernel_cudaERNS_18TensorIteratorBaseEENKUlvE_clEvENKUlvE_clEvEUldE_EEvS5_RKT_EUlibE_EEviT1_ ; -- Begin function _ZN2at6native32elementwise_kernel_manual_unrollILi128ELi4EZNS0_22gpu_kernel_impl_nocastIZZZNS0_12_GLOBAL__N_130modified_bessel_i0_kernel_cudaERNS_18TensorIteratorBaseEENKUlvE_clEvENKUlvE_clEvEUldE_EEvS5_RKT_EUlibE_EEviT1_
	.p2align	8
	.type	_ZN2at6native32elementwise_kernel_manual_unrollILi128ELi4EZNS0_22gpu_kernel_impl_nocastIZZZNS0_12_GLOBAL__N_130modified_bessel_i0_kernel_cudaERNS_18TensorIteratorBaseEENKUlvE_clEvENKUlvE_clEvEUldE_EEvS5_RKT_EUlibE_EEviT1_,@function
_ZN2at6native32elementwise_kernel_manual_unrollILi128ELi4EZNS0_22gpu_kernel_impl_nocastIZZZNS0_12_GLOBAL__N_130modified_bessel_i0_kernel_cudaERNS_18TensorIteratorBaseEENKUlvE_clEvENKUlvE_clEvEUldE_EEvS5_RKT_EUlibE_EEviT1_: ; @_ZN2at6native32elementwise_kernel_manual_unrollILi128ELi4EZNS0_22gpu_kernel_impl_nocastIZZZNS0_12_GLOBAL__N_130modified_bessel_i0_kernel_cudaERNS_18TensorIteratorBaseEENKUlvE_clEvENKUlvE_clEvEUldE_EEvS5_RKT_EUlibE_EEviT1_
; %bb.0:
	s_clause 0x1
	s_load_b32 s28, s[0:1], 0x8
	s_load_b32 s34, s[0:1], 0x0
	s_bfe_u32 s2, ttmp6, 0x4000c
	s_and_b32 s3, ttmp6, 15
	s_add_co_i32 s2, s2, 1
	s_getreg_b32 s4, hwreg(HW_REG_IB_STS2, 6, 4)
	s_mul_i32 s2, ttmp9, s2
	s_add_nc_u64 s[12:13], s[0:1], 8
	s_add_co_i32 s3, s3, s2
	s_cmp_eq_u32 s4, 0
	s_mov_b32 s17, 0
	s_cselect_b32 s2, ttmp9, s3
	s_wait_xcnt 0x0
	s_mov_b32 s0, exec_lo
	v_lshl_or_b32 v0, s2, 9, v0
	s_delay_alu instid0(VALU_DEP_1) | instskip(SKIP_2) | instid1(SALU_CYCLE_1)
	v_or_b32_e32 v8, 0x180, v0
	s_wait_kmcnt 0x0
	s_add_co_i32 s29, s28, -1
	s_cmp_gt_u32 s29, 1
	s_cselect_b32 s30, -1, 0
	v_cmpx_le_i32_e64 s34, v8
	s_xor_b32 s31, exec_lo, s0
	s_cbranch_execz .LBB7_7
; %bb.1:
	s_clause 0x3
	s_load_b128 s[4:7], s[12:13], 0x4
	s_load_b64 s[14:15], s[12:13], 0x14
	s_load_b128 s[8:11], s[12:13], 0xc4
	s_load_b128 s[0:3], s[12:13], 0x148
	s_cmp_lg_u32 s28, 0
	s_add_nc_u64 s[20:21], s[12:13], 0xc4
	s_cselect_b32 s36, -1, 0
	s_min_u32 s35, s29, 15
	s_cmp_gt_u32 s28, 1
	s_mov_b32 s19, s17
	s_cselect_b32 s33, -1, 0
	s_wait_kmcnt 0x0
	s_mov_b32 s16, s5
	s_mov_b32 s18, s14
	s_mov_b32 s5, exec_lo
	v_cmpx_gt_i32_e64 s34, v0
	s_cbranch_execz .LBB7_14
; %bb.2:
	s_and_not1_b32 vcc_lo, exec_lo, s30
	s_cbranch_vccnz .LBB7_21
; %bb.3:
	s_and_not1_b32 vcc_lo, exec_lo, s36
	s_cbranch_vccnz .LBB7_89
; %bb.4:
	s_add_co_i32 s14, s35, 1
	s_cmp_eq_u32 s29, 2
	s_cbranch_scc1 .LBB7_91
; %bb.5:
	v_dual_mov_b32 v2, 0 :: v_dual_mov_b32 v3, 0
	v_mov_b32_e32 v1, v0
	s_and_b32 s22, s14, 28
	s_mov_b32 s23, 0
	s_mov_b64 s[24:25], s[12:13]
	s_mov_b64 s[26:27], s[20:21]
.LBB7_6:                                ; =>This Inner Loop Header: Depth=1
	s_clause 0x1
	s_load_b256 s[40:47], s[24:25], 0x4
	s_load_b128 s[56:59], s[24:25], 0x24
	s_load_b256 s[48:55], s[26:27], 0x0
	s_add_co_i32 s23, s23, 4
	s_wait_xcnt 0x0
	s_add_nc_u64 s[24:25], s[24:25], 48
	s_cmp_lg_u32 s22, s23
	s_add_nc_u64 s[26:27], s[26:27], 32
	s_wait_kmcnt 0x0
	v_mul_hi_u32 v4, s41, v1
	s_delay_alu instid0(VALU_DEP_1) | instskip(NEXT) | instid1(VALU_DEP_1)
	v_add_nc_u32_e32 v4, v1, v4
	v_lshrrev_b32_e32 v4, s42, v4
	s_delay_alu instid0(VALU_DEP_1) | instskip(NEXT) | instid1(VALU_DEP_1)
	v_mul_hi_u32 v5, s44, v4
	v_add_nc_u32_e32 v5, v4, v5
	s_delay_alu instid0(VALU_DEP_1) | instskip(NEXT) | instid1(VALU_DEP_1)
	v_lshrrev_b32_e32 v5, s45, v5
	v_mul_hi_u32 v6, s47, v5
	s_delay_alu instid0(VALU_DEP_1) | instskip(SKIP_1) | instid1(VALU_DEP_1)
	v_add_nc_u32_e32 v6, v5, v6
	v_mul_lo_u32 v7, v4, s40
	v_sub_nc_u32_e32 v1, v1, v7
	v_mul_lo_u32 v7, v5, s43
	s_delay_alu instid0(VALU_DEP_4) | instskip(NEXT) | instid1(VALU_DEP_3)
	v_lshrrev_b32_e32 v6, s56, v6
	v_mad_u32 v3, v1, s49, v3
	v_mad_u32 v1, v1, s48, v2
	s_delay_alu instid0(VALU_DEP_4) | instskip(NEXT) | instid1(VALU_DEP_4)
	v_sub_nc_u32_e32 v2, v4, v7
	v_mul_hi_u32 v8, s58, v6
	v_mul_lo_u32 v4, v6, s46
	s_delay_alu instid0(VALU_DEP_3) | instskip(SKIP_1) | instid1(VALU_DEP_4)
	v_mad_u32 v3, v2, s51, v3
	v_mad_u32 v2, v2, s50, v1
	v_add_nc_u32_e32 v7, v6, v8
	s_delay_alu instid0(VALU_DEP_1) | instskip(NEXT) | instid1(VALU_DEP_1)
	v_dual_sub_nc_u32 v4, v5, v4 :: v_dual_lshrrev_b32 v1, s59, v7
	v_mad_u32 v3, v4, s53, v3
	s_delay_alu instid0(VALU_DEP_4) | instskip(NEXT) | instid1(VALU_DEP_3)
	v_mad_u32 v2, v4, s52, v2
	v_mul_lo_u32 v5, v1, s57
	s_delay_alu instid0(VALU_DEP_1) | instskip(NEXT) | instid1(VALU_DEP_1)
	v_sub_nc_u32_e32 v4, v6, v5
	v_mad_u32 v3, v4, s55, v3
	s_delay_alu instid0(VALU_DEP_4)
	v_mad_u32 v2, v4, s54, v2
	s_cbranch_scc1 .LBB7_6
	s_branch .LBB7_92
.LBB7_7:
	s_and_not1_saveexec_b32 s0, s31
	s_cbranch_execz .LBB7_125
.LBB7_8:
	v_cndmask_b32_e64 v6, 0, 1, s30
	s_and_not1_b32 vcc_lo, exec_lo, s30
	s_cbranch_vccnz .LBB7_20
; %bb.9:
	s_cmp_lg_u32 s28, 0
	s_mov_b32 s6, 0
	s_cbranch_scc0 .LBB7_23
; %bb.10:
	s_min_u32 s1, s29, 15
	s_delay_alu instid0(SALU_CYCLE_1)
	s_add_co_i32 s1, s1, 1
	s_cmp_eq_u32 s29, 2
	s_cbranch_scc1 .LBB7_24
; %bb.11:
	v_dual_mov_b32 v2, 0 :: v_dual_mov_b32 v3, 0
	v_mov_b32_e32 v1, v0
	s_and_b32 s0, s1, 28
	s_add_nc_u64 s[2:3], s[12:13], 0xc4
	s_mov_b32 s7, 0
	s_mov_b64 s[4:5], s[12:13]
.LBB7_12:                               ; =>This Inner Loop Header: Depth=1
	s_clause 0x1
	s_load_b256 s[16:23], s[4:5], 0x4
	s_load_b128 s[8:11], s[4:5], 0x24
	s_load_b256 s[36:43], s[2:3], 0x0
	s_add_co_i32 s7, s7, 4
	s_wait_xcnt 0x0
	s_add_nc_u64 s[4:5], s[4:5], 48
	s_cmp_lg_u32 s0, s7
	s_add_nc_u64 s[2:3], s[2:3], 32
	s_wait_kmcnt 0x0
	v_mul_hi_u32 v4, s17, v1
	s_delay_alu instid0(VALU_DEP_1) | instskip(NEXT) | instid1(VALU_DEP_1)
	v_add_nc_u32_e32 v4, v1, v4
	v_lshrrev_b32_e32 v4, s18, v4
	s_delay_alu instid0(VALU_DEP_1) | instskip(NEXT) | instid1(VALU_DEP_1)
	v_mul_hi_u32 v5, s20, v4
	v_add_nc_u32_e32 v5, v4, v5
	s_delay_alu instid0(VALU_DEP_1) | instskip(NEXT) | instid1(VALU_DEP_1)
	v_lshrrev_b32_e32 v5, s21, v5
	v_mul_hi_u32 v7, s23, v5
	s_delay_alu instid0(VALU_DEP_1) | instskip(SKIP_1) | instid1(VALU_DEP_2)
	v_add_nc_u32_e32 v7, v5, v7
	v_mul_lo_u32 v9, v4, s16
	v_lshrrev_b32_e32 v7, s8, v7
	s_delay_alu instid0(VALU_DEP_1) | instskip(NEXT) | instid1(VALU_DEP_3)
	v_mul_hi_u32 v10, s10, v7
	v_sub_nc_u32_e32 v1, v1, v9
	v_mul_lo_u32 v9, v5, s19
	s_delay_alu instid0(VALU_DEP_2) | instskip(SKIP_1) | instid1(VALU_DEP_3)
	v_mad_u32 v3, v1, s37, v3
	v_mad_u32 v1, v1, s36, v2
	v_sub_nc_u32_e32 v2, v4, v9
	v_mul_lo_u32 v4, v7, s22
	v_add_nc_u32_e32 v9, v7, v10
	s_delay_alu instid0(VALU_DEP_3) | instskip(SKIP_1) | instid1(VALU_DEP_3)
	v_mad_u32 v3, v2, s39, v3
	v_mad_u32 v2, v2, s38, v1
	v_dual_sub_nc_u32 v4, v5, v4 :: v_dual_lshrrev_b32 v1, s11, v9
	s_delay_alu instid0(VALU_DEP_1) | instskip(NEXT) | instid1(VALU_DEP_2)
	v_mad_u32 v3, v4, s41, v3
	v_mul_lo_u32 v5, v1, s9
	s_delay_alu instid0(VALU_DEP_4) | instskip(NEXT) | instid1(VALU_DEP_2)
	v_mad_u32 v2, v4, s40, v2
	v_sub_nc_u32_e32 v4, v7, v5
	s_delay_alu instid0(VALU_DEP_1) | instskip(NEXT) | instid1(VALU_DEP_3)
	v_mad_u32 v3, v4, s43, v3
	v_mad_u32 v2, v4, s42, v2
	s_cbranch_scc1 .LBB7_12
; %bb.13:
	s_and_b32 s4, s1, 3
	s_mov_b32 s1, 0
	s_cmp_eq_u32 s4, 0
	s_cbranch_scc0 .LBB7_25
	s_branch .LBB7_27
.LBB7_14:
	s_or_b32 exec_lo, exec_lo, s5
	s_delay_alu instid0(SALU_CYCLE_1)
	s_mov_b32 s5, exec_lo
	v_cmpx_gt_i32_e64 s34, v0
	s_cbranch_execz .LBB7_103
.LBB7_15:
	s_and_not1_b32 vcc_lo, exec_lo, s30
	s_cbranch_vccnz .LBB7_22
; %bb.16:
	s_and_not1_b32 vcc_lo, exec_lo, s36
	s_cbranch_vccnz .LBB7_90
; %bb.17:
	s_add_co_i32 s14, s35, 1
	s_cmp_eq_u32 s29, 2
	s_cbranch_scc1 .LBB7_111
; %bb.18:
	v_dual_mov_b32 v2, 0 :: v_dual_mov_b32 v3, 0
	v_mov_b32_e32 v1, v0
	s_and_b32 s22, s14, 28
	s_mov_b32 s23, 0
	s_mov_b64 s[24:25], s[12:13]
	s_mov_b64 s[26:27], s[20:21]
.LBB7_19:                               ; =>This Inner Loop Header: Depth=1
	s_clause 0x1
	s_load_b256 s[40:47], s[24:25], 0x4
	s_load_b128 s[56:59], s[24:25], 0x24
	s_load_b256 s[48:55], s[26:27], 0x0
	s_add_co_i32 s23, s23, 4
	s_wait_xcnt 0x0
	s_add_nc_u64 s[24:25], s[24:25], 48
	s_cmp_eq_u32 s22, s23
	s_add_nc_u64 s[26:27], s[26:27], 32
	s_wait_kmcnt 0x0
	v_mul_hi_u32 v4, s41, v1
	s_delay_alu instid0(VALU_DEP_1) | instskip(NEXT) | instid1(VALU_DEP_1)
	v_add_nc_u32_e32 v4, v1, v4
	v_lshrrev_b32_e32 v4, s42, v4
	s_delay_alu instid0(VALU_DEP_1) | instskip(NEXT) | instid1(VALU_DEP_1)
	v_mul_hi_u32 v5, s44, v4
	v_add_nc_u32_e32 v5, v4, v5
	s_delay_alu instid0(VALU_DEP_1) | instskip(NEXT) | instid1(VALU_DEP_1)
	v_lshrrev_b32_e32 v5, s45, v5
	v_mul_hi_u32 v6, s47, v5
	s_delay_alu instid0(VALU_DEP_1) | instskip(SKIP_1) | instid1(VALU_DEP_1)
	v_add_nc_u32_e32 v6, v5, v6
	v_mul_lo_u32 v7, v4, s40
	v_sub_nc_u32_e32 v1, v1, v7
	v_mul_lo_u32 v7, v5, s43
	s_delay_alu instid0(VALU_DEP_4) | instskip(NEXT) | instid1(VALU_DEP_3)
	v_lshrrev_b32_e32 v6, s56, v6
	v_mad_u32 v3, v1, s49, v3
	v_mad_u32 v1, v1, s48, v2
	s_delay_alu instid0(VALU_DEP_4) | instskip(NEXT) | instid1(VALU_DEP_4)
	v_sub_nc_u32_e32 v2, v4, v7
	v_mul_hi_u32 v8, s58, v6
	v_mul_lo_u32 v4, v6, s46
	s_delay_alu instid0(VALU_DEP_3) | instskip(SKIP_1) | instid1(VALU_DEP_4)
	v_mad_u32 v3, v2, s51, v3
	v_mad_u32 v2, v2, s50, v1
	v_add_nc_u32_e32 v7, v6, v8
	s_delay_alu instid0(VALU_DEP_1) | instskip(NEXT) | instid1(VALU_DEP_1)
	v_dual_sub_nc_u32 v4, v5, v4 :: v_dual_lshrrev_b32 v1, s59, v7
	v_mad_u32 v3, v4, s53, v3
	s_delay_alu instid0(VALU_DEP_4) | instskip(NEXT) | instid1(VALU_DEP_3)
	v_mad_u32 v2, v4, s52, v2
	v_mul_lo_u32 v5, v1, s57
	s_delay_alu instid0(VALU_DEP_1) | instskip(NEXT) | instid1(VALU_DEP_1)
	v_sub_nc_u32_e32 v4, v6, v5
	v_mad_u32 v3, v4, s55, v3
	s_delay_alu instid0(VALU_DEP_4)
	v_mad_u32 v2, v4, s54, v2
	s_cbranch_scc0 .LBB7_19
	s_branch .LBB7_112
.LBB7_20:
	s_mov_b32 s6, -1
                                        ; implicit-def: $vgpr3
	s_branch .LBB7_27
.LBB7_21:
                                        ; implicit-def: $vgpr3
	s_branch .LBB7_96
.LBB7_22:
                                        ; implicit-def: $vgpr3
	s_branch .LBB7_116
.LBB7_23:
	v_dual_mov_b32 v3, 0 :: v_dual_mov_b32 v2, 0
	s_branch .LBB7_27
.LBB7_24:
	v_mov_b64_e32 v[2:3], 0
	v_mov_b32_e32 v1, v0
	s_mov_b32 s0, 0
	s_and_b32 s4, s1, 3
	s_mov_b32 s1, 0
	s_cmp_eq_u32 s4, 0
	s_cbranch_scc1 .LBB7_27
.LBB7_25:
	s_lshl_b32 s2, s0, 3
	s_mov_b32 s3, s1
	s_mul_u64 s[8:9], s[0:1], 12
	s_add_nc_u64 s[2:3], s[12:13], s[2:3]
	s_delay_alu instid0(SALU_CYCLE_1)
	s_add_nc_u64 s[0:1], s[2:3], 0xc4
	s_add_nc_u64 s[2:3], s[12:13], s[8:9]
.LBB7_26:                               ; =>This Inner Loop Header: Depth=1
	s_load_b96 s[8:10], s[2:3], 0x4
	s_add_co_i32 s4, s4, -1
	s_wait_xcnt 0x0
	s_add_nc_u64 s[2:3], s[2:3], 12
	s_cmp_lg_u32 s4, 0
	s_wait_kmcnt 0x0
	v_mul_hi_u32 v4, s9, v1
	s_delay_alu instid0(VALU_DEP_1) | instskip(NEXT) | instid1(VALU_DEP_1)
	v_add_nc_u32_e32 v4, v1, v4
	v_lshrrev_b32_e32 v4, s10, v4
	s_load_b64 s[10:11], s[0:1], 0x0
	s_wait_xcnt 0x0
	s_add_nc_u64 s[0:1], s[0:1], 8
	s_delay_alu instid0(VALU_DEP_1) | instskip(NEXT) | instid1(VALU_DEP_1)
	v_mul_lo_u32 v5, v4, s8
	v_sub_nc_u32_e32 v1, v1, v5
	s_wait_kmcnt 0x0
	s_delay_alu instid0(VALU_DEP_1)
	v_mad_u32 v3, v1, s11, v3
	v_mad_u32 v2, v1, s10, v2
	v_mov_b32_e32 v1, v4
	s_cbranch_scc1 .LBB7_26
.LBB7_27:
	s_and_not1_b32 vcc_lo, exec_lo, s6
	s_cbranch_vccnz .LBB7_30
; %bb.28:
	s_clause 0x1
	s_load_b96 s[0:2], s[12:13], 0x4
	s_load_b64 s[4:5], s[12:13], 0xc4
	s_cmp_lt_u32 s28, 2
	s_wait_kmcnt 0x0
	v_mul_hi_u32 v1, s1, v0
	s_delay_alu instid0(VALU_DEP_1) | instskip(NEXT) | instid1(VALU_DEP_1)
	v_add_nc_u32_e32 v1, v0, v1
	v_lshrrev_b32_e32 v1, s2, v1
	s_delay_alu instid0(VALU_DEP_1) | instskip(NEXT) | instid1(VALU_DEP_1)
	v_mul_lo_u32 v2, v1, s0
	v_sub_nc_u32_e32 v2, v0, v2
	s_delay_alu instid0(VALU_DEP_1)
	v_mul_lo_u32 v3, v2, s5
	v_mul_lo_u32 v2, v2, s4
	s_cbranch_scc1 .LBB7_30
; %bb.29:
	s_clause 0x1
	s_load_b96 s[0:2], s[12:13], 0x10
	s_load_b64 s[4:5], s[12:13], 0xcc
	s_wait_kmcnt 0x0
	v_mul_hi_u32 v4, s1, v1
	s_delay_alu instid0(VALU_DEP_1) | instskip(NEXT) | instid1(VALU_DEP_1)
	v_add_nc_u32_e32 v4, v1, v4
	v_lshrrev_b32_e32 v4, s2, v4
	s_delay_alu instid0(VALU_DEP_1) | instskip(NEXT) | instid1(VALU_DEP_1)
	v_mul_lo_u32 v4, v4, s0
	v_sub_nc_u32_e32 v1, v1, v4
	s_delay_alu instid0(VALU_DEP_1)
	v_mad_u32 v2, v1, s4, v2
	v_mad_u32 v3, v1, s5, v3
.LBB7_30:
	v_cmp_ne_u32_e32 vcc_lo, 1, v6
	v_add_nc_u32_e32 v1, 0x80, v0
	s_cbranch_vccnz .LBB7_36
; %bb.31:
	s_cmp_lg_u32 s28, 0
	s_mov_b32 s6, 0
	s_cbranch_scc0 .LBB7_37
; %bb.32:
	s_min_u32 s1, s29, 15
	s_delay_alu instid0(SALU_CYCLE_1)
	s_add_co_i32 s1, s1, 1
	s_cmp_eq_u32 s29, 2
	s_cbranch_scc1 .LBB7_38
; %bb.33:
	v_dual_mov_b32 v4, 0 :: v_dual_mov_b32 v5, 0
	v_mov_b32_e32 v7, v1
	s_and_b32 s0, s1, 28
	s_add_nc_u64 s[2:3], s[12:13], 0xc4
	s_mov_b32 s7, 0
	s_mov_b64 s[4:5], s[12:13]
.LBB7_34:                               ; =>This Inner Loop Header: Depth=1
	s_clause 0x1
	s_load_b256 s[16:23], s[4:5], 0x4
	s_load_b128 s[8:11], s[4:5], 0x24
	s_load_b256 s[36:43], s[2:3], 0x0
	s_add_co_i32 s7, s7, 4
	s_wait_xcnt 0x0
	s_add_nc_u64 s[4:5], s[4:5], 48
	s_cmp_lg_u32 s0, s7
	s_add_nc_u64 s[2:3], s[2:3], 32
	s_wait_kmcnt 0x0
	v_mul_hi_u32 v9, s17, v7
	s_delay_alu instid0(VALU_DEP_1) | instskip(NEXT) | instid1(VALU_DEP_1)
	v_add_nc_u32_e32 v9, v7, v9
	v_lshrrev_b32_e32 v9, s18, v9
	s_delay_alu instid0(VALU_DEP_1) | instskip(NEXT) | instid1(VALU_DEP_1)
	v_mul_hi_u32 v10, s20, v9
	v_add_nc_u32_e32 v10, v9, v10
	s_delay_alu instid0(VALU_DEP_1) | instskip(NEXT) | instid1(VALU_DEP_1)
	v_lshrrev_b32_e32 v10, s21, v10
	v_mul_hi_u32 v11, s23, v10
	s_delay_alu instid0(VALU_DEP_1) | instskip(SKIP_1) | instid1(VALU_DEP_1)
	v_add_nc_u32_e32 v11, v10, v11
	v_mul_lo_u32 v12, v9, s16
	v_sub_nc_u32_e32 v7, v7, v12
	v_mul_lo_u32 v12, v10, s19
	s_delay_alu instid0(VALU_DEP_4) | instskip(NEXT) | instid1(VALU_DEP_3)
	v_lshrrev_b32_e32 v11, s8, v11
	v_mad_u32 v5, v7, s37, v5
	v_mad_u32 v4, v7, s36, v4
	s_delay_alu instid0(VALU_DEP_4) | instskip(NEXT) | instid1(VALU_DEP_4)
	v_sub_nc_u32_e32 v7, v9, v12
	v_mul_hi_u32 v13, s10, v11
	v_mul_lo_u32 v9, v11, s22
	s_delay_alu instid0(VALU_DEP_3) | instskip(SKIP_1) | instid1(VALU_DEP_4)
	v_mad_u32 v5, v7, s39, v5
	v_mad_u32 v4, v7, s38, v4
	v_add_nc_u32_e32 v12, v11, v13
	s_delay_alu instid0(VALU_DEP_1) | instskip(NEXT) | instid1(VALU_DEP_1)
	v_dual_sub_nc_u32 v9, v10, v9 :: v_dual_lshrrev_b32 v7, s11, v12
	v_mad_u32 v5, v9, s41, v5
	s_delay_alu instid0(VALU_DEP_4) | instskip(NEXT) | instid1(VALU_DEP_3)
	v_mad_u32 v4, v9, s40, v4
	v_mul_lo_u32 v10, v7, s9
	s_delay_alu instid0(VALU_DEP_1) | instskip(NEXT) | instid1(VALU_DEP_1)
	v_sub_nc_u32_e32 v9, v11, v10
	v_mad_u32 v5, v9, s43, v5
	s_delay_alu instid0(VALU_DEP_4)
	v_mad_u32 v4, v9, s42, v4
	s_cbranch_scc1 .LBB7_34
; %bb.35:
	s_and_b32 s4, s1, 3
	s_mov_b32 s1, 0
	s_cmp_eq_u32 s4, 0
	s_cbranch_scc0 .LBB7_39
	s_branch .LBB7_41
.LBB7_36:
	s_mov_b32 s6, -1
                                        ; implicit-def: $vgpr5
	s_branch .LBB7_41
.LBB7_37:
	v_dual_mov_b32 v5, 0 :: v_dual_mov_b32 v4, 0
	s_branch .LBB7_41
.LBB7_38:
	v_mov_b64_e32 v[4:5], 0
	v_mov_b32_e32 v7, v1
	s_mov_b32 s0, 0
	s_and_b32 s4, s1, 3
	s_mov_b32 s1, 0
	s_cmp_eq_u32 s4, 0
	s_cbranch_scc1 .LBB7_41
.LBB7_39:
	s_lshl_b32 s2, s0, 3
	s_mov_b32 s3, s1
	s_mul_u64 s[8:9], s[0:1], 12
	s_add_nc_u64 s[2:3], s[12:13], s[2:3]
	s_delay_alu instid0(SALU_CYCLE_1)
	s_add_nc_u64 s[0:1], s[2:3], 0xc4
	s_add_nc_u64 s[2:3], s[12:13], s[8:9]
.LBB7_40:                               ; =>This Inner Loop Header: Depth=1
	s_load_b96 s[8:10], s[2:3], 0x4
	s_add_co_i32 s4, s4, -1
	s_wait_xcnt 0x0
	s_add_nc_u64 s[2:3], s[2:3], 12
	s_cmp_lg_u32 s4, 0
	s_wait_kmcnt 0x0
	v_mul_hi_u32 v9, s9, v7
	s_delay_alu instid0(VALU_DEP_1) | instskip(NEXT) | instid1(VALU_DEP_1)
	v_add_nc_u32_e32 v9, v7, v9
	v_lshrrev_b32_e32 v9, s10, v9
	s_load_b64 s[10:11], s[0:1], 0x0
	s_wait_xcnt 0x0
	s_add_nc_u64 s[0:1], s[0:1], 8
	s_delay_alu instid0(VALU_DEP_1) | instskip(NEXT) | instid1(VALU_DEP_1)
	v_mul_lo_u32 v10, v9, s8
	v_sub_nc_u32_e32 v7, v7, v10
	s_wait_kmcnt 0x0
	s_delay_alu instid0(VALU_DEP_1)
	v_mad_u32 v5, v7, s11, v5
	v_mad_u32 v4, v7, s10, v4
	v_mov_b32_e32 v7, v9
	s_cbranch_scc1 .LBB7_40
.LBB7_41:
	s_and_not1_b32 vcc_lo, exec_lo, s6
	s_cbranch_vccnz .LBB7_44
; %bb.42:
	s_clause 0x1
	s_load_b96 s[0:2], s[12:13], 0x4
	s_load_b64 s[4:5], s[12:13], 0xc4
	s_cmp_lt_u32 s28, 2
	s_wait_kmcnt 0x0
	v_mul_hi_u32 v4, s1, v1
	s_delay_alu instid0(VALU_DEP_1) | instskip(NEXT) | instid1(VALU_DEP_1)
	v_add_nc_u32_e32 v4, v1, v4
	v_lshrrev_b32_e32 v7, s2, v4
	s_delay_alu instid0(VALU_DEP_1) | instskip(NEXT) | instid1(VALU_DEP_1)
	v_mul_lo_u32 v4, v7, s0
	v_sub_nc_u32_e32 v1, v1, v4
	s_delay_alu instid0(VALU_DEP_1)
	v_mul_lo_u32 v5, v1, s5
	v_mul_lo_u32 v4, v1, s4
	s_cbranch_scc1 .LBB7_44
; %bb.43:
	s_clause 0x1
	s_load_b96 s[0:2], s[12:13], 0x10
	s_load_b64 s[4:5], s[12:13], 0xcc
	s_wait_kmcnt 0x0
	v_mul_hi_u32 v1, s1, v7
	s_delay_alu instid0(VALU_DEP_1) | instskip(NEXT) | instid1(VALU_DEP_1)
	v_add_nc_u32_e32 v1, v7, v1
	v_lshrrev_b32_e32 v1, s2, v1
	s_delay_alu instid0(VALU_DEP_1) | instskip(NEXT) | instid1(VALU_DEP_1)
	v_mul_lo_u32 v1, v1, s0
	v_sub_nc_u32_e32 v1, v7, v1
	s_delay_alu instid0(VALU_DEP_1)
	v_mad_u32 v4, v1, s4, v4
	v_mad_u32 v5, v1, s5, v5
.LBB7_44:
	v_cmp_ne_u32_e32 vcc_lo, 1, v6
	v_add_nc_u32_e32 v7, 0x100, v0
	s_cbranch_vccnz .LBB7_50
; %bb.45:
	s_cmp_lg_u32 s28, 0
	s_mov_b32 s6, 0
	s_cbranch_scc0 .LBB7_51
; %bb.46:
	s_min_u32 s1, s29, 15
	s_delay_alu instid0(SALU_CYCLE_1)
	s_add_co_i32 s1, s1, 1
	s_cmp_eq_u32 s29, 2
	s_cbranch_scc1 .LBB7_52
; %bb.47:
	v_dual_mov_b32 v0, 0 :: v_dual_mov_b32 v1, 0
	v_mov_b32_e32 v9, v7
	s_and_b32 s0, s1, 28
	s_add_nc_u64 s[2:3], s[12:13], 0xc4
	s_mov_b32 s7, 0
	s_mov_b64 s[4:5], s[12:13]
.LBB7_48:                               ; =>This Inner Loop Header: Depth=1
	s_clause 0x1
	s_load_b256 s[16:23], s[4:5], 0x4
	s_load_b128 s[8:11], s[4:5], 0x24
	s_load_b256 s[36:43], s[2:3], 0x0
	s_add_co_i32 s7, s7, 4
	s_wait_xcnt 0x0
	s_add_nc_u64 s[4:5], s[4:5], 48
	s_cmp_lg_u32 s0, s7
	s_add_nc_u64 s[2:3], s[2:3], 32
	s_wait_kmcnt 0x0
	v_mul_hi_u32 v10, s17, v9
	s_delay_alu instid0(VALU_DEP_1) | instskip(NEXT) | instid1(VALU_DEP_1)
	v_add_nc_u32_e32 v10, v9, v10
	v_lshrrev_b32_e32 v10, s18, v10
	s_delay_alu instid0(VALU_DEP_1) | instskip(NEXT) | instid1(VALU_DEP_1)
	v_mul_hi_u32 v11, s20, v10
	v_add_nc_u32_e32 v11, v10, v11
	s_delay_alu instid0(VALU_DEP_1) | instskip(NEXT) | instid1(VALU_DEP_1)
	v_lshrrev_b32_e32 v11, s21, v11
	v_mul_hi_u32 v12, s23, v11
	s_delay_alu instid0(VALU_DEP_1) | instskip(SKIP_1) | instid1(VALU_DEP_1)
	v_add_nc_u32_e32 v12, v11, v12
	v_mul_lo_u32 v13, v10, s16
	v_sub_nc_u32_e32 v9, v9, v13
	v_mul_lo_u32 v13, v11, s19
	s_delay_alu instid0(VALU_DEP_4) | instskip(NEXT) | instid1(VALU_DEP_3)
	v_lshrrev_b32_e32 v12, s8, v12
	v_mad_u32 v1, v9, s37, v1
	v_mad_u32 v0, v9, s36, v0
	s_delay_alu instid0(VALU_DEP_4) | instskip(NEXT) | instid1(VALU_DEP_4)
	v_sub_nc_u32_e32 v9, v10, v13
	v_mul_hi_u32 v14, s10, v12
	v_mul_lo_u32 v10, v12, s22
	s_delay_alu instid0(VALU_DEP_3) | instskip(SKIP_1) | instid1(VALU_DEP_4)
	v_mad_u32 v1, v9, s39, v1
	v_mad_u32 v0, v9, s38, v0
	v_add_nc_u32_e32 v13, v12, v14
	s_delay_alu instid0(VALU_DEP_1) | instskip(NEXT) | instid1(VALU_DEP_1)
	v_dual_sub_nc_u32 v10, v11, v10 :: v_dual_lshrrev_b32 v9, s11, v13
	v_mad_u32 v1, v10, s41, v1
	s_delay_alu instid0(VALU_DEP_4) | instskip(NEXT) | instid1(VALU_DEP_3)
	v_mad_u32 v0, v10, s40, v0
	v_mul_lo_u32 v11, v9, s9
	s_delay_alu instid0(VALU_DEP_1) | instskip(NEXT) | instid1(VALU_DEP_1)
	v_sub_nc_u32_e32 v10, v12, v11
	v_mad_u32 v1, v10, s43, v1
	s_delay_alu instid0(VALU_DEP_4)
	v_mad_u32 v0, v10, s42, v0
	s_cbranch_scc1 .LBB7_48
; %bb.49:
	s_and_b32 s4, s1, 3
	s_mov_b32 s1, 0
	s_cmp_eq_u32 s4, 0
	s_cbranch_scc0 .LBB7_53
	s_branch .LBB7_55
.LBB7_50:
	s_mov_b32 s6, -1
                                        ; implicit-def: $vgpr1
	s_branch .LBB7_55
.LBB7_51:
	v_dual_mov_b32 v1, 0 :: v_dual_mov_b32 v0, 0
	s_branch .LBB7_55
.LBB7_52:
	v_mov_b64_e32 v[0:1], 0
	v_mov_b32_e32 v9, v7
	s_mov_b32 s0, 0
	s_and_b32 s4, s1, 3
	s_mov_b32 s1, 0
	s_cmp_eq_u32 s4, 0
	s_cbranch_scc1 .LBB7_55
.LBB7_53:
	s_lshl_b32 s2, s0, 3
	s_mov_b32 s3, s1
	s_mul_u64 s[8:9], s[0:1], 12
	s_add_nc_u64 s[2:3], s[12:13], s[2:3]
	s_delay_alu instid0(SALU_CYCLE_1)
	s_add_nc_u64 s[0:1], s[2:3], 0xc4
	s_add_nc_u64 s[2:3], s[12:13], s[8:9]
.LBB7_54:                               ; =>This Inner Loop Header: Depth=1
	s_load_b96 s[8:10], s[2:3], 0x4
	s_add_co_i32 s4, s4, -1
	s_wait_xcnt 0x0
	s_add_nc_u64 s[2:3], s[2:3], 12
	s_cmp_lg_u32 s4, 0
	s_wait_kmcnt 0x0
	v_mul_hi_u32 v10, s9, v9
	s_delay_alu instid0(VALU_DEP_1) | instskip(NEXT) | instid1(VALU_DEP_1)
	v_add_nc_u32_e32 v10, v9, v10
	v_lshrrev_b32_e32 v10, s10, v10
	s_load_b64 s[10:11], s[0:1], 0x0
	s_wait_xcnt 0x0
	s_add_nc_u64 s[0:1], s[0:1], 8
	s_delay_alu instid0(VALU_DEP_1) | instskip(NEXT) | instid1(VALU_DEP_1)
	v_mul_lo_u32 v11, v10, s8
	v_sub_nc_u32_e32 v9, v9, v11
	s_wait_kmcnt 0x0
	s_delay_alu instid0(VALU_DEP_1)
	v_mad_u32 v1, v9, s11, v1
	v_mad_u32 v0, v9, s10, v0
	v_mov_b32_e32 v9, v10
	s_cbranch_scc1 .LBB7_54
.LBB7_55:
	s_and_not1_b32 vcc_lo, exec_lo, s6
	s_cbranch_vccnz .LBB7_58
; %bb.56:
	s_clause 0x1
	s_load_b96 s[0:2], s[12:13], 0x4
	s_load_b64 s[4:5], s[12:13], 0xc4
	s_cmp_lt_u32 s28, 2
	s_wait_kmcnt 0x0
	v_mul_hi_u32 v0, s1, v7
	s_delay_alu instid0(VALU_DEP_1) | instskip(NEXT) | instid1(VALU_DEP_1)
	v_add_nc_u32_e32 v0, v7, v0
	v_lshrrev_b32_e32 v9, s2, v0
	s_delay_alu instid0(VALU_DEP_1) | instskip(NEXT) | instid1(VALU_DEP_1)
	v_mul_lo_u32 v0, v9, s0
	v_sub_nc_u32_e32 v0, v7, v0
	s_delay_alu instid0(VALU_DEP_1)
	v_mul_lo_u32 v1, v0, s5
	v_mul_lo_u32 v0, v0, s4
	s_cbranch_scc1 .LBB7_58
; %bb.57:
	s_clause 0x1
	s_load_b96 s[0:2], s[12:13], 0x10
	s_load_b64 s[4:5], s[12:13], 0xcc
	s_wait_kmcnt 0x0
	v_mul_hi_u32 v7, s1, v9
	s_delay_alu instid0(VALU_DEP_1) | instskip(NEXT) | instid1(VALU_DEP_1)
	v_add_nc_u32_e32 v7, v9, v7
	v_lshrrev_b32_e32 v7, s2, v7
	s_delay_alu instid0(VALU_DEP_1) | instskip(NEXT) | instid1(VALU_DEP_1)
	v_mul_lo_u32 v7, v7, s0
	v_sub_nc_u32_e32 v7, v9, v7
	s_delay_alu instid0(VALU_DEP_1)
	v_mad_u32 v0, v7, s4, v0
	v_mad_u32 v1, v7, s5, v1
.LBB7_58:
	v_cmp_ne_u32_e32 vcc_lo, 1, v6
	s_cbranch_vccnz .LBB7_64
; %bb.59:
	s_cmp_lg_u32 s28, 0
	s_mov_b32 s6, 0
	s_cbranch_scc0 .LBB7_65
; %bb.60:
	s_min_u32 s1, s29, 15
	s_delay_alu instid0(SALU_CYCLE_1)
	s_add_co_i32 s1, s1, 1
	s_cmp_eq_u32 s29, 2
	s_cbranch_scc1 .LBB7_66
; %bb.61:
	v_dual_mov_b32 v6, 0 :: v_dual_mov_b32 v7, 0
	v_mov_b32_e32 v9, v8
	s_and_b32 s0, s1, 28
	s_add_nc_u64 s[2:3], s[12:13], 0xc4
	s_mov_b32 s7, 0
	s_mov_b64 s[4:5], s[12:13]
.LBB7_62:                               ; =>This Inner Loop Header: Depth=1
	s_clause 0x1
	s_load_b256 s[16:23], s[4:5], 0x4
	s_load_b128 s[8:11], s[4:5], 0x24
	s_load_b256 s[36:43], s[2:3], 0x0
	s_add_co_i32 s7, s7, 4
	s_wait_xcnt 0x0
	s_add_nc_u64 s[4:5], s[4:5], 48
	s_cmp_lg_u32 s0, s7
	s_add_nc_u64 s[2:3], s[2:3], 32
	s_wait_kmcnt 0x0
	v_mul_hi_u32 v10, s17, v9
	s_delay_alu instid0(VALU_DEP_1) | instskip(NEXT) | instid1(VALU_DEP_1)
	v_add_nc_u32_e32 v10, v9, v10
	v_lshrrev_b32_e32 v10, s18, v10
	s_delay_alu instid0(VALU_DEP_1) | instskip(NEXT) | instid1(VALU_DEP_1)
	v_mul_hi_u32 v11, s20, v10
	v_add_nc_u32_e32 v11, v10, v11
	s_delay_alu instid0(VALU_DEP_1) | instskip(NEXT) | instid1(VALU_DEP_1)
	v_lshrrev_b32_e32 v11, s21, v11
	v_mul_hi_u32 v12, s23, v11
	s_delay_alu instid0(VALU_DEP_1) | instskip(SKIP_1) | instid1(VALU_DEP_1)
	v_add_nc_u32_e32 v12, v11, v12
	v_mul_lo_u32 v13, v10, s16
	v_sub_nc_u32_e32 v9, v9, v13
	v_mul_lo_u32 v13, v11, s19
	s_delay_alu instid0(VALU_DEP_4) | instskip(NEXT) | instid1(VALU_DEP_3)
	v_lshrrev_b32_e32 v12, s8, v12
	v_mad_u32 v7, v9, s37, v7
	v_mad_u32 v6, v9, s36, v6
	s_delay_alu instid0(VALU_DEP_4) | instskip(NEXT) | instid1(VALU_DEP_4)
	v_sub_nc_u32_e32 v9, v10, v13
	v_mul_hi_u32 v14, s10, v12
	v_mul_lo_u32 v10, v12, s22
	s_delay_alu instid0(VALU_DEP_3) | instskip(SKIP_1) | instid1(VALU_DEP_4)
	v_mad_u32 v7, v9, s39, v7
	v_mad_u32 v6, v9, s38, v6
	v_add_nc_u32_e32 v13, v12, v14
	s_delay_alu instid0(VALU_DEP_1) | instskip(NEXT) | instid1(VALU_DEP_1)
	v_dual_sub_nc_u32 v10, v11, v10 :: v_dual_lshrrev_b32 v9, s11, v13
	v_mad_u32 v7, v10, s41, v7
	s_delay_alu instid0(VALU_DEP_4) | instskip(NEXT) | instid1(VALU_DEP_3)
	v_mad_u32 v6, v10, s40, v6
	v_mul_lo_u32 v11, v9, s9
	s_delay_alu instid0(VALU_DEP_1) | instskip(NEXT) | instid1(VALU_DEP_1)
	v_sub_nc_u32_e32 v10, v12, v11
	v_mad_u32 v7, v10, s43, v7
	s_delay_alu instid0(VALU_DEP_4)
	v_mad_u32 v6, v10, s42, v6
	s_cbranch_scc1 .LBB7_62
; %bb.63:
	s_and_b32 s4, s1, 3
	s_mov_b32 s1, 0
	s_cmp_eq_u32 s4, 0
	s_cbranch_scc0 .LBB7_67
	s_branch .LBB7_69
.LBB7_64:
	s_mov_b32 s6, -1
                                        ; implicit-def: $vgpr7
	s_branch .LBB7_69
.LBB7_65:
	v_dual_mov_b32 v7, 0 :: v_dual_mov_b32 v6, 0
	s_branch .LBB7_69
.LBB7_66:
	v_mov_b64_e32 v[6:7], 0
	v_mov_b32_e32 v9, v8
	s_mov_b32 s0, 0
	s_and_b32 s4, s1, 3
	s_mov_b32 s1, 0
	s_cmp_eq_u32 s4, 0
	s_cbranch_scc1 .LBB7_69
.LBB7_67:
	s_lshl_b32 s2, s0, 3
	s_mov_b32 s3, s1
	s_mul_u64 s[8:9], s[0:1], 12
	s_add_nc_u64 s[2:3], s[12:13], s[2:3]
	s_delay_alu instid0(SALU_CYCLE_1)
	s_add_nc_u64 s[0:1], s[2:3], 0xc4
	s_add_nc_u64 s[2:3], s[12:13], s[8:9]
.LBB7_68:                               ; =>This Inner Loop Header: Depth=1
	s_load_b96 s[8:10], s[2:3], 0x4
	s_add_co_i32 s4, s4, -1
	s_wait_xcnt 0x0
	s_add_nc_u64 s[2:3], s[2:3], 12
	s_cmp_lg_u32 s4, 0
	s_wait_kmcnt 0x0
	v_mul_hi_u32 v10, s9, v9
	s_delay_alu instid0(VALU_DEP_1) | instskip(NEXT) | instid1(VALU_DEP_1)
	v_add_nc_u32_e32 v10, v9, v10
	v_lshrrev_b32_e32 v10, s10, v10
	s_load_b64 s[10:11], s[0:1], 0x0
	s_wait_xcnt 0x0
	s_add_nc_u64 s[0:1], s[0:1], 8
	s_delay_alu instid0(VALU_DEP_1) | instskip(NEXT) | instid1(VALU_DEP_1)
	v_mul_lo_u32 v11, v10, s8
	v_sub_nc_u32_e32 v9, v9, v11
	s_wait_kmcnt 0x0
	s_delay_alu instid0(VALU_DEP_1)
	v_mad_u32 v7, v9, s11, v7
	v_mad_u32 v6, v9, s10, v6
	v_mov_b32_e32 v9, v10
	s_cbranch_scc1 .LBB7_68
.LBB7_69:
	s_and_not1_b32 vcc_lo, exec_lo, s6
	s_cbranch_vccnz .LBB7_72
; %bb.70:
	s_clause 0x1
	s_load_b96 s[0:2], s[12:13], 0x4
	s_load_b64 s[4:5], s[12:13], 0xc4
	s_cmp_lt_u32 s28, 2
	s_wait_kmcnt 0x0
	v_mul_hi_u32 v6, s1, v8
	s_delay_alu instid0(VALU_DEP_1) | instskip(NEXT) | instid1(VALU_DEP_1)
	v_add_nc_u32_e32 v6, v8, v6
	v_lshrrev_b32_e32 v9, s2, v6
	s_delay_alu instid0(VALU_DEP_1) | instskip(NEXT) | instid1(VALU_DEP_1)
	v_mul_lo_u32 v6, v9, s0
	v_sub_nc_u32_e32 v6, v8, v6
	s_delay_alu instid0(VALU_DEP_1)
	v_mul_lo_u32 v7, v6, s5
	v_mul_lo_u32 v6, v6, s4
	s_cbranch_scc1 .LBB7_72
; %bb.71:
	s_clause 0x1
	s_load_b96 s[0:2], s[12:13], 0x10
	s_load_b64 s[4:5], s[12:13], 0xcc
	s_wait_kmcnt 0x0
	v_mul_hi_u32 v8, s1, v9
	s_delay_alu instid0(VALU_DEP_1) | instskip(NEXT) | instid1(VALU_DEP_1)
	v_add_nc_u32_e32 v8, v9, v8
	v_lshrrev_b32_e32 v8, s2, v8
	s_delay_alu instid0(VALU_DEP_1) | instskip(NEXT) | instid1(VALU_DEP_1)
	v_mul_lo_u32 v8, v8, s0
	v_sub_nc_u32_e32 v8, v9, v8
	s_delay_alu instid0(VALU_DEP_1)
	v_mad_u32 v6, v8, s4, v6
	v_mad_u32 v7, v8, s5, v7
.LBB7_72:
	s_load_b128 s[0:3], s[12:13], 0x148
                                        ; implicit-def: $vgpr8_vgpr9
	s_wait_kmcnt 0x0
	global_load_b64 v[10:11], v3, s[2:3]
	s_wait_loadcnt 0x0
	v_cmp_ge_f64_e64 s4, 0x40200000, |v[10:11]|
	s_wait_xcnt 0x0
	s_and_saveexec_b32 s5, s4
	s_delay_alu instid0(SALU_CYCLE_1)
	s_xor_b32 s4, exec_lo, s5
	s_cbranch_execz .LBB7_74
; %bb.73:
	v_fma_f64 v[8:9], |v[10:11]|, 0.5, -2.0
	s_mov_b64 s[6:7], 0xbc545cb72134d0ef
	s_delay_alu instid0(VALU_DEP_1) | instid1(SALU_CYCLE_1)
	v_fmaak_f64 v[12:13], s[6:7], v[8:9], 0x3c833362977da589
	s_mov_b64 s[6:7], 0x3ff71547652b82fe
	s_delay_alu instid0(SALU_CYCLE_1) | instskip(SKIP_1) | instid1(VALU_DEP_2)
	v_mul_f64_e64 v[16:17], |v[10:11]|, s[6:7]
	s_mov_b64 s[6:7], 0xbfe62e42fefa39ef
	v_fmaak_f64 v[14:15], v[8:9], v[12:13], 0x3c545cb72134d0ef
	s_delay_alu instid0(VALU_DEP_1) | instskip(NEXT) | instid1(VALU_DEP_3)
	v_add_f64_e32 v[14:15], 0xbcb184eb721ebbb4, v[14:15]
	v_rndne_f64_e32 v[16:17], v[16:17]
	s_delay_alu instid0(VALU_DEP_2) | instskip(NEXT) | instid1(VALU_DEP_2)
	v_fma_f64 v[12:13], v[8:9], v[14:15], -v[12:13]
	v_fma_f64 v[10:11], v[16:17], s[6:7], |v[10:11]|
	s_mov_b64 s[6:7], 0x3e5ade156a5dcb37
	v_cvt_i32_f64_e32 v3, v[16:17]
	s_delay_alu instid0(VALU_DEP_3) | instskip(NEXT) | instid1(VALU_DEP_3)
	v_add_f64_e32 v[12:13], 0x3cdee6d893f65eba, v[12:13]
	v_fmamk_f64 v[10:11], v[16:17], 0xbc7abc9e3b39803f, v[10:11]
	s_delay_alu instid0(VALU_DEP_1) | instskip(NEXT) | instid1(VALU_DEP_3)
	v_fmaak_f64 v[18:19], s[6:7], v[10:11], 0x3e928af3fca7ab0c
	v_fma_f64 v[14:15], v[8:9], v[12:13], -v[14:15]
	s_delay_alu instid0(VALU_DEP_2) | instskip(NEXT) | instid1(VALU_DEP_1)
	v_fmaak_f64 v[18:19], v[10:11], v[18:19], 0x3ec71dee623fde64
	v_fmaak_f64 v[18:19], v[10:11], v[18:19], 0x3efa01997c89e6b0
	s_delay_alu instid0(VALU_DEP_1) | instskip(NEXT) | instid1(VALU_DEP_1)
	v_fmaak_f64 v[18:19], v[10:11], v[18:19], 0x3f2a01a014761f6e
	v_fmaak_f64 v[18:19], v[10:11], v[18:19], 0x3f56c16c1852b7b0
	v_add_f64_e32 v[14:15], 0xbd0a5022c297fbeb, v[14:15]
	s_delay_alu instid0(VALU_DEP_1) | instskip(NEXT) | instid1(VALU_DEP_1)
	v_fma_f64 v[12:13], v[8:9], v[14:15], -v[12:13]
	v_add_f64_e32 v[12:13], 0x3d359b464b262627, v[12:13]
	s_delay_alu instid0(VALU_DEP_1) | instskip(NEXT) | instid1(VALU_DEP_1)
	v_fma_f64 v[14:15], v[8:9], v[12:13], -v[14:15]
	;; [unrolled: 3-line block ×24, first 2 shown]
	v_add_f64_e32 v[14:15], 0xbfd37febc057cd8d, v[14:15]
	s_delay_alu instid0(VALU_DEP_1) | instskip(SKIP_1) | instid1(VALU_DEP_1)
	v_fma_f64 v[8:9], v[8:9], v[14:15], -v[12:13]
	v_fmaak_f64 v[14:15], v[10:11], v[18:19], 0x3f81111111122322
	v_fmaak_f64 v[14:15], v[10:11], v[14:15], 0x3fa55555555502a1
	s_delay_alu instid0(VALU_DEP_1) | instskip(NEXT) | instid1(VALU_DEP_1)
	v_fmaak_f64 v[14:15], v[10:11], v[14:15], 0x3fc5555555555511
	v_fmaak_f64 v[14:15], v[10:11], v[14:15], 0x3fe000000000000b
	s_delay_alu instid0(VALU_DEP_1) | instskip(SKIP_1) | instid1(VALU_DEP_2)
	v_fma_f64 v[14:15], v[10:11], v[14:15], 1.0
	v_add_f64_e32 v[8:9], 0x3fe5a84e9035a22a, v[8:9]
	v_fma_f64 v[10:11], v[10:11], v[14:15], 1.0
	s_delay_alu instid0(VALU_DEP_2) | instskip(NEXT) | instid1(VALU_DEP_2)
	v_add_f64_e64 v[8:9], v[8:9], -v[12:13]
	v_ldexp_f64 v[10:11], v[10:11], v3
	s_delay_alu instid0(VALU_DEP_2) | instskip(NEXT) | instid1(VALU_DEP_1)
	v_mul_f64_e32 v[8:9], 0.5, v[8:9]
	v_mul_f64_e32 v[8:9], v[10:11], v[8:9]
                                        ; implicit-def: $vgpr10_vgpr11
.LBB7_74:
	s_and_not1_saveexec_b32 s4, s4
	s_cbranch_execz .LBB7_76
; %bb.75:
	v_and_b32_e32 v9, 0x7fffffff, v11
	v_mov_b32_e32 v8, v10
	s_mov_b64 s[6:7], 0xbc60adb754ca8b19
	v_cmp_gt_f64_e64 s5, 0x10000000, |v[10:11]|
	s_delay_alu instid0(VALU_DEP_2) | instskip(SKIP_1) | instid1(VALU_DEP_3)
	v_div_scale_f64 v[12:13], null, v[8:9], v[8:9], 0x40400000
	v_div_scale_f64 v[8:9], vcc_lo, 0x40400000, v[8:9], 0x40400000
	v_cndmask_b32_e64 v3, 0, 0x100, s5
	s_delay_alu instid0(VALU_DEP_3) | instskip(SKIP_1) | instid1(TRANS32_DEP_1)
	v_rcp_f64_e32 v[14:15], v[12:13]
	v_nop
	v_fma_f64 v[16:17], -v[12:13], v[14:15], 1.0
	s_delay_alu instid0(VALU_DEP_1) | instskip(NEXT) | instid1(VALU_DEP_1)
	v_fmac_f64_e32 v[14:15], v[14:15], v[16:17]
	v_fma_f64 v[16:17], -v[12:13], v[14:15], 1.0
	s_delay_alu instid0(VALU_DEP_1) | instskip(NEXT) | instid1(VALU_DEP_1)
	v_fmac_f64_e32 v[14:15], v[14:15], v[16:17]
	v_mul_f64_e32 v[16:17], v[8:9], v[14:15]
	s_delay_alu instid0(VALU_DEP_1) | instskip(NEXT) | instid1(VALU_DEP_1)
	v_fma_f64 v[8:9], -v[12:13], v[16:17], v[8:9]
	v_div_fmas_f64 v[8:9], v[8:9], v[14:15], v[16:17]
	v_ldexp_f64 v[16:17], |v[10:11]|, v3
	v_cmp_nlt_f64_e64 vcc_lo, 0x40900000, |v[10:11]|
	s_delay_alu instid0(VALU_DEP_3) | instskip(NEXT) | instid1(VALU_DEP_3)
	v_div_fixup_f64 v[8:9], v[8:9], |v[10:11]|, 0x40400000
	v_rsq_f64_e32 v[20:21], v[16:17]
	s_delay_alu instid0(VALU_DEP_1) | instskip(NEXT) | instid1(TRANS32_DEP_1)
	v_add_f64_e32 v[8:9], -2.0, v[8:9]
	v_mul_f64_e32 v[22:23], v[16:17], v[20:21]
	v_mul_f64_e32 v[20:21], 0.5, v[20:21]
	s_delay_alu instid0(VALU_DEP_3) | instskip(SKIP_1) | instid1(SALU_CYCLE_1)
	v_fmaak_f64 v[12:13], s[6:7], v[8:9], 0xbc5646da66119130
	s_mov_b64 s[6:7], 0x3ff71547652b82fe
	v_mul_f64_e64 v[18:19], |v[10:11]|, s[6:7]
	s_mov_b64 s[6:7], 0xbfe62e42fefa39ef
	s_delay_alu instid0(VALU_DEP_2) | instskip(NEXT) | instid1(VALU_DEP_4)
	v_fmaak_f64 v[14:15], v[8:9], v[12:13], 0x3c60adb754ca8b19
	v_fma_f64 v[26:27], -v[20:21], v[22:23], 0.5
	s_delay_alu instid0(VALU_DEP_2) | instskip(NEXT) | instid1(VALU_DEP_4)
	v_add_f64_e32 v[14:15], 0x3c89be1812d98421, v[14:15]
	v_rndne_f64_e32 v[18:19], v[18:19]
	s_delay_alu instid0(VALU_DEP_3) | instskip(SKIP_1) | instid1(VALU_DEP_4)
	v_fmac_f64_e32 v[22:23], v[22:23], v[26:27]
	v_fmac_f64_e32 v[20:21], v[20:21], v[26:27]
	v_fma_f64 v[12:13], v[8:9], v[14:15], -v[12:13]
	s_delay_alu instid0(VALU_DEP_4) | instskip(SKIP_2) | instid1(VALU_DEP_3)
	v_fma_f64 v[24:25], v[18:19], s[6:7], |v[10:11]|
	s_mov_b64 s[6:7], 0x3e5ade156a5dcb37
	v_cvt_i32_f64_e32 v3, v[18:19]
	v_add_f64_e32 v[12:13], 0x3c83f3dd076041cd, v[12:13]
	s_delay_alu instid0(VALU_DEP_3) | instskip(NEXT) | instid1(VALU_DEP_1)
	v_fmamk_f64 v[24:25], v[18:19], 0xbc7abc9e3b39803f, v[24:25]
	v_fmaak_f64 v[28:29], s[6:7], v[24:25], 0x3e928af3fca7ab0c
	s_delay_alu instid0(VALU_DEP_3) | instskip(NEXT) | instid1(VALU_DEP_2)
	v_fma_f64 v[14:15], v[8:9], v[12:13], -v[14:15]
	v_fmaak_f64 v[28:29], v[24:25], v[28:29], 0x3ec71dee623fde64
	s_delay_alu instid0(VALU_DEP_1) | instskip(NEXT) | instid1(VALU_DEP_1)
	v_fmaak_f64 v[28:29], v[24:25], v[28:29], 0x3efa01997c89e6b0
	v_fmaak_f64 v[28:29], v[24:25], v[28:29], 0x3f2a01a014761f6e
	s_delay_alu instid0(VALU_DEP_1) | instskip(NEXT) | instid1(VALU_DEP_1)
	v_fmaak_f64 v[28:29], v[24:25], v[28:29], 0x3f56c16c1852b7b0
	v_fmaak_f64 v[28:29], v[24:25], v[28:29], 0x3f81111111122322
	v_add_f64_e32 v[14:15], 0xbcb4600babd21fe4, v[14:15]
	s_delay_alu instid0(VALU_DEP_1) | instskip(NEXT) | instid1(VALU_DEP_1)
	v_fma_f64 v[12:13], v[8:9], v[14:15], -v[12:13]
	v_add_f64_e32 v[12:13], 0xbcb8aee7d908de38, v[12:13]
	s_delay_alu instid0(VALU_DEP_1) | instskip(NEXT) | instid1(VALU_DEP_1)
	v_fma_f64 v[14:15], v[8:9], v[12:13], -v[14:15]
	;; [unrolled: 3-line block ×19, first 2 shown]
	v_add_f64_e32 v[12:13], 0x3f6b998ca2e59049, v[12:13]
	s_delay_alu instid0(VALU_DEP_1) | instskip(SKIP_1) | instid1(VALU_DEP_1)
	v_fma_f64 v[8:9], v[8:9], v[12:13], -v[14:15]
	v_fmaak_f64 v[12:13], v[24:25], v[28:29], 0x3fa55555555502a1
	v_fmaak_f64 v[12:13], v[24:25], v[12:13], 0x3fc5555555555511
	s_delay_alu instid0(VALU_DEP_1) | instskip(NEXT) | instid1(VALU_DEP_1)
	v_fmaak_f64 v[12:13], v[24:25], v[12:13], 0x3fe000000000000b
	v_fma_f64 v[12:13], v[24:25], v[12:13], 1.0
	v_add_f64_e32 v[8:9], 0x3fe9be62aca809cb, v[8:9]
	s_delay_alu instid0(VALU_DEP_2) | instskip(NEXT) | instid1(VALU_DEP_2)
	v_fma_f64 v[12:13], v[24:25], v[12:13], 1.0
	v_add_f64_e64 v[8:9], v[8:9], -v[14:15]
	s_delay_alu instid0(VALU_DEP_2) | instskip(SKIP_1) | instid1(VALU_DEP_3)
	v_ldexp_f64 v[12:13], v[12:13], v3
	v_cndmask_b32_e64 v3, 0, 0xffffff80, s5
	v_mul_f64_e32 v[8:9], 0.5, v[8:9]
	s_delay_alu instid0(VALU_DEP_3) | instskip(NEXT) | instid1(VALU_DEP_4)
	v_cndmask_b32_e32 v11, 0x7ff00000, v13, vcc_lo
	v_cndmask_b32_e32 v10, 0, v12, vcc_lo
	v_cmp_class_f64_e64 vcc_lo, v[16:17], 0x260
	v_fma_f64 v[26:27], -v[22:23], v[22:23], v[16:17]
	s_delay_alu instid0(VALU_DEP_3) | instskip(NEXT) | instid1(VALU_DEP_2)
	v_mul_f64_e32 v[8:9], v[10:11], v[8:9]
	v_fmac_f64_e32 v[22:23], v[26:27], v[20:21]
	s_delay_alu instid0(VALU_DEP_1) | instskip(NEXT) | instid1(VALU_DEP_1)
	v_fma_f64 v[18:19], -v[22:23], v[22:23], v[16:17]
	v_fmac_f64_e32 v[22:23], v[18:19], v[20:21]
	s_delay_alu instid0(VALU_DEP_1) | instskip(NEXT) | instid1(VALU_DEP_1)
	v_ldexp_f64 v[12:13], v[22:23], v3
	v_dual_cndmask_b32 v11, v13, v17 :: v_dual_cndmask_b32 v10, v12, v16
	s_delay_alu instid0(VALU_DEP_1) | instskip(NEXT) | instid1(VALU_DEP_1)
	v_div_scale_f64 v[12:13], null, v[10:11], v[10:11], v[8:9]
	v_rcp_f64_e32 v[14:15], v[12:13]
	v_nop
	s_delay_alu instid0(TRANS32_DEP_1) | instskip(NEXT) | instid1(VALU_DEP_1)
	v_fma_f64 v[16:17], -v[12:13], v[14:15], 1.0
	v_fmac_f64_e32 v[14:15], v[14:15], v[16:17]
	s_delay_alu instid0(VALU_DEP_1) | instskip(NEXT) | instid1(VALU_DEP_1)
	v_fma_f64 v[16:17], -v[12:13], v[14:15], 1.0
	v_fmac_f64_e32 v[14:15], v[14:15], v[16:17]
	v_div_scale_f64 v[16:17], vcc_lo, v[8:9], v[10:11], v[8:9]
	s_delay_alu instid0(VALU_DEP_1) | instskip(NEXT) | instid1(VALU_DEP_1)
	v_mul_f64_e32 v[18:19], v[16:17], v[14:15]
	v_fma_f64 v[12:13], -v[12:13], v[18:19], v[16:17]
	s_delay_alu instid0(VALU_DEP_1) | instskip(NEXT) | instid1(VALU_DEP_1)
	v_div_fmas_f64 v[12:13], v[12:13], v[14:15], v[18:19]
	v_div_fixup_f64 v[8:9], v[12:13], v[10:11], v[8:9]
.LBB7_76:
	s_or_b32 exec_lo, exec_lo, s4
	global_load_b64 v[12:13], v5, s[2:3]
                                        ; implicit-def: $vgpr10_vgpr11
	s_wait_loadcnt 0x0
	v_cmp_ge_f64_e64 s4, 0x40200000, |v[12:13]|
	s_wait_xcnt 0x0
	s_and_saveexec_b32 s5, s4
	s_delay_alu instid0(SALU_CYCLE_1)
	s_xor_b32 s4, exec_lo, s5
	s_cbranch_execz .LBB7_78
; %bb.77:
	v_fma_f64 v[10:11], |v[12:13]|, 0.5, -2.0
	s_mov_b64 s[6:7], 0xbc545cb72134d0ef
	s_delay_alu instid0(VALU_DEP_1) | instid1(SALU_CYCLE_1)
	v_fmaak_f64 v[14:15], s[6:7], v[10:11], 0x3c833362977da589
	s_mov_b64 s[6:7], 0x3ff71547652b82fe
	s_delay_alu instid0(SALU_CYCLE_1) | instskip(SKIP_1) | instid1(VALU_DEP_2)
	v_mul_f64_e64 v[18:19], |v[12:13]|, s[6:7]
	s_mov_b64 s[6:7], 0xbfe62e42fefa39ef
	v_fmaak_f64 v[16:17], v[10:11], v[14:15], 0x3c545cb72134d0ef
	s_delay_alu instid0(VALU_DEP_1) | instskip(NEXT) | instid1(VALU_DEP_3)
	v_add_f64_e32 v[16:17], 0xbcb184eb721ebbb4, v[16:17]
	v_rndne_f64_e32 v[18:19], v[18:19]
	s_delay_alu instid0(VALU_DEP_2) | instskip(NEXT) | instid1(VALU_DEP_2)
	v_fma_f64 v[14:15], v[10:11], v[16:17], -v[14:15]
	v_fma_f64 v[12:13], v[18:19], s[6:7], |v[12:13]|
	s_mov_b64 s[6:7], 0x3e5ade156a5dcb37
	v_cvt_i32_f64_e32 v3, v[18:19]
	s_delay_alu instid0(VALU_DEP_3) | instskip(NEXT) | instid1(VALU_DEP_3)
	v_add_f64_e32 v[14:15], 0x3cdee6d893f65eba, v[14:15]
	v_fmamk_f64 v[12:13], v[18:19], 0xbc7abc9e3b39803f, v[12:13]
	s_delay_alu instid0(VALU_DEP_1) | instskip(NEXT) | instid1(VALU_DEP_3)
	v_fmaak_f64 v[20:21], s[6:7], v[12:13], 0x3e928af3fca7ab0c
	v_fma_f64 v[16:17], v[10:11], v[14:15], -v[16:17]
	s_delay_alu instid0(VALU_DEP_2) | instskip(NEXT) | instid1(VALU_DEP_1)
	v_fmaak_f64 v[20:21], v[12:13], v[20:21], 0x3ec71dee623fde64
	v_fmaak_f64 v[20:21], v[12:13], v[20:21], 0x3efa01997c89e6b0
	s_delay_alu instid0(VALU_DEP_1) | instskip(NEXT) | instid1(VALU_DEP_1)
	v_fmaak_f64 v[20:21], v[12:13], v[20:21], 0x3f2a01a014761f6e
	v_fmaak_f64 v[20:21], v[12:13], v[20:21], 0x3f56c16c1852b7b0
	v_add_f64_e32 v[16:17], 0xbd0a5022c297fbeb, v[16:17]
	s_delay_alu instid0(VALU_DEP_1) | instskip(NEXT) | instid1(VALU_DEP_1)
	v_fma_f64 v[14:15], v[10:11], v[16:17], -v[14:15]
	v_add_f64_e32 v[14:15], 0x3d359b464b262627, v[14:15]
	s_delay_alu instid0(VALU_DEP_1) | instskip(NEXT) | instid1(VALU_DEP_1)
	v_fma_f64 v[16:17], v[10:11], v[14:15], -v[16:17]
	;; [unrolled: 3-line block ×24, first 2 shown]
	v_add_f64_e32 v[16:17], 0xbfd37febc057cd8d, v[16:17]
	s_delay_alu instid0(VALU_DEP_1) | instskip(SKIP_1) | instid1(VALU_DEP_1)
	v_fma_f64 v[10:11], v[10:11], v[16:17], -v[14:15]
	v_fmaak_f64 v[16:17], v[12:13], v[20:21], 0x3f81111111122322
	v_fmaak_f64 v[16:17], v[12:13], v[16:17], 0x3fa55555555502a1
	s_delay_alu instid0(VALU_DEP_1) | instskip(NEXT) | instid1(VALU_DEP_1)
	v_fmaak_f64 v[16:17], v[12:13], v[16:17], 0x3fc5555555555511
	v_fmaak_f64 v[16:17], v[12:13], v[16:17], 0x3fe000000000000b
	s_delay_alu instid0(VALU_DEP_1) | instskip(SKIP_1) | instid1(VALU_DEP_2)
	v_fma_f64 v[16:17], v[12:13], v[16:17], 1.0
	v_add_f64_e32 v[10:11], 0x3fe5a84e9035a22a, v[10:11]
	v_fma_f64 v[12:13], v[12:13], v[16:17], 1.0
	s_delay_alu instid0(VALU_DEP_2) | instskip(NEXT) | instid1(VALU_DEP_2)
	v_add_f64_e64 v[10:11], v[10:11], -v[14:15]
	v_ldexp_f64 v[12:13], v[12:13], v3
	s_delay_alu instid0(VALU_DEP_2) | instskip(NEXT) | instid1(VALU_DEP_1)
	v_mul_f64_e32 v[10:11], 0.5, v[10:11]
	v_mul_f64_e32 v[10:11], v[12:13], v[10:11]
                                        ; implicit-def: $vgpr12_vgpr13
.LBB7_78:
	s_and_not1_saveexec_b32 s4, s4
	s_cbranch_execz .LBB7_80
; %bb.79:
	v_and_b32_e32 v11, 0x7fffffff, v13
	v_mov_b32_e32 v10, v12
	s_mov_b64 s[6:7], 0xbc60adb754ca8b19
	v_cmp_gt_f64_e64 s5, 0x10000000, |v[12:13]|
	s_delay_alu instid0(VALU_DEP_2) | instskip(SKIP_1) | instid1(VALU_DEP_3)
	v_div_scale_f64 v[14:15], null, v[10:11], v[10:11], 0x40400000
	v_div_scale_f64 v[10:11], vcc_lo, 0x40400000, v[10:11], 0x40400000
	v_cndmask_b32_e64 v3, 0, 0x100, s5
	s_delay_alu instid0(VALU_DEP_3) | instskip(SKIP_1) | instid1(TRANS32_DEP_1)
	v_rcp_f64_e32 v[16:17], v[14:15]
	v_nop
	v_fma_f64 v[18:19], -v[14:15], v[16:17], 1.0
	s_delay_alu instid0(VALU_DEP_1) | instskip(NEXT) | instid1(VALU_DEP_1)
	v_fmac_f64_e32 v[16:17], v[16:17], v[18:19]
	v_fma_f64 v[18:19], -v[14:15], v[16:17], 1.0
	s_delay_alu instid0(VALU_DEP_1) | instskip(NEXT) | instid1(VALU_DEP_1)
	v_fmac_f64_e32 v[16:17], v[16:17], v[18:19]
	v_mul_f64_e32 v[18:19], v[10:11], v[16:17]
	s_delay_alu instid0(VALU_DEP_1) | instskip(NEXT) | instid1(VALU_DEP_1)
	v_fma_f64 v[10:11], -v[14:15], v[18:19], v[10:11]
	v_div_fmas_f64 v[10:11], v[10:11], v[16:17], v[18:19]
	v_ldexp_f64 v[18:19], |v[12:13]|, v3
	v_cmp_nlt_f64_e64 vcc_lo, 0x40900000, |v[12:13]|
	s_delay_alu instid0(VALU_DEP_3) | instskip(NEXT) | instid1(VALU_DEP_3)
	v_div_fixup_f64 v[10:11], v[10:11], |v[12:13]|, 0x40400000
	v_rsq_f64_e32 v[22:23], v[18:19]
	s_delay_alu instid0(VALU_DEP_1) | instskip(NEXT) | instid1(TRANS32_DEP_1)
	v_add_f64_e32 v[10:11], -2.0, v[10:11]
	v_mul_f64_e32 v[24:25], v[18:19], v[22:23]
	v_mul_f64_e32 v[22:23], 0.5, v[22:23]
	s_delay_alu instid0(VALU_DEP_3) | instskip(SKIP_1) | instid1(SALU_CYCLE_1)
	v_fmaak_f64 v[14:15], s[6:7], v[10:11], 0xbc5646da66119130
	s_mov_b64 s[6:7], 0x3ff71547652b82fe
	v_mul_f64_e64 v[20:21], |v[12:13]|, s[6:7]
	s_mov_b64 s[6:7], 0xbfe62e42fefa39ef
	s_delay_alu instid0(VALU_DEP_2) | instskip(NEXT) | instid1(VALU_DEP_4)
	v_fmaak_f64 v[16:17], v[10:11], v[14:15], 0x3c60adb754ca8b19
	v_fma_f64 v[28:29], -v[22:23], v[24:25], 0.5
	s_delay_alu instid0(VALU_DEP_2) | instskip(NEXT) | instid1(VALU_DEP_4)
	v_add_f64_e32 v[16:17], 0x3c89be1812d98421, v[16:17]
	v_rndne_f64_e32 v[20:21], v[20:21]
	s_delay_alu instid0(VALU_DEP_3) | instskip(SKIP_1) | instid1(VALU_DEP_4)
	v_fmac_f64_e32 v[24:25], v[24:25], v[28:29]
	v_fmac_f64_e32 v[22:23], v[22:23], v[28:29]
	v_fma_f64 v[14:15], v[10:11], v[16:17], -v[14:15]
	s_delay_alu instid0(VALU_DEP_4) | instskip(SKIP_2) | instid1(VALU_DEP_3)
	v_fma_f64 v[26:27], v[20:21], s[6:7], |v[12:13]|
	s_mov_b64 s[6:7], 0x3e5ade156a5dcb37
	v_cvt_i32_f64_e32 v3, v[20:21]
	v_add_f64_e32 v[14:15], 0x3c83f3dd076041cd, v[14:15]
	s_delay_alu instid0(VALU_DEP_3) | instskip(NEXT) | instid1(VALU_DEP_1)
	v_fmamk_f64 v[26:27], v[20:21], 0xbc7abc9e3b39803f, v[26:27]
	v_fmaak_f64 v[30:31], s[6:7], v[26:27], 0x3e928af3fca7ab0c
	s_delay_alu instid0(VALU_DEP_3) | instskip(NEXT) | instid1(VALU_DEP_2)
	v_fma_f64 v[16:17], v[10:11], v[14:15], -v[16:17]
	v_fmaak_f64 v[30:31], v[26:27], v[30:31], 0x3ec71dee623fde64
	s_delay_alu instid0(VALU_DEP_1) | instskip(NEXT) | instid1(VALU_DEP_1)
	v_fmaak_f64 v[30:31], v[26:27], v[30:31], 0x3efa01997c89e6b0
	v_fmaak_f64 v[30:31], v[26:27], v[30:31], 0x3f2a01a014761f6e
	s_delay_alu instid0(VALU_DEP_1) | instskip(NEXT) | instid1(VALU_DEP_1)
	v_fmaak_f64 v[30:31], v[26:27], v[30:31], 0x3f56c16c1852b7b0
	v_fmaak_f64 v[30:31], v[26:27], v[30:31], 0x3f81111111122322
	v_add_f64_e32 v[16:17], 0xbcb4600babd21fe4, v[16:17]
	s_delay_alu instid0(VALU_DEP_1) | instskip(NEXT) | instid1(VALU_DEP_1)
	v_fma_f64 v[14:15], v[10:11], v[16:17], -v[14:15]
	v_add_f64_e32 v[14:15], 0xbcb8aee7d908de38, v[14:15]
	s_delay_alu instid0(VALU_DEP_1) | instskip(NEXT) | instid1(VALU_DEP_1)
	v_fma_f64 v[16:17], v[10:11], v[14:15], -v[16:17]
	;; [unrolled: 3-line block ×19, first 2 shown]
	v_add_f64_e32 v[14:15], 0x3f6b998ca2e59049, v[14:15]
	s_delay_alu instid0(VALU_DEP_1) | instskip(SKIP_1) | instid1(VALU_DEP_1)
	v_fma_f64 v[10:11], v[10:11], v[14:15], -v[16:17]
	v_fmaak_f64 v[14:15], v[26:27], v[30:31], 0x3fa55555555502a1
	v_fmaak_f64 v[14:15], v[26:27], v[14:15], 0x3fc5555555555511
	s_delay_alu instid0(VALU_DEP_1) | instskip(NEXT) | instid1(VALU_DEP_1)
	v_fmaak_f64 v[14:15], v[26:27], v[14:15], 0x3fe000000000000b
	v_fma_f64 v[14:15], v[26:27], v[14:15], 1.0
	v_add_f64_e32 v[10:11], 0x3fe9be62aca809cb, v[10:11]
	s_delay_alu instid0(VALU_DEP_2) | instskip(NEXT) | instid1(VALU_DEP_2)
	v_fma_f64 v[14:15], v[26:27], v[14:15], 1.0
	v_add_f64_e64 v[10:11], v[10:11], -v[16:17]
	s_delay_alu instid0(VALU_DEP_2) | instskip(SKIP_1) | instid1(VALU_DEP_3)
	v_ldexp_f64 v[14:15], v[14:15], v3
	v_cndmask_b32_e64 v3, 0, 0xffffff80, s5
	v_mul_f64_e32 v[10:11], 0.5, v[10:11]
	s_delay_alu instid0(VALU_DEP_3) | instskip(NEXT) | instid1(VALU_DEP_4)
	v_cndmask_b32_e32 v13, 0x7ff00000, v15, vcc_lo
	v_cndmask_b32_e32 v12, 0, v14, vcc_lo
	v_cmp_class_f64_e64 vcc_lo, v[18:19], 0x260
	v_fma_f64 v[28:29], -v[24:25], v[24:25], v[18:19]
	s_delay_alu instid0(VALU_DEP_3) | instskip(NEXT) | instid1(VALU_DEP_2)
	v_mul_f64_e32 v[10:11], v[12:13], v[10:11]
	v_fmac_f64_e32 v[24:25], v[28:29], v[22:23]
	s_delay_alu instid0(VALU_DEP_1) | instskip(NEXT) | instid1(VALU_DEP_1)
	v_fma_f64 v[20:21], -v[24:25], v[24:25], v[18:19]
	v_fmac_f64_e32 v[24:25], v[20:21], v[22:23]
	s_delay_alu instid0(VALU_DEP_1) | instskip(NEXT) | instid1(VALU_DEP_1)
	v_ldexp_f64 v[14:15], v[24:25], v3
	v_dual_cndmask_b32 v13, v15, v19 :: v_dual_cndmask_b32 v12, v14, v18
	s_delay_alu instid0(VALU_DEP_1) | instskip(NEXT) | instid1(VALU_DEP_1)
	v_div_scale_f64 v[14:15], null, v[12:13], v[12:13], v[10:11]
	v_rcp_f64_e32 v[16:17], v[14:15]
	v_nop
	s_delay_alu instid0(TRANS32_DEP_1) | instskip(NEXT) | instid1(VALU_DEP_1)
	v_fma_f64 v[18:19], -v[14:15], v[16:17], 1.0
	v_fmac_f64_e32 v[16:17], v[16:17], v[18:19]
	s_delay_alu instid0(VALU_DEP_1) | instskip(NEXT) | instid1(VALU_DEP_1)
	v_fma_f64 v[18:19], -v[14:15], v[16:17], 1.0
	v_fmac_f64_e32 v[16:17], v[16:17], v[18:19]
	v_div_scale_f64 v[18:19], vcc_lo, v[10:11], v[12:13], v[10:11]
	s_delay_alu instid0(VALU_DEP_1) | instskip(NEXT) | instid1(VALU_DEP_1)
	v_mul_f64_e32 v[20:21], v[18:19], v[16:17]
	v_fma_f64 v[14:15], -v[14:15], v[20:21], v[18:19]
	s_delay_alu instid0(VALU_DEP_1) | instskip(NEXT) | instid1(VALU_DEP_1)
	v_div_fmas_f64 v[14:15], v[14:15], v[16:17], v[20:21]
	v_div_fixup_f64 v[10:11], v[14:15], v[12:13], v[10:11]
.LBB7_80:
	s_or_b32 exec_lo, exec_lo, s4
	global_load_b64 v[14:15], v1, s[2:3]
                                        ; implicit-def: $vgpr12_vgpr13
	s_wait_loadcnt 0x0
	v_cmp_ge_f64_e64 s4, 0x40200000, |v[14:15]|
	s_wait_xcnt 0x0
	s_and_saveexec_b32 s5, s4
	s_delay_alu instid0(SALU_CYCLE_1)
	s_xor_b32 s4, exec_lo, s5
	s_cbranch_execz .LBB7_82
; %bb.81:
	v_fma_f64 v[12:13], |v[14:15]|, 0.5, -2.0
	s_mov_b64 s[6:7], 0xbc545cb72134d0ef
	s_delay_alu instid0(VALU_DEP_1) | instid1(SALU_CYCLE_1)
	v_fmaak_f64 v[16:17], s[6:7], v[12:13], 0x3c833362977da589
	s_mov_b64 s[6:7], 0x3ff71547652b82fe
	s_delay_alu instid0(SALU_CYCLE_1) | instskip(SKIP_1) | instid1(VALU_DEP_2)
	v_mul_f64_e64 v[20:21], |v[14:15]|, s[6:7]
	s_mov_b64 s[6:7], 0xbfe62e42fefa39ef
	v_fmaak_f64 v[18:19], v[12:13], v[16:17], 0x3c545cb72134d0ef
	s_delay_alu instid0(VALU_DEP_1) | instskip(NEXT) | instid1(VALU_DEP_3)
	v_add_f64_e32 v[18:19], 0xbcb184eb721ebbb4, v[18:19]
	v_rndne_f64_e32 v[20:21], v[20:21]
	s_delay_alu instid0(VALU_DEP_2) | instskip(NEXT) | instid1(VALU_DEP_2)
	v_fma_f64 v[16:17], v[12:13], v[18:19], -v[16:17]
	v_fma_f64 v[14:15], v[20:21], s[6:7], |v[14:15]|
	s_mov_b64 s[6:7], 0x3e5ade156a5dcb37
	v_cvt_i32_f64_e32 v1, v[20:21]
	s_delay_alu instid0(VALU_DEP_3) | instskip(NEXT) | instid1(VALU_DEP_3)
	v_add_f64_e32 v[16:17], 0x3cdee6d893f65eba, v[16:17]
	v_fmamk_f64 v[14:15], v[20:21], 0xbc7abc9e3b39803f, v[14:15]
	s_delay_alu instid0(VALU_DEP_1) | instskip(NEXT) | instid1(VALU_DEP_3)
	v_fmaak_f64 v[22:23], s[6:7], v[14:15], 0x3e928af3fca7ab0c
	v_fma_f64 v[18:19], v[12:13], v[16:17], -v[18:19]
	s_delay_alu instid0(VALU_DEP_2) | instskip(NEXT) | instid1(VALU_DEP_1)
	v_fmaak_f64 v[22:23], v[14:15], v[22:23], 0x3ec71dee623fde64
	v_fmaak_f64 v[22:23], v[14:15], v[22:23], 0x3efa01997c89e6b0
	s_delay_alu instid0(VALU_DEP_1) | instskip(NEXT) | instid1(VALU_DEP_1)
	v_fmaak_f64 v[22:23], v[14:15], v[22:23], 0x3f2a01a014761f6e
	v_fmaak_f64 v[22:23], v[14:15], v[22:23], 0x3f56c16c1852b7b0
	v_add_f64_e32 v[18:19], 0xbd0a5022c297fbeb, v[18:19]
	s_delay_alu instid0(VALU_DEP_1) | instskip(NEXT) | instid1(VALU_DEP_1)
	v_fma_f64 v[16:17], v[12:13], v[18:19], -v[16:17]
	v_add_f64_e32 v[16:17], 0x3d359b464b262627, v[16:17]
	s_delay_alu instid0(VALU_DEP_1) | instskip(NEXT) | instid1(VALU_DEP_1)
	v_fma_f64 v[18:19], v[12:13], v[16:17], -v[18:19]
	;; [unrolled: 3-line block ×24, first 2 shown]
	v_add_f64_e32 v[18:19], 0xbfd37febc057cd8d, v[18:19]
	s_delay_alu instid0(VALU_DEP_1) | instskip(SKIP_1) | instid1(VALU_DEP_1)
	v_fma_f64 v[12:13], v[12:13], v[18:19], -v[16:17]
	v_fmaak_f64 v[18:19], v[14:15], v[22:23], 0x3f81111111122322
	v_fmaak_f64 v[18:19], v[14:15], v[18:19], 0x3fa55555555502a1
	s_delay_alu instid0(VALU_DEP_1) | instskip(NEXT) | instid1(VALU_DEP_1)
	v_fmaak_f64 v[18:19], v[14:15], v[18:19], 0x3fc5555555555511
	v_fmaak_f64 v[18:19], v[14:15], v[18:19], 0x3fe000000000000b
	s_delay_alu instid0(VALU_DEP_1) | instskip(SKIP_1) | instid1(VALU_DEP_2)
	v_fma_f64 v[18:19], v[14:15], v[18:19], 1.0
	v_add_f64_e32 v[12:13], 0x3fe5a84e9035a22a, v[12:13]
	v_fma_f64 v[14:15], v[14:15], v[18:19], 1.0
	s_delay_alu instid0(VALU_DEP_2) | instskip(NEXT) | instid1(VALU_DEP_2)
	v_add_f64_e64 v[12:13], v[12:13], -v[16:17]
	v_ldexp_f64 v[14:15], v[14:15], v1
	s_delay_alu instid0(VALU_DEP_2) | instskip(NEXT) | instid1(VALU_DEP_1)
	v_mul_f64_e32 v[12:13], 0.5, v[12:13]
	v_mul_f64_e32 v[12:13], v[14:15], v[12:13]
                                        ; implicit-def: $vgpr14_vgpr15
.LBB7_82:
	s_and_not1_saveexec_b32 s4, s4
	s_cbranch_execz .LBB7_84
; %bb.83:
	v_and_b32_e32 v13, 0x7fffffff, v15
	v_mov_b32_e32 v12, v14
	s_mov_b64 s[6:7], 0xbc60adb754ca8b19
	v_cmp_gt_f64_e64 s5, 0x10000000, |v[14:15]|
	s_delay_alu instid0(VALU_DEP_2) | instskip(SKIP_1) | instid1(VALU_DEP_3)
	v_div_scale_f64 v[16:17], null, v[12:13], v[12:13], 0x40400000
	v_div_scale_f64 v[12:13], vcc_lo, 0x40400000, v[12:13], 0x40400000
	v_cndmask_b32_e64 v1, 0, 0x100, s5
	s_delay_alu instid0(VALU_DEP_3) | instskip(SKIP_1) | instid1(TRANS32_DEP_1)
	v_rcp_f64_e32 v[18:19], v[16:17]
	v_nop
	v_fma_f64 v[20:21], -v[16:17], v[18:19], 1.0
	s_delay_alu instid0(VALU_DEP_1) | instskip(NEXT) | instid1(VALU_DEP_1)
	v_fmac_f64_e32 v[18:19], v[18:19], v[20:21]
	v_fma_f64 v[20:21], -v[16:17], v[18:19], 1.0
	s_delay_alu instid0(VALU_DEP_1) | instskip(NEXT) | instid1(VALU_DEP_1)
	v_fmac_f64_e32 v[18:19], v[18:19], v[20:21]
	v_mul_f64_e32 v[20:21], v[12:13], v[18:19]
	s_delay_alu instid0(VALU_DEP_1) | instskip(NEXT) | instid1(VALU_DEP_1)
	v_fma_f64 v[12:13], -v[16:17], v[20:21], v[12:13]
	v_div_fmas_f64 v[12:13], v[12:13], v[18:19], v[20:21]
	v_ldexp_f64 v[20:21], |v[14:15]|, v1
	v_cmp_nlt_f64_e64 vcc_lo, 0x40900000, |v[14:15]|
	s_delay_alu instid0(VALU_DEP_3) | instskip(NEXT) | instid1(VALU_DEP_3)
	v_div_fixup_f64 v[12:13], v[12:13], |v[14:15]|, 0x40400000
	v_rsq_f64_e32 v[24:25], v[20:21]
	s_delay_alu instid0(VALU_DEP_1) | instskip(NEXT) | instid1(TRANS32_DEP_1)
	v_add_f64_e32 v[12:13], -2.0, v[12:13]
	v_mul_f64_e32 v[26:27], v[20:21], v[24:25]
	v_mul_f64_e32 v[24:25], 0.5, v[24:25]
	s_delay_alu instid0(VALU_DEP_3) | instskip(SKIP_1) | instid1(SALU_CYCLE_1)
	v_fmaak_f64 v[16:17], s[6:7], v[12:13], 0xbc5646da66119130
	s_mov_b64 s[6:7], 0x3ff71547652b82fe
	v_mul_f64_e64 v[22:23], |v[14:15]|, s[6:7]
	s_mov_b64 s[6:7], 0xbfe62e42fefa39ef
	s_delay_alu instid0(VALU_DEP_2) | instskip(NEXT) | instid1(VALU_DEP_4)
	v_fmaak_f64 v[18:19], v[12:13], v[16:17], 0x3c60adb754ca8b19
	v_fma_f64 v[30:31], -v[24:25], v[26:27], 0.5
	s_delay_alu instid0(VALU_DEP_2) | instskip(NEXT) | instid1(VALU_DEP_4)
	v_add_f64_e32 v[18:19], 0x3c89be1812d98421, v[18:19]
	v_rndne_f64_e32 v[22:23], v[22:23]
	s_delay_alu instid0(VALU_DEP_3) | instskip(SKIP_1) | instid1(VALU_DEP_4)
	v_fmac_f64_e32 v[26:27], v[26:27], v[30:31]
	v_fmac_f64_e32 v[24:25], v[24:25], v[30:31]
	v_fma_f64 v[16:17], v[12:13], v[18:19], -v[16:17]
	s_delay_alu instid0(VALU_DEP_4) | instskip(SKIP_2) | instid1(VALU_DEP_3)
	v_fma_f64 v[28:29], v[22:23], s[6:7], |v[14:15]|
	s_mov_b64 s[6:7], 0x3e5ade156a5dcb37
	v_cvt_i32_f64_e32 v1, v[22:23]
	v_add_f64_e32 v[16:17], 0x3c83f3dd076041cd, v[16:17]
	s_delay_alu instid0(VALU_DEP_3) | instskip(NEXT) | instid1(VALU_DEP_1)
	v_fmamk_f64 v[28:29], v[22:23], 0xbc7abc9e3b39803f, v[28:29]
	v_fmaak_f64 v[32:33], s[6:7], v[28:29], 0x3e928af3fca7ab0c
	s_delay_alu instid0(VALU_DEP_3) | instskip(NEXT) | instid1(VALU_DEP_2)
	v_fma_f64 v[18:19], v[12:13], v[16:17], -v[18:19]
	v_fmaak_f64 v[32:33], v[28:29], v[32:33], 0x3ec71dee623fde64
	s_delay_alu instid0(VALU_DEP_1) | instskip(NEXT) | instid1(VALU_DEP_1)
	v_fmaak_f64 v[32:33], v[28:29], v[32:33], 0x3efa01997c89e6b0
	v_fmaak_f64 v[32:33], v[28:29], v[32:33], 0x3f2a01a014761f6e
	s_delay_alu instid0(VALU_DEP_1) | instskip(NEXT) | instid1(VALU_DEP_1)
	v_fmaak_f64 v[32:33], v[28:29], v[32:33], 0x3f56c16c1852b7b0
	v_fmaak_f64 v[32:33], v[28:29], v[32:33], 0x3f81111111122322
	v_add_f64_e32 v[18:19], 0xbcb4600babd21fe4, v[18:19]
	s_delay_alu instid0(VALU_DEP_1) | instskip(NEXT) | instid1(VALU_DEP_1)
	v_fma_f64 v[16:17], v[12:13], v[18:19], -v[16:17]
	v_add_f64_e32 v[16:17], 0xbcb8aee7d908de38, v[16:17]
	s_delay_alu instid0(VALU_DEP_1) | instskip(NEXT) | instid1(VALU_DEP_1)
	v_fma_f64 v[18:19], v[12:13], v[16:17], -v[18:19]
	;; [unrolled: 3-line block ×19, first 2 shown]
	v_add_f64_e32 v[16:17], 0x3f6b998ca2e59049, v[16:17]
	s_delay_alu instid0(VALU_DEP_1) | instskip(SKIP_1) | instid1(VALU_DEP_1)
	v_fma_f64 v[12:13], v[12:13], v[16:17], -v[18:19]
	v_fmaak_f64 v[16:17], v[28:29], v[32:33], 0x3fa55555555502a1
	v_fmaak_f64 v[16:17], v[28:29], v[16:17], 0x3fc5555555555511
	s_delay_alu instid0(VALU_DEP_1) | instskip(NEXT) | instid1(VALU_DEP_1)
	v_fmaak_f64 v[16:17], v[28:29], v[16:17], 0x3fe000000000000b
	v_fma_f64 v[16:17], v[28:29], v[16:17], 1.0
	v_add_f64_e32 v[12:13], 0x3fe9be62aca809cb, v[12:13]
	s_delay_alu instid0(VALU_DEP_2) | instskip(NEXT) | instid1(VALU_DEP_2)
	v_fma_f64 v[16:17], v[28:29], v[16:17], 1.0
	v_add_f64_e64 v[12:13], v[12:13], -v[18:19]
	s_delay_alu instid0(VALU_DEP_2) | instskip(SKIP_1) | instid1(VALU_DEP_3)
	v_ldexp_f64 v[16:17], v[16:17], v1
	v_cndmask_b32_e64 v1, 0, 0xffffff80, s5
	v_mul_f64_e32 v[12:13], 0.5, v[12:13]
	s_delay_alu instid0(VALU_DEP_3) | instskip(NEXT) | instid1(VALU_DEP_4)
	v_cndmask_b32_e32 v15, 0x7ff00000, v17, vcc_lo
	v_cndmask_b32_e32 v14, 0, v16, vcc_lo
	v_cmp_class_f64_e64 vcc_lo, v[20:21], 0x260
	v_fma_f64 v[30:31], -v[26:27], v[26:27], v[20:21]
	s_delay_alu instid0(VALU_DEP_3) | instskip(NEXT) | instid1(VALU_DEP_2)
	v_mul_f64_e32 v[12:13], v[14:15], v[12:13]
	v_fmac_f64_e32 v[26:27], v[30:31], v[24:25]
	s_delay_alu instid0(VALU_DEP_1) | instskip(NEXT) | instid1(VALU_DEP_1)
	v_fma_f64 v[22:23], -v[26:27], v[26:27], v[20:21]
	v_fmac_f64_e32 v[26:27], v[22:23], v[24:25]
	s_delay_alu instid0(VALU_DEP_1) | instskip(NEXT) | instid1(VALU_DEP_1)
	v_ldexp_f64 v[16:17], v[26:27], v1
	v_dual_cndmask_b32 v15, v17, v21 :: v_dual_cndmask_b32 v14, v16, v20
	s_delay_alu instid0(VALU_DEP_1) | instskip(NEXT) | instid1(VALU_DEP_1)
	v_div_scale_f64 v[16:17], null, v[14:15], v[14:15], v[12:13]
	v_rcp_f64_e32 v[18:19], v[16:17]
	v_nop
	s_delay_alu instid0(TRANS32_DEP_1) | instskip(NEXT) | instid1(VALU_DEP_1)
	v_fma_f64 v[20:21], -v[16:17], v[18:19], 1.0
	v_fmac_f64_e32 v[18:19], v[18:19], v[20:21]
	s_delay_alu instid0(VALU_DEP_1) | instskip(NEXT) | instid1(VALU_DEP_1)
	v_fma_f64 v[20:21], -v[16:17], v[18:19], 1.0
	v_fmac_f64_e32 v[18:19], v[18:19], v[20:21]
	v_div_scale_f64 v[20:21], vcc_lo, v[12:13], v[14:15], v[12:13]
	s_delay_alu instid0(VALU_DEP_1) | instskip(NEXT) | instid1(VALU_DEP_1)
	v_mul_f64_e32 v[22:23], v[20:21], v[18:19]
	v_fma_f64 v[16:17], -v[16:17], v[22:23], v[20:21]
	s_delay_alu instid0(VALU_DEP_1) | instskip(NEXT) | instid1(VALU_DEP_1)
	v_div_fmas_f64 v[16:17], v[16:17], v[18:19], v[22:23]
	v_div_fixup_f64 v[12:13], v[16:17], v[14:15], v[12:13]
.LBB7_84:
	s_or_b32 exec_lo, exec_lo, s4
	global_load_b64 v[14:15], v7, s[2:3]
                                        ; implicit-def: $vgpr16_vgpr17
	s_wait_loadcnt 0x0
	v_cmp_ge_f64_e64 s2, 0x40200000, |v[14:15]|
	s_and_saveexec_b32 s3, s2
	s_delay_alu instid0(SALU_CYCLE_1)
	s_xor_b32 s2, exec_lo, s3
	s_cbranch_execz .LBB7_86
; %bb.85:
	v_fma_f64 v[16:17], |v[14:15]|, 0.5, -2.0
	s_mov_b64 s[4:5], 0xbc545cb72134d0ef
	s_delay_alu instid0(VALU_DEP_1) | instid1(SALU_CYCLE_1)
	v_fmaak_f64 v[18:19], s[4:5], v[16:17], 0x3c833362977da589
	s_mov_b64 s[4:5], 0x3ff71547652b82fe
	s_delay_alu instid0(SALU_CYCLE_1) | instskip(SKIP_1) | instid1(VALU_DEP_2)
	v_mul_f64_e64 v[22:23], |v[14:15]|, s[4:5]
	s_mov_b64 s[4:5], 0xbfe62e42fefa39ef
	v_fmaak_f64 v[20:21], v[16:17], v[18:19], 0x3c545cb72134d0ef
	s_delay_alu instid0(VALU_DEP_1) | instskip(NEXT) | instid1(VALU_DEP_3)
	v_add_f64_e32 v[20:21], 0xbcb184eb721ebbb4, v[20:21]
	v_rndne_f64_e32 v[22:23], v[22:23]
	s_delay_alu instid0(VALU_DEP_2) | instskip(NEXT) | instid1(VALU_DEP_2)
	v_fma_f64 v[18:19], v[16:17], v[20:21], -v[18:19]
	v_fma_f64 v[14:15], v[22:23], s[4:5], |v[14:15]|
	s_mov_b64 s[4:5], 0x3e5ade156a5dcb37
	v_cvt_i32_f64_e32 v1, v[22:23]
	s_delay_alu instid0(VALU_DEP_3) | instskip(NEXT) | instid1(VALU_DEP_3)
	v_add_f64_e32 v[18:19], 0x3cdee6d893f65eba, v[18:19]
	v_fmamk_f64 v[14:15], v[22:23], 0xbc7abc9e3b39803f, v[14:15]
	s_delay_alu instid0(VALU_DEP_1) | instskip(NEXT) | instid1(VALU_DEP_3)
	v_fmaak_f64 v[24:25], s[4:5], v[14:15], 0x3e928af3fca7ab0c
	v_fma_f64 v[20:21], v[16:17], v[18:19], -v[20:21]
	s_delay_alu instid0(VALU_DEP_2) | instskip(NEXT) | instid1(VALU_DEP_1)
	v_fmaak_f64 v[24:25], v[14:15], v[24:25], 0x3ec71dee623fde64
	v_fmaak_f64 v[24:25], v[14:15], v[24:25], 0x3efa01997c89e6b0
	s_delay_alu instid0(VALU_DEP_1) | instskip(NEXT) | instid1(VALU_DEP_1)
	v_fmaak_f64 v[24:25], v[14:15], v[24:25], 0x3f2a01a014761f6e
	v_fmaak_f64 v[24:25], v[14:15], v[24:25], 0x3f56c16c1852b7b0
	v_add_f64_e32 v[20:21], 0xbd0a5022c297fbeb, v[20:21]
	s_delay_alu instid0(VALU_DEP_1) | instskip(NEXT) | instid1(VALU_DEP_1)
	v_fma_f64 v[18:19], v[16:17], v[20:21], -v[18:19]
	v_add_f64_e32 v[18:19], 0x3d359b464b262627, v[18:19]
	s_delay_alu instid0(VALU_DEP_1) | instskip(NEXT) | instid1(VALU_DEP_1)
	v_fma_f64 v[20:21], v[16:17], v[18:19], -v[20:21]
	;; [unrolled: 3-line block ×24, first 2 shown]
	v_add_f64_e32 v[20:21], 0xbfd37febc057cd8d, v[20:21]
	s_delay_alu instid0(VALU_DEP_1) | instskip(SKIP_1) | instid1(VALU_DEP_1)
	v_fma_f64 v[16:17], v[16:17], v[20:21], -v[18:19]
	v_fmaak_f64 v[20:21], v[14:15], v[24:25], 0x3f81111111122322
	v_fmaak_f64 v[20:21], v[14:15], v[20:21], 0x3fa55555555502a1
	s_delay_alu instid0(VALU_DEP_1) | instskip(NEXT) | instid1(VALU_DEP_1)
	v_fmaak_f64 v[20:21], v[14:15], v[20:21], 0x3fc5555555555511
	v_fmaak_f64 v[20:21], v[14:15], v[20:21], 0x3fe000000000000b
	s_delay_alu instid0(VALU_DEP_1) | instskip(SKIP_1) | instid1(VALU_DEP_2)
	v_fma_f64 v[20:21], v[14:15], v[20:21], 1.0
	v_add_f64_e32 v[16:17], 0x3fe5a84e9035a22a, v[16:17]
	v_fma_f64 v[14:15], v[14:15], v[20:21], 1.0
	s_delay_alu instid0(VALU_DEP_2) | instskip(NEXT) | instid1(VALU_DEP_2)
	v_add_f64_e64 v[16:17], v[16:17], -v[18:19]
	v_ldexp_f64 v[14:15], v[14:15], v1
	s_delay_alu instid0(VALU_DEP_2) | instskip(NEXT) | instid1(VALU_DEP_1)
	v_mul_f64_e32 v[16:17], 0.5, v[16:17]
	v_mul_f64_e32 v[16:17], v[14:15], v[16:17]
                                        ; implicit-def: $vgpr14_vgpr15
.LBB7_86:
	s_and_not1_saveexec_b32 s2, s2
	s_cbranch_execz .LBB7_88
; %bb.87:
	v_and_b32_e32 v17, 0x7fffffff, v15
	v_mov_b32_e32 v16, v14
	s_mov_b64 s[4:5], 0xbc60adb754ca8b19
	v_cmp_gt_f64_e64 s3, 0x10000000, |v[14:15]|
	s_delay_alu instid0(VALU_DEP_2) | instskip(SKIP_1) | instid1(VALU_DEP_3)
	v_div_scale_f64 v[18:19], null, v[16:17], v[16:17], 0x40400000
	v_div_scale_f64 v[16:17], vcc_lo, 0x40400000, v[16:17], 0x40400000
	v_cndmask_b32_e64 v1, 0, 0x100, s3
	s_delay_alu instid0(VALU_DEP_3) | instskip(SKIP_1) | instid1(TRANS32_DEP_1)
	v_rcp_f64_e32 v[20:21], v[18:19]
	v_nop
	v_fma_f64 v[22:23], -v[18:19], v[20:21], 1.0
	s_delay_alu instid0(VALU_DEP_1) | instskip(NEXT) | instid1(VALU_DEP_1)
	v_fmac_f64_e32 v[20:21], v[20:21], v[22:23]
	v_fma_f64 v[22:23], -v[18:19], v[20:21], 1.0
	s_delay_alu instid0(VALU_DEP_1) | instskip(NEXT) | instid1(VALU_DEP_1)
	v_fmac_f64_e32 v[20:21], v[20:21], v[22:23]
	v_mul_f64_e32 v[22:23], v[16:17], v[20:21]
	s_delay_alu instid0(VALU_DEP_1) | instskip(NEXT) | instid1(VALU_DEP_1)
	v_fma_f64 v[16:17], -v[18:19], v[22:23], v[16:17]
	v_div_fmas_f64 v[16:17], v[16:17], v[20:21], v[22:23]
	v_ldexp_f64 v[22:23], |v[14:15]|, v1
	v_cmp_nlt_f64_e64 vcc_lo, 0x40900000, |v[14:15]|
	s_delay_alu instid0(VALU_DEP_3) | instskip(NEXT) | instid1(VALU_DEP_3)
	v_div_fixup_f64 v[16:17], v[16:17], |v[14:15]|, 0x40400000
	v_rsq_f64_e32 v[26:27], v[22:23]
	s_delay_alu instid0(VALU_DEP_1) | instskip(NEXT) | instid1(TRANS32_DEP_1)
	v_add_f64_e32 v[16:17], -2.0, v[16:17]
	v_mul_f64_e32 v[28:29], v[22:23], v[26:27]
	v_mul_f64_e32 v[26:27], 0.5, v[26:27]
	s_delay_alu instid0(VALU_DEP_3) | instskip(SKIP_1) | instid1(SALU_CYCLE_1)
	v_fmaak_f64 v[18:19], s[4:5], v[16:17], 0xbc5646da66119130
	s_mov_b64 s[4:5], 0x3ff71547652b82fe
	v_mul_f64_e64 v[24:25], |v[14:15]|, s[4:5]
	s_mov_b64 s[4:5], 0xbfe62e42fefa39ef
	s_delay_alu instid0(VALU_DEP_2) | instskip(NEXT) | instid1(VALU_DEP_4)
	v_fmaak_f64 v[20:21], v[16:17], v[18:19], 0x3c60adb754ca8b19
	v_fma_f64 v[32:33], -v[26:27], v[28:29], 0.5
	s_delay_alu instid0(VALU_DEP_2) | instskip(NEXT) | instid1(VALU_DEP_4)
	v_add_f64_e32 v[20:21], 0x3c89be1812d98421, v[20:21]
	v_rndne_f64_e32 v[24:25], v[24:25]
	s_delay_alu instid0(VALU_DEP_3) | instskip(SKIP_1) | instid1(VALU_DEP_4)
	v_fmac_f64_e32 v[28:29], v[28:29], v[32:33]
	v_fmac_f64_e32 v[26:27], v[26:27], v[32:33]
	v_fma_f64 v[18:19], v[16:17], v[20:21], -v[18:19]
	s_delay_alu instid0(VALU_DEP_4) | instskip(SKIP_2) | instid1(VALU_DEP_3)
	v_fma_f64 v[30:31], v[24:25], s[4:5], |v[14:15]|
	s_mov_b64 s[4:5], 0x3e5ade156a5dcb37
	v_cvt_i32_f64_e32 v1, v[24:25]
	v_add_f64_e32 v[18:19], 0x3c83f3dd076041cd, v[18:19]
	s_delay_alu instid0(VALU_DEP_3) | instskip(NEXT) | instid1(VALU_DEP_1)
	v_fmamk_f64 v[30:31], v[24:25], 0xbc7abc9e3b39803f, v[30:31]
	v_fmaak_f64 v[34:35], s[4:5], v[30:31], 0x3e928af3fca7ab0c
	s_delay_alu instid0(VALU_DEP_3) | instskip(NEXT) | instid1(VALU_DEP_2)
	v_fma_f64 v[20:21], v[16:17], v[18:19], -v[20:21]
	v_fmaak_f64 v[34:35], v[30:31], v[34:35], 0x3ec71dee623fde64
	s_delay_alu instid0(VALU_DEP_1) | instskip(NEXT) | instid1(VALU_DEP_1)
	v_fmaak_f64 v[34:35], v[30:31], v[34:35], 0x3efa01997c89e6b0
	v_fmaak_f64 v[34:35], v[30:31], v[34:35], 0x3f2a01a014761f6e
	s_delay_alu instid0(VALU_DEP_1) | instskip(NEXT) | instid1(VALU_DEP_1)
	v_fmaak_f64 v[34:35], v[30:31], v[34:35], 0x3f56c16c1852b7b0
	v_fmaak_f64 v[34:35], v[30:31], v[34:35], 0x3f81111111122322
	v_add_f64_e32 v[20:21], 0xbcb4600babd21fe4, v[20:21]
	s_delay_alu instid0(VALU_DEP_1) | instskip(NEXT) | instid1(VALU_DEP_1)
	v_fma_f64 v[18:19], v[16:17], v[20:21], -v[18:19]
	v_add_f64_e32 v[18:19], 0xbcb8aee7d908de38, v[18:19]
	s_delay_alu instid0(VALU_DEP_1) | instskip(NEXT) | instid1(VALU_DEP_1)
	v_fma_f64 v[20:21], v[16:17], v[18:19], -v[20:21]
	;; [unrolled: 3-line block ×19, first 2 shown]
	v_add_f64_e32 v[18:19], 0x3f6b998ca2e59049, v[18:19]
	s_delay_alu instid0(VALU_DEP_1) | instskip(SKIP_1) | instid1(VALU_DEP_1)
	v_fma_f64 v[16:17], v[16:17], v[18:19], -v[20:21]
	v_fmaak_f64 v[18:19], v[30:31], v[34:35], 0x3fa55555555502a1
	v_fmaak_f64 v[18:19], v[30:31], v[18:19], 0x3fc5555555555511
	s_delay_alu instid0(VALU_DEP_1) | instskip(NEXT) | instid1(VALU_DEP_1)
	v_fmaak_f64 v[18:19], v[30:31], v[18:19], 0x3fe000000000000b
	v_fma_f64 v[18:19], v[30:31], v[18:19], 1.0
	v_add_f64_e32 v[16:17], 0x3fe9be62aca809cb, v[16:17]
	s_delay_alu instid0(VALU_DEP_2) | instskip(NEXT) | instid1(VALU_DEP_2)
	v_fma_f64 v[18:19], v[30:31], v[18:19], 1.0
	v_add_f64_e64 v[16:17], v[16:17], -v[20:21]
	s_delay_alu instid0(VALU_DEP_2) | instskip(SKIP_1) | instid1(VALU_DEP_3)
	v_ldexp_f64 v[18:19], v[18:19], v1
	v_cndmask_b32_e64 v1, 0, 0xffffff80, s3
	v_mul_f64_e32 v[14:15], 0.5, v[16:17]
	s_delay_alu instid0(VALU_DEP_3) | instskip(NEXT) | instid1(VALU_DEP_4)
	v_cndmask_b32_e32 v17, 0x7ff00000, v19, vcc_lo
	v_cndmask_b32_e32 v16, 0, v18, vcc_lo
	v_cmp_class_f64_e64 vcc_lo, v[22:23], 0x260
	v_fma_f64 v[32:33], -v[28:29], v[28:29], v[22:23]
	s_delay_alu instid0(VALU_DEP_3) | instskip(NEXT) | instid1(VALU_DEP_2)
	v_mul_f64_e32 v[14:15], v[16:17], v[14:15]
	v_fmac_f64_e32 v[28:29], v[32:33], v[26:27]
	s_delay_alu instid0(VALU_DEP_1) | instskip(NEXT) | instid1(VALU_DEP_1)
	v_fma_f64 v[24:25], -v[28:29], v[28:29], v[22:23]
	v_fmac_f64_e32 v[28:29], v[24:25], v[26:27]
	s_delay_alu instid0(VALU_DEP_1) | instskip(NEXT) | instid1(VALU_DEP_1)
	v_ldexp_f64 v[18:19], v[28:29], v1
	v_dual_cndmask_b32 v17, v19, v23 :: v_dual_cndmask_b32 v16, v18, v22
	s_delay_alu instid0(VALU_DEP_1) | instskip(NEXT) | instid1(VALU_DEP_1)
	v_div_scale_f64 v[18:19], null, v[16:17], v[16:17], v[14:15]
	v_rcp_f64_e32 v[20:21], v[18:19]
	v_nop
	s_delay_alu instid0(TRANS32_DEP_1) | instskip(NEXT) | instid1(VALU_DEP_1)
	v_fma_f64 v[22:23], -v[18:19], v[20:21], 1.0
	v_fmac_f64_e32 v[20:21], v[20:21], v[22:23]
	s_delay_alu instid0(VALU_DEP_1) | instskip(NEXT) | instid1(VALU_DEP_1)
	v_fma_f64 v[22:23], -v[18:19], v[20:21], 1.0
	v_fmac_f64_e32 v[20:21], v[20:21], v[22:23]
	v_div_scale_f64 v[22:23], vcc_lo, v[14:15], v[16:17], v[14:15]
	s_delay_alu instid0(VALU_DEP_1) | instskip(NEXT) | instid1(VALU_DEP_1)
	v_mul_f64_e32 v[24:25], v[22:23], v[20:21]
	v_fma_f64 v[18:19], -v[18:19], v[24:25], v[22:23]
	s_delay_alu instid0(VALU_DEP_1) | instskip(NEXT) | instid1(VALU_DEP_1)
	v_div_fmas_f64 v[18:19], v[18:19], v[20:21], v[24:25]
	v_div_fixup_f64 v[16:17], v[18:19], v[16:17], v[14:15]
.LBB7_88:
	s_or_b32 exec_lo, exec_lo, s2
	s_clause 0x3
	global_store_b64 v2, v[8:9], s[0:1]
	global_store_b64 v4, v[10:11], s[0:1]
	;; [unrolled: 1-line block ×4, first 2 shown]
	s_endpgm
.LBB7_89:
	v_dual_mov_b32 v3, 0 :: v_dual_mov_b32 v2, 0
	s_branch .LBB7_95
.LBB7_90:
	v_dual_mov_b32 v3, 0 :: v_dual_mov_b32 v2, 0
	s_branch .LBB7_115
.LBB7_91:
	v_mov_b64_e32 v[2:3], 0
	v_mov_b32_e32 v1, v0
	s_mov_b32 s22, 0
.LBB7_92:
	s_and_b32 s14, s14, 3
	s_mov_b32 s23, 0
	s_cmp_eq_u32 s14, 0
	s_cbranch_scc1 .LBB7_95
; %bb.93:
	s_lshl_b32 s24, s22, 3
	s_mov_b32 s25, s23
	s_mul_u64 s[26:27], s[22:23], 12
	s_add_nc_u64 s[24:25], s[12:13], s[24:25]
	s_delay_alu instid0(SALU_CYCLE_1)
	s_add_nc_u64 s[22:23], s[24:25], 0xc4
	s_add_nc_u64 s[24:25], s[12:13], s[26:27]
.LBB7_94:                               ; =>This Inner Loop Header: Depth=1
	s_load_b96 s[40:42], s[24:25], 0x4
	s_load_b64 s[26:27], s[22:23], 0x0
	s_add_co_i32 s14, s14, -1
	s_wait_xcnt 0x0
	s_add_nc_u64 s[24:25], s[24:25], 12
	s_cmp_lg_u32 s14, 0
	s_add_nc_u64 s[22:23], s[22:23], 8
	s_wait_kmcnt 0x0
	v_mul_hi_u32 v4, s41, v1
	s_delay_alu instid0(VALU_DEP_1) | instskip(NEXT) | instid1(VALU_DEP_1)
	v_add_nc_u32_e32 v4, v1, v4
	v_lshrrev_b32_e32 v4, s42, v4
	s_delay_alu instid0(VALU_DEP_1) | instskip(NEXT) | instid1(VALU_DEP_1)
	v_mul_lo_u32 v5, v4, s40
	v_sub_nc_u32_e32 v1, v1, v5
	s_delay_alu instid0(VALU_DEP_1)
	v_mad_u32 v3, v1, s27, v3
	v_mad_u32 v2, v1, s26, v2
	v_mov_b32_e32 v1, v4
	s_cbranch_scc1 .LBB7_94
.LBB7_95:
	s_cbranch_execnz .LBB7_98
.LBB7_96:
	v_mov_b32_e32 v1, 0
	s_and_not1_b32 vcc_lo, exec_lo, s33
	s_delay_alu instid0(VALU_DEP_1) | instskip(NEXT) | instid1(VALU_DEP_1)
	v_mul_u64_e32 v[2:3], s[16:17], v[0:1]
	v_add_nc_u32_e32 v2, v0, v3
	s_delay_alu instid0(VALU_DEP_1) | instskip(NEXT) | instid1(VALU_DEP_1)
	v_lshrrev_b32_e32 v4, s6, v2
	v_mul_lo_u32 v2, v4, s4
	s_delay_alu instid0(VALU_DEP_1) | instskip(NEXT) | instid1(VALU_DEP_1)
	v_sub_nc_u32_e32 v2, v0, v2
	v_mul_lo_u32 v3, v2, s9
	v_mul_lo_u32 v2, v2, s8
	s_cbranch_vccnz .LBB7_98
; %bb.97:
	v_mov_b32_e32 v5, v1
	s_delay_alu instid0(VALU_DEP_1) | instskip(NEXT) | instid1(VALU_DEP_1)
	v_mul_u64_e32 v[6:7], s[18:19], v[4:5]
	v_add_nc_u32_e32 v1, v4, v7
	s_delay_alu instid0(VALU_DEP_1) | instskip(NEXT) | instid1(VALU_DEP_1)
	v_lshrrev_b32_e32 v1, s15, v1
	v_mul_lo_u32 v1, v1, s7
	s_delay_alu instid0(VALU_DEP_1) | instskip(NEXT) | instid1(VALU_DEP_1)
	v_sub_nc_u32_e32 v1, v4, v1
	v_mad_u32 v2, v1, s10, v2
	v_mad_u32 v3, v1, s11, v3
.LBB7_98:
	global_load_b64 v[4:5], v3, s[2:3]
                                        ; implicit-def: $vgpr6_vgpr7
	s_wait_loadcnt 0x0
	v_cmp_ge_f64_e64 s14, 0x40200000, |v[4:5]|
	s_and_saveexec_b32 s22, s14
	s_delay_alu instid0(SALU_CYCLE_1)
	s_xor_b32 s14, exec_lo, s22
	s_cbranch_execz .LBB7_100
; %bb.99:
	v_fma_f64 v[6:7], |v[4:5]|, 0.5, -2.0
	s_mov_b64 s[22:23], 0xbc545cb72134d0ef
	s_delay_alu instid0(VALU_DEP_1) | instid1(SALU_CYCLE_1)
	v_fmaak_f64 v[8:9], s[22:23], v[6:7], 0x3c833362977da589
	s_mov_b64 s[22:23], 0x3ff71547652b82fe
	s_delay_alu instid0(SALU_CYCLE_1) | instskip(SKIP_1) | instid1(VALU_DEP_2)
	v_mul_f64_e64 v[12:13], |v[4:5]|, s[22:23]
	s_mov_b64 s[22:23], 0xbfe62e42fefa39ef
	v_fmaak_f64 v[10:11], v[6:7], v[8:9], 0x3c545cb72134d0ef
	s_delay_alu instid0(VALU_DEP_1) | instskip(NEXT) | instid1(VALU_DEP_3)
	v_add_f64_e32 v[10:11], 0xbcb184eb721ebbb4, v[10:11]
	v_rndne_f64_e32 v[12:13], v[12:13]
	s_delay_alu instid0(VALU_DEP_2) | instskip(NEXT) | instid1(VALU_DEP_2)
	v_fma_f64 v[8:9], v[6:7], v[10:11], -v[8:9]
	v_fma_f64 v[4:5], v[12:13], s[22:23], |v[4:5]|
	s_mov_b64 s[22:23], 0x3e5ade156a5dcb37
	v_cvt_i32_f64_e32 v1, v[12:13]
	s_delay_alu instid0(VALU_DEP_3) | instskip(NEXT) | instid1(VALU_DEP_3)
	v_add_f64_e32 v[8:9], 0x3cdee6d893f65eba, v[8:9]
	v_fmamk_f64 v[4:5], v[12:13], 0xbc7abc9e3b39803f, v[4:5]
	s_delay_alu instid0(VALU_DEP_1) | instskip(NEXT) | instid1(VALU_DEP_3)
	v_fmaak_f64 v[14:15], s[22:23], v[4:5], 0x3e928af3fca7ab0c
	v_fma_f64 v[10:11], v[6:7], v[8:9], -v[10:11]
	s_delay_alu instid0(VALU_DEP_2) | instskip(NEXT) | instid1(VALU_DEP_1)
	v_fmaak_f64 v[14:15], v[4:5], v[14:15], 0x3ec71dee623fde64
	v_fmaak_f64 v[14:15], v[4:5], v[14:15], 0x3efa01997c89e6b0
	s_delay_alu instid0(VALU_DEP_1) | instskip(NEXT) | instid1(VALU_DEP_1)
	v_fmaak_f64 v[14:15], v[4:5], v[14:15], 0x3f2a01a014761f6e
	v_fmaak_f64 v[14:15], v[4:5], v[14:15], 0x3f56c16c1852b7b0
	v_add_f64_e32 v[10:11], 0xbd0a5022c297fbeb, v[10:11]
	s_delay_alu instid0(VALU_DEP_1) | instskip(NEXT) | instid1(VALU_DEP_1)
	v_fma_f64 v[8:9], v[6:7], v[10:11], -v[8:9]
	v_add_f64_e32 v[8:9], 0x3d359b464b262627, v[8:9]
	s_delay_alu instid0(VALU_DEP_1) | instskip(NEXT) | instid1(VALU_DEP_1)
	v_fma_f64 v[10:11], v[6:7], v[8:9], -v[10:11]
	;; [unrolled: 3-line block ×24, first 2 shown]
	v_add_f64_e32 v[10:11], 0xbfd37febc057cd8d, v[10:11]
	s_delay_alu instid0(VALU_DEP_1) | instskip(SKIP_1) | instid1(VALU_DEP_1)
	v_fma_f64 v[6:7], v[6:7], v[10:11], -v[8:9]
	v_fmaak_f64 v[10:11], v[4:5], v[14:15], 0x3f81111111122322
	v_fmaak_f64 v[10:11], v[4:5], v[10:11], 0x3fa55555555502a1
	s_delay_alu instid0(VALU_DEP_1) | instskip(NEXT) | instid1(VALU_DEP_1)
	v_fmaak_f64 v[10:11], v[4:5], v[10:11], 0x3fc5555555555511
	v_fmaak_f64 v[10:11], v[4:5], v[10:11], 0x3fe000000000000b
	s_delay_alu instid0(VALU_DEP_1) | instskip(SKIP_1) | instid1(VALU_DEP_2)
	v_fma_f64 v[10:11], v[4:5], v[10:11], 1.0
	v_add_f64_e32 v[6:7], 0x3fe5a84e9035a22a, v[6:7]
	v_fma_f64 v[4:5], v[4:5], v[10:11], 1.0
	s_delay_alu instid0(VALU_DEP_2) | instskip(NEXT) | instid1(VALU_DEP_2)
	v_add_f64_e64 v[6:7], v[6:7], -v[8:9]
	v_ldexp_f64 v[4:5], v[4:5], v1
	s_delay_alu instid0(VALU_DEP_2) | instskip(NEXT) | instid1(VALU_DEP_1)
	v_mul_f64_e32 v[6:7], 0.5, v[6:7]
	v_mul_f64_e32 v[6:7], v[4:5], v[6:7]
                                        ; implicit-def: $vgpr4_vgpr5
.LBB7_100:
	s_and_not1_saveexec_b32 s14, s14
	s_cbranch_execz .LBB7_102
; %bb.101:
	v_and_b32_e32 v7, 0x7fffffff, v5
	v_mov_b32_e32 v6, v4
	s_mov_b64 s[22:23], 0xbc60adb754ca8b19
	v_cmp_gt_f64_e64 s24, 0x10000000, |v[4:5]|
	s_delay_alu instid0(VALU_DEP_2) | instskip(SKIP_1) | instid1(VALU_DEP_3)
	v_div_scale_f64 v[8:9], null, v[6:7], v[6:7], 0x40400000
	v_div_scale_f64 v[6:7], vcc_lo, 0x40400000, v[6:7], 0x40400000
	v_cndmask_b32_e64 v1, 0, 0x100, s24
	s_delay_alu instid0(VALU_DEP_3) | instskip(SKIP_1) | instid1(TRANS32_DEP_1)
	v_rcp_f64_e32 v[10:11], v[8:9]
	v_nop
	v_fma_f64 v[12:13], -v[8:9], v[10:11], 1.0
	s_delay_alu instid0(VALU_DEP_1) | instskip(NEXT) | instid1(VALU_DEP_1)
	v_fmac_f64_e32 v[10:11], v[10:11], v[12:13]
	v_fma_f64 v[12:13], -v[8:9], v[10:11], 1.0
	s_delay_alu instid0(VALU_DEP_1) | instskip(NEXT) | instid1(VALU_DEP_1)
	v_fmac_f64_e32 v[10:11], v[10:11], v[12:13]
	v_mul_f64_e32 v[12:13], v[6:7], v[10:11]
	s_delay_alu instid0(VALU_DEP_1) | instskip(NEXT) | instid1(VALU_DEP_1)
	v_fma_f64 v[6:7], -v[8:9], v[12:13], v[6:7]
	v_div_fmas_f64 v[6:7], v[6:7], v[10:11], v[12:13]
	v_ldexp_f64 v[12:13], |v[4:5]|, v1
	v_cmp_nlt_f64_e64 vcc_lo, 0x40900000, |v[4:5]|
	s_delay_alu instid0(VALU_DEP_3) | instskip(NEXT) | instid1(VALU_DEP_3)
	v_div_fixup_f64 v[6:7], v[6:7], |v[4:5]|, 0x40400000
	v_rsq_f64_e32 v[16:17], v[12:13]
	s_delay_alu instid0(VALU_DEP_1) | instskip(NEXT) | instid1(TRANS32_DEP_1)
	v_add_f64_e32 v[6:7], -2.0, v[6:7]
	v_mul_f64_e32 v[18:19], v[12:13], v[16:17]
	v_mul_f64_e32 v[16:17], 0.5, v[16:17]
	s_delay_alu instid0(VALU_DEP_3) | instskip(SKIP_1) | instid1(SALU_CYCLE_1)
	v_fmaak_f64 v[8:9], s[22:23], v[6:7], 0xbc5646da66119130
	s_mov_b64 s[22:23], 0x3ff71547652b82fe
	v_mul_f64_e64 v[14:15], |v[4:5]|, s[22:23]
	s_mov_b64 s[22:23], 0xbfe62e42fefa39ef
	s_delay_alu instid0(VALU_DEP_2) | instskip(NEXT) | instid1(VALU_DEP_4)
	v_fmaak_f64 v[10:11], v[6:7], v[8:9], 0x3c60adb754ca8b19
	v_fma_f64 v[22:23], -v[16:17], v[18:19], 0.5
	s_delay_alu instid0(VALU_DEP_2) | instskip(NEXT) | instid1(VALU_DEP_4)
	v_add_f64_e32 v[10:11], 0x3c89be1812d98421, v[10:11]
	v_rndne_f64_e32 v[14:15], v[14:15]
	s_delay_alu instid0(VALU_DEP_3) | instskip(SKIP_1) | instid1(VALU_DEP_4)
	v_fmac_f64_e32 v[18:19], v[18:19], v[22:23]
	v_fmac_f64_e32 v[16:17], v[16:17], v[22:23]
	v_fma_f64 v[8:9], v[6:7], v[10:11], -v[8:9]
	s_delay_alu instid0(VALU_DEP_4) | instskip(SKIP_2) | instid1(VALU_DEP_3)
	v_fma_f64 v[20:21], v[14:15], s[22:23], |v[4:5]|
	s_mov_b64 s[22:23], 0x3e5ade156a5dcb37
	v_cvt_i32_f64_e32 v1, v[14:15]
	v_add_f64_e32 v[8:9], 0x3c83f3dd076041cd, v[8:9]
	s_delay_alu instid0(VALU_DEP_3) | instskip(NEXT) | instid1(VALU_DEP_1)
	v_fmamk_f64 v[20:21], v[14:15], 0xbc7abc9e3b39803f, v[20:21]
	v_fmaak_f64 v[24:25], s[22:23], v[20:21], 0x3e928af3fca7ab0c
	s_delay_alu instid0(VALU_DEP_3) | instskip(NEXT) | instid1(VALU_DEP_2)
	v_fma_f64 v[10:11], v[6:7], v[8:9], -v[10:11]
	v_fmaak_f64 v[24:25], v[20:21], v[24:25], 0x3ec71dee623fde64
	s_delay_alu instid0(VALU_DEP_1) | instskip(NEXT) | instid1(VALU_DEP_1)
	v_fmaak_f64 v[24:25], v[20:21], v[24:25], 0x3efa01997c89e6b0
	v_fmaak_f64 v[24:25], v[20:21], v[24:25], 0x3f2a01a014761f6e
	s_delay_alu instid0(VALU_DEP_1) | instskip(NEXT) | instid1(VALU_DEP_1)
	v_fmaak_f64 v[24:25], v[20:21], v[24:25], 0x3f56c16c1852b7b0
	v_fmaak_f64 v[24:25], v[20:21], v[24:25], 0x3f81111111122322
	v_add_f64_e32 v[10:11], 0xbcb4600babd21fe4, v[10:11]
	s_delay_alu instid0(VALU_DEP_1) | instskip(NEXT) | instid1(VALU_DEP_1)
	v_fma_f64 v[8:9], v[6:7], v[10:11], -v[8:9]
	v_add_f64_e32 v[8:9], 0xbcb8aee7d908de38, v[8:9]
	s_delay_alu instid0(VALU_DEP_1) | instskip(NEXT) | instid1(VALU_DEP_1)
	v_fma_f64 v[10:11], v[6:7], v[8:9], -v[10:11]
	v_add_f64_e32 v[10:11], 0x3cdfee7da3eafb1f, v[10:11]
	s_delay_alu instid0(VALU_DEP_1) | instskip(NEXT) | instid1(VALU_DEP_1)
	v_fma_f64 v[8:9], v[6:7], v[10:11], -v[8:9]
	v_add_f64_e32 v[8:9], 0x3cf12a919094e6d7, v[8:9]
	s_delay_alu instid0(VALU_DEP_1) | instskip(NEXT) | instid1(VALU_DEP_1)
	v_fma_f64 v[10:11], v[6:7], v[8:9], -v[10:11]
	v_add_f64_e32 v[10:11], 0xbd0583fe7e65629a, v[10:11]
	s_delay_alu instid0(VALU_DEP_1) | instskip(NEXT) | instid1(VALU_DEP_1)
	v_fma_f64 v[8:9], v[6:7], v[10:11], -v[8:9]
	v_add_f64_e32 v[8:9], 0xbd275d99cf68bb32, v[8:9]
	s_delay_alu instid0(VALU_DEP_1) | instskip(NEXT) | instid1(VALU_DEP_1)
	v_fma_f64 v[10:11], v[6:7], v[8:9], -v[10:11]
	v_add_f64_e32 v[10:11], 0x3d1156ff0d5fc545, v[10:11]
	s_delay_alu instid0(VALU_DEP_1) | instskip(NEXT) | instid1(VALU_DEP_1)
	v_fma_f64 v[8:9], v[6:7], v[10:11], -v[8:9]
	v_add_f64_e32 v[8:9], 0x3d5b1c8c6b83c073, v[8:9]
	s_delay_alu instid0(VALU_DEP_1) | instskip(NEXT) | instid1(VALU_DEP_1)
	v_fma_f64 v[10:11], v[6:7], v[8:9], -v[10:11]
	v_add_f64_e32 v[10:11], 0x3d694347fa268cec, v[10:11]
	s_delay_alu instid0(VALU_DEP_1) | instskip(NEXT) | instid1(VALU_DEP_1)
	v_fma_f64 v[8:9], v[6:7], v[10:11], -v[8:9]
	v_add_f64_e32 v[8:9], 0xbd7f904303178d66, v[8:9]
	s_delay_alu instid0(VALU_DEP_1) | instskip(NEXT) | instid1(VALU_DEP_1)
	v_fma_f64 v[10:11], v[6:7], v[8:9], -v[10:11]
	v_add_f64_e32 v[10:11], 0xbdad0fd7357e7bf2, v[10:11]
	s_delay_alu instid0(VALU_DEP_1) | instskip(NEXT) | instid1(VALU_DEP_1)
	v_fma_f64 v[8:9], v[6:7], v[10:11], -v[8:9]
	v_add_f64_e32 v[8:9], 0xbdc1511d08397425, v[8:9]
	s_delay_alu instid0(VALU_DEP_1) | instskip(NEXT) | instid1(VALU_DEP_1)
	v_fma_f64 v[10:11], v[6:7], v[8:9], -v[10:11]
	v_add_f64_e32 v[10:11], 0x3daa24feabe8004f, v[10:11]
	s_delay_alu instid0(VALU_DEP_1) | instskip(NEXT) | instid1(VALU_DEP_1)
	v_fma_f64 v[8:9], v[6:7], v[10:11], -v[8:9]
	v_add_f64_e32 v[8:9], 0x3e00f9ccc0f46f75, v[8:9]
	s_delay_alu instid0(VALU_DEP_1) | instskip(NEXT) | instid1(VALU_DEP_1)
	v_fma_f64 v[10:11], v[6:7], v[8:9], -v[10:11]
	v_add_f64_e32 v[10:11], 0x3e2d2c64a9225b87, v[10:11]
	s_delay_alu instid0(VALU_DEP_1) | instskip(NEXT) | instid1(VALU_DEP_1)
	v_fma_f64 v[8:9], v[6:7], v[10:11], -v[8:9]
	v_add_f64_e32 v[8:9], 0x3e58569280d6d56d, v[8:9]
	s_delay_alu instid0(VALU_DEP_1) | instskip(NEXT) | instid1(VALU_DEP_1)
	v_fma_f64 v[10:11], v[6:7], v[8:9], -v[10:11]
	v_add_f64_e32 v[10:11], 0x3e8b8007d9cd616e, v[10:11]
	s_delay_alu instid0(VALU_DEP_1) | instskip(NEXT) | instid1(VALU_DEP_1)
	v_fma_f64 v[8:9], v[6:7], v[10:11], -v[8:9]
	v_add_f64_e32 v[8:9], 0x3ec8412bc101c586, v[8:9]
	s_delay_alu instid0(VALU_DEP_1) | instskip(NEXT) | instid1(VALU_DEP_1)
	v_fma_f64 v[10:11], v[6:7], v[8:9], -v[10:11]
	v_add_f64_e32 v[10:11], 0x3f120fa378999e52, v[10:11]
	s_delay_alu instid0(VALU_DEP_1) | instskip(NEXT) | instid1(VALU_DEP_1)
	v_fma_f64 v[8:9], v[6:7], v[10:11], -v[8:9]
	v_add_f64_e32 v[8:9], 0x3f6b998ca2e59049, v[8:9]
	s_delay_alu instid0(VALU_DEP_1) | instskip(SKIP_1) | instid1(VALU_DEP_1)
	v_fma_f64 v[6:7], v[6:7], v[8:9], -v[10:11]
	v_fmaak_f64 v[8:9], v[20:21], v[24:25], 0x3fa55555555502a1
	v_fmaak_f64 v[8:9], v[20:21], v[8:9], 0x3fc5555555555511
	s_delay_alu instid0(VALU_DEP_1) | instskip(NEXT) | instid1(VALU_DEP_1)
	v_fmaak_f64 v[8:9], v[20:21], v[8:9], 0x3fe000000000000b
	v_fma_f64 v[8:9], v[20:21], v[8:9], 1.0
	v_add_f64_e32 v[6:7], 0x3fe9be62aca809cb, v[6:7]
	s_delay_alu instid0(VALU_DEP_2) | instskip(NEXT) | instid1(VALU_DEP_2)
	v_fma_f64 v[8:9], v[20:21], v[8:9], 1.0
	v_add_f64_e64 v[6:7], v[6:7], -v[10:11]
	s_delay_alu instid0(VALU_DEP_2) | instskip(SKIP_1) | instid1(VALU_DEP_3)
	v_ldexp_f64 v[8:9], v[8:9], v1
	v_cndmask_b32_e64 v1, 0, 0xffffff80, s24
	v_mul_f64_e32 v[4:5], 0.5, v[6:7]
	s_delay_alu instid0(VALU_DEP_3) | instskip(NEXT) | instid1(VALU_DEP_4)
	v_cndmask_b32_e32 v7, 0x7ff00000, v9, vcc_lo
	v_cndmask_b32_e32 v6, 0, v8, vcc_lo
	v_cmp_class_f64_e64 vcc_lo, v[12:13], 0x260
	v_fma_f64 v[22:23], -v[18:19], v[18:19], v[12:13]
	s_delay_alu instid0(VALU_DEP_3) | instskip(NEXT) | instid1(VALU_DEP_2)
	v_mul_f64_e32 v[4:5], v[6:7], v[4:5]
	v_fmac_f64_e32 v[18:19], v[22:23], v[16:17]
	s_delay_alu instid0(VALU_DEP_1) | instskip(NEXT) | instid1(VALU_DEP_1)
	v_fma_f64 v[14:15], -v[18:19], v[18:19], v[12:13]
	v_fmac_f64_e32 v[18:19], v[14:15], v[16:17]
	s_delay_alu instid0(VALU_DEP_1) | instskip(NEXT) | instid1(VALU_DEP_1)
	v_ldexp_f64 v[8:9], v[18:19], v1
	v_dual_cndmask_b32 v7, v9, v13 :: v_dual_cndmask_b32 v6, v8, v12
	s_delay_alu instid0(VALU_DEP_1) | instskip(NEXT) | instid1(VALU_DEP_1)
	v_div_scale_f64 v[8:9], null, v[6:7], v[6:7], v[4:5]
	v_rcp_f64_e32 v[10:11], v[8:9]
	v_nop
	s_delay_alu instid0(TRANS32_DEP_1) | instskip(NEXT) | instid1(VALU_DEP_1)
	v_fma_f64 v[12:13], -v[8:9], v[10:11], 1.0
	v_fmac_f64_e32 v[10:11], v[10:11], v[12:13]
	s_delay_alu instid0(VALU_DEP_1) | instskip(NEXT) | instid1(VALU_DEP_1)
	v_fma_f64 v[12:13], -v[8:9], v[10:11], 1.0
	v_fmac_f64_e32 v[10:11], v[10:11], v[12:13]
	v_div_scale_f64 v[12:13], vcc_lo, v[4:5], v[6:7], v[4:5]
	s_delay_alu instid0(VALU_DEP_1) | instskip(NEXT) | instid1(VALU_DEP_1)
	v_mul_f64_e32 v[14:15], v[12:13], v[10:11]
	v_fma_f64 v[8:9], -v[8:9], v[14:15], v[12:13]
	s_delay_alu instid0(VALU_DEP_1) | instskip(NEXT) | instid1(VALU_DEP_1)
	v_div_fmas_f64 v[8:9], v[8:9], v[10:11], v[14:15]
	v_div_fixup_f64 v[6:7], v[8:9], v[6:7], v[4:5]
.LBB7_102:
	s_or_b32 exec_lo, exec_lo, s14
	v_add_nc_u32_e32 v0, 0x80, v0
	global_store_b64 v2, v[6:7], s[0:1]
	s_wait_xcnt 0x0
	s_or_b32 exec_lo, exec_lo, s5
	s_delay_alu instid0(SALU_CYCLE_1)
	s_mov_b32 s5, exec_lo
	v_cmpx_gt_i32_e64 s34, v0
	s_cbranch_execnz .LBB7_15
.LBB7_103:
	s_or_b32 exec_lo, exec_lo, s5
	s_delay_alu instid0(SALU_CYCLE_1)
	s_mov_b32 s5, exec_lo
	v_cmpx_gt_i32_e64 s34, v0
	s_cbranch_execz .LBB7_123
.LBB7_104:
	s_and_not1_b32 vcc_lo, exec_lo, s30
	s_cbranch_vccnz .LBB7_109
; %bb.105:
	s_and_not1_b32 vcc_lo, exec_lo, s36
	s_cbranch_vccnz .LBB7_110
; %bb.106:
	s_add_co_i32 s14, s35, 1
	s_cmp_eq_u32 s29, 2
	s_cbranch_scc1 .LBB7_126
; %bb.107:
	v_dual_mov_b32 v2, 0 :: v_dual_mov_b32 v3, 0
	v_mov_b32_e32 v1, v0
	s_and_b32 s22, s14, 28
	s_mov_b32 s23, 0
	s_mov_b64 s[24:25], s[12:13]
	s_mov_b64 s[26:27], s[20:21]
.LBB7_108:                              ; =>This Inner Loop Header: Depth=1
	s_clause 0x1
	s_load_b256 s[40:47], s[24:25], 0x4
	s_load_b128 s[56:59], s[24:25], 0x24
	s_load_b256 s[48:55], s[26:27], 0x0
	s_add_co_i32 s23, s23, 4
	s_wait_xcnt 0x0
	s_add_nc_u64 s[24:25], s[24:25], 48
	s_cmp_eq_u32 s22, s23
	s_add_nc_u64 s[26:27], s[26:27], 32
	s_wait_kmcnt 0x0
	v_mul_hi_u32 v4, s41, v1
	s_delay_alu instid0(VALU_DEP_1) | instskip(NEXT) | instid1(VALU_DEP_1)
	v_add_nc_u32_e32 v4, v1, v4
	v_lshrrev_b32_e32 v4, s42, v4
	s_delay_alu instid0(VALU_DEP_1) | instskip(NEXT) | instid1(VALU_DEP_1)
	v_mul_hi_u32 v5, s44, v4
	v_add_nc_u32_e32 v5, v4, v5
	s_delay_alu instid0(VALU_DEP_1) | instskip(NEXT) | instid1(VALU_DEP_1)
	v_lshrrev_b32_e32 v5, s45, v5
	v_mul_hi_u32 v6, s47, v5
	s_delay_alu instid0(VALU_DEP_1) | instskip(SKIP_1) | instid1(VALU_DEP_1)
	v_add_nc_u32_e32 v6, v5, v6
	v_mul_lo_u32 v7, v4, s40
	v_sub_nc_u32_e32 v1, v1, v7
	v_mul_lo_u32 v7, v5, s43
	s_delay_alu instid0(VALU_DEP_4) | instskip(NEXT) | instid1(VALU_DEP_3)
	v_lshrrev_b32_e32 v6, s56, v6
	v_mad_u32 v3, v1, s49, v3
	v_mad_u32 v1, v1, s48, v2
	s_delay_alu instid0(VALU_DEP_4) | instskip(NEXT) | instid1(VALU_DEP_4)
	v_sub_nc_u32_e32 v2, v4, v7
	v_mul_hi_u32 v8, s58, v6
	v_mul_lo_u32 v4, v6, s46
	s_delay_alu instid0(VALU_DEP_3) | instskip(SKIP_1) | instid1(VALU_DEP_4)
	v_mad_u32 v3, v2, s51, v3
	v_mad_u32 v2, v2, s50, v1
	v_add_nc_u32_e32 v7, v6, v8
	s_delay_alu instid0(VALU_DEP_1) | instskip(NEXT) | instid1(VALU_DEP_1)
	v_dual_sub_nc_u32 v4, v5, v4 :: v_dual_lshrrev_b32 v1, s59, v7
	v_mad_u32 v3, v4, s53, v3
	s_delay_alu instid0(VALU_DEP_4) | instskip(NEXT) | instid1(VALU_DEP_3)
	v_mad_u32 v2, v4, s52, v2
	v_mul_lo_u32 v5, v1, s57
	s_delay_alu instid0(VALU_DEP_1) | instskip(NEXT) | instid1(VALU_DEP_1)
	v_sub_nc_u32_e32 v4, v6, v5
	v_mad_u32 v3, v4, s55, v3
	s_delay_alu instid0(VALU_DEP_4)
	v_mad_u32 v2, v4, s54, v2
	s_cbranch_scc0 .LBB7_108
	s_branch .LBB7_127
.LBB7_109:
                                        ; implicit-def: $vgpr3
	s_branch .LBB7_131
.LBB7_110:
	v_dual_mov_b32 v3, 0 :: v_dual_mov_b32 v2, 0
	s_branch .LBB7_130
.LBB7_111:
	v_mov_b64_e32 v[2:3], 0
	v_mov_b32_e32 v1, v0
	s_mov_b32 s22, 0
.LBB7_112:
	s_and_b32 s14, s14, 3
	s_mov_b32 s23, 0
	s_cmp_eq_u32 s14, 0
	s_cbranch_scc1 .LBB7_115
; %bb.113:
	s_lshl_b32 s24, s22, 3
	s_mov_b32 s25, s23
	s_mul_u64 s[26:27], s[22:23], 12
	s_add_nc_u64 s[24:25], s[12:13], s[24:25]
	s_delay_alu instid0(SALU_CYCLE_1)
	s_add_nc_u64 s[22:23], s[24:25], 0xc4
	s_add_nc_u64 s[24:25], s[12:13], s[26:27]
.LBB7_114:                              ; =>This Inner Loop Header: Depth=1
	s_load_b96 s[40:42], s[24:25], 0x4
	s_load_b64 s[26:27], s[22:23], 0x0
	s_add_co_i32 s14, s14, -1
	s_wait_xcnt 0x0
	s_add_nc_u64 s[24:25], s[24:25], 12
	s_cmp_lg_u32 s14, 0
	s_add_nc_u64 s[22:23], s[22:23], 8
	s_wait_kmcnt 0x0
	v_mul_hi_u32 v4, s41, v1
	s_delay_alu instid0(VALU_DEP_1) | instskip(NEXT) | instid1(VALU_DEP_1)
	v_add_nc_u32_e32 v4, v1, v4
	v_lshrrev_b32_e32 v4, s42, v4
	s_delay_alu instid0(VALU_DEP_1) | instskip(NEXT) | instid1(VALU_DEP_1)
	v_mul_lo_u32 v5, v4, s40
	v_sub_nc_u32_e32 v1, v1, v5
	s_delay_alu instid0(VALU_DEP_1)
	v_mad_u32 v3, v1, s27, v3
	v_mad_u32 v2, v1, s26, v2
	v_mov_b32_e32 v1, v4
	s_cbranch_scc1 .LBB7_114
.LBB7_115:
	s_cbranch_execnz .LBB7_118
.LBB7_116:
	v_mov_b32_e32 v1, 0
	s_and_not1_b32 vcc_lo, exec_lo, s33
	s_delay_alu instid0(VALU_DEP_1) | instskip(NEXT) | instid1(VALU_DEP_1)
	v_mul_u64_e32 v[2:3], s[16:17], v[0:1]
	v_add_nc_u32_e32 v2, v0, v3
	s_delay_alu instid0(VALU_DEP_1) | instskip(NEXT) | instid1(VALU_DEP_1)
	v_lshrrev_b32_e32 v4, s6, v2
	v_mul_lo_u32 v2, v4, s4
	s_delay_alu instid0(VALU_DEP_1) | instskip(NEXT) | instid1(VALU_DEP_1)
	v_sub_nc_u32_e32 v2, v0, v2
	v_mul_lo_u32 v3, v2, s9
	v_mul_lo_u32 v2, v2, s8
	s_cbranch_vccnz .LBB7_118
; %bb.117:
	v_mov_b32_e32 v5, v1
	s_delay_alu instid0(VALU_DEP_1) | instskip(NEXT) | instid1(VALU_DEP_1)
	v_mul_u64_e32 v[6:7], s[18:19], v[4:5]
	v_add_nc_u32_e32 v1, v4, v7
	s_delay_alu instid0(VALU_DEP_1) | instskip(NEXT) | instid1(VALU_DEP_1)
	v_lshrrev_b32_e32 v1, s15, v1
	v_mul_lo_u32 v1, v1, s7
	s_delay_alu instid0(VALU_DEP_1) | instskip(NEXT) | instid1(VALU_DEP_1)
	v_sub_nc_u32_e32 v1, v4, v1
	v_mad_u32 v2, v1, s10, v2
	v_mad_u32 v3, v1, s11, v3
.LBB7_118:
	global_load_b64 v[4:5], v3, s[2:3]
                                        ; implicit-def: $vgpr6_vgpr7
	s_wait_loadcnt 0x0
	v_cmp_ge_f64_e64 s14, 0x40200000, |v[4:5]|
	s_wait_xcnt 0x0
	s_and_saveexec_b32 s22, s14
	s_delay_alu instid0(SALU_CYCLE_1)
	s_xor_b32 s14, exec_lo, s22
	s_cbranch_execz .LBB7_120
; %bb.119:
	v_fma_f64 v[6:7], |v[4:5]|, 0.5, -2.0
	s_mov_b64 s[22:23], 0xbc545cb72134d0ef
	s_delay_alu instid0(VALU_DEP_1) | instid1(SALU_CYCLE_1)
	v_fmaak_f64 v[8:9], s[22:23], v[6:7], 0x3c833362977da589
	s_mov_b64 s[22:23], 0x3ff71547652b82fe
	s_delay_alu instid0(SALU_CYCLE_1) | instskip(SKIP_1) | instid1(VALU_DEP_2)
	v_mul_f64_e64 v[12:13], |v[4:5]|, s[22:23]
	s_mov_b64 s[22:23], 0xbfe62e42fefa39ef
	v_fmaak_f64 v[10:11], v[6:7], v[8:9], 0x3c545cb72134d0ef
	s_delay_alu instid0(VALU_DEP_1) | instskip(NEXT) | instid1(VALU_DEP_3)
	v_add_f64_e32 v[10:11], 0xbcb184eb721ebbb4, v[10:11]
	v_rndne_f64_e32 v[12:13], v[12:13]
	s_delay_alu instid0(VALU_DEP_2) | instskip(NEXT) | instid1(VALU_DEP_2)
	v_fma_f64 v[8:9], v[6:7], v[10:11], -v[8:9]
	v_fma_f64 v[4:5], v[12:13], s[22:23], |v[4:5]|
	s_mov_b64 s[22:23], 0x3e5ade156a5dcb37
	v_cvt_i32_f64_e32 v1, v[12:13]
	s_delay_alu instid0(VALU_DEP_3) | instskip(NEXT) | instid1(VALU_DEP_3)
	v_add_f64_e32 v[8:9], 0x3cdee6d893f65eba, v[8:9]
	v_fmamk_f64 v[4:5], v[12:13], 0xbc7abc9e3b39803f, v[4:5]
	s_delay_alu instid0(VALU_DEP_1) | instskip(NEXT) | instid1(VALU_DEP_3)
	v_fmaak_f64 v[14:15], s[22:23], v[4:5], 0x3e928af3fca7ab0c
	v_fma_f64 v[10:11], v[6:7], v[8:9], -v[10:11]
	s_delay_alu instid0(VALU_DEP_2) | instskip(NEXT) | instid1(VALU_DEP_1)
	v_fmaak_f64 v[14:15], v[4:5], v[14:15], 0x3ec71dee623fde64
	v_fmaak_f64 v[14:15], v[4:5], v[14:15], 0x3efa01997c89e6b0
	s_delay_alu instid0(VALU_DEP_1) | instskip(NEXT) | instid1(VALU_DEP_1)
	v_fmaak_f64 v[14:15], v[4:5], v[14:15], 0x3f2a01a014761f6e
	v_fmaak_f64 v[14:15], v[4:5], v[14:15], 0x3f56c16c1852b7b0
	v_add_f64_e32 v[10:11], 0xbd0a5022c297fbeb, v[10:11]
	s_delay_alu instid0(VALU_DEP_1) | instskip(NEXT) | instid1(VALU_DEP_1)
	v_fma_f64 v[8:9], v[6:7], v[10:11], -v[8:9]
	v_add_f64_e32 v[8:9], 0x3d359b464b262627, v[8:9]
	s_delay_alu instid0(VALU_DEP_1) | instskip(NEXT) | instid1(VALU_DEP_1)
	v_fma_f64 v[10:11], v[6:7], v[8:9], -v[10:11]
	;; [unrolled: 3-line block ×24, first 2 shown]
	v_add_f64_e32 v[10:11], 0xbfd37febc057cd8d, v[10:11]
	s_delay_alu instid0(VALU_DEP_1) | instskip(SKIP_1) | instid1(VALU_DEP_1)
	v_fma_f64 v[6:7], v[6:7], v[10:11], -v[8:9]
	v_fmaak_f64 v[10:11], v[4:5], v[14:15], 0x3f81111111122322
	v_fmaak_f64 v[10:11], v[4:5], v[10:11], 0x3fa55555555502a1
	s_delay_alu instid0(VALU_DEP_1) | instskip(NEXT) | instid1(VALU_DEP_1)
	v_fmaak_f64 v[10:11], v[4:5], v[10:11], 0x3fc5555555555511
	v_fmaak_f64 v[10:11], v[4:5], v[10:11], 0x3fe000000000000b
	s_delay_alu instid0(VALU_DEP_1) | instskip(SKIP_1) | instid1(VALU_DEP_2)
	v_fma_f64 v[10:11], v[4:5], v[10:11], 1.0
	v_add_f64_e32 v[6:7], 0x3fe5a84e9035a22a, v[6:7]
	v_fma_f64 v[4:5], v[4:5], v[10:11], 1.0
	s_delay_alu instid0(VALU_DEP_2) | instskip(NEXT) | instid1(VALU_DEP_2)
	v_add_f64_e64 v[6:7], v[6:7], -v[8:9]
	v_ldexp_f64 v[4:5], v[4:5], v1
	s_delay_alu instid0(VALU_DEP_2) | instskip(NEXT) | instid1(VALU_DEP_1)
	v_mul_f64_e32 v[6:7], 0.5, v[6:7]
	v_mul_f64_e32 v[6:7], v[4:5], v[6:7]
                                        ; implicit-def: $vgpr4_vgpr5
.LBB7_120:
	s_and_not1_saveexec_b32 s14, s14
	s_cbranch_execz .LBB7_122
; %bb.121:
	v_and_b32_e32 v7, 0x7fffffff, v5
	v_mov_b32_e32 v6, v4
	s_mov_b64 s[22:23], 0xbc60adb754ca8b19
	v_cmp_gt_f64_e64 s24, 0x10000000, |v[4:5]|
	s_delay_alu instid0(VALU_DEP_2) | instskip(SKIP_1) | instid1(VALU_DEP_3)
	v_div_scale_f64 v[8:9], null, v[6:7], v[6:7], 0x40400000
	v_div_scale_f64 v[6:7], vcc_lo, 0x40400000, v[6:7], 0x40400000
	v_cndmask_b32_e64 v1, 0, 0x100, s24
	s_delay_alu instid0(VALU_DEP_3) | instskip(SKIP_1) | instid1(TRANS32_DEP_1)
	v_rcp_f64_e32 v[10:11], v[8:9]
	v_nop
	v_fma_f64 v[12:13], -v[8:9], v[10:11], 1.0
	s_delay_alu instid0(VALU_DEP_1) | instskip(NEXT) | instid1(VALU_DEP_1)
	v_fmac_f64_e32 v[10:11], v[10:11], v[12:13]
	v_fma_f64 v[12:13], -v[8:9], v[10:11], 1.0
	s_delay_alu instid0(VALU_DEP_1) | instskip(NEXT) | instid1(VALU_DEP_1)
	v_fmac_f64_e32 v[10:11], v[10:11], v[12:13]
	v_mul_f64_e32 v[12:13], v[6:7], v[10:11]
	s_delay_alu instid0(VALU_DEP_1) | instskip(NEXT) | instid1(VALU_DEP_1)
	v_fma_f64 v[6:7], -v[8:9], v[12:13], v[6:7]
	v_div_fmas_f64 v[6:7], v[6:7], v[10:11], v[12:13]
	v_ldexp_f64 v[12:13], |v[4:5]|, v1
	v_cmp_nlt_f64_e64 vcc_lo, 0x40900000, |v[4:5]|
	s_delay_alu instid0(VALU_DEP_3) | instskip(NEXT) | instid1(VALU_DEP_3)
	v_div_fixup_f64 v[6:7], v[6:7], |v[4:5]|, 0x40400000
	v_rsq_f64_e32 v[16:17], v[12:13]
	s_delay_alu instid0(VALU_DEP_1) | instskip(NEXT) | instid1(TRANS32_DEP_1)
	v_add_f64_e32 v[6:7], -2.0, v[6:7]
	v_mul_f64_e32 v[18:19], v[12:13], v[16:17]
	v_mul_f64_e32 v[16:17], 0.5, v[16:17]
	s_delay_alu instid0(VALU_DEP_3) | instskip(SKIP_1) | instid1(SALU_CYCLE_1)
	v_fmaak_f64 v[8:9], s[22:23], v[6:7], 0xbc5646da66119130
	s_mov_b64 s[22:23], 0x3ff71547652b82fe
	v_mul_f64_e64 v[14:15], |v[4:5]|, s[22:23]
	s_mov_b64 s[22:23], 0xbfe62e42fefa39ef
	s_delay_alu instid0(VALU_DEP_2) | instskip(NEXT) | instid1(VALU_DEP_4)
	v_fmaak_f64 v[10:11], v[6:7], v[8:9], 0x3c60adb754ca8b19
	v_fma_f64 v[22:23], -v[16:17], v[18:19], 0.5
	s_delay_alu instid0(VALU_DEP_2) | instskip(NEXT) | instid1(VALU_DEP_4)
	v_add_f64_e32 v[10:11], 0x3c89be1812d98421, v[10:11]
	v_rndne_f64_e32 v[14:15], v[14:15]
	s_delay_alu instid0(VALU_DEP_3) | instskip(SKIP_1) | instid1(VALU_DEP_4)
	v_fmac_f64_e32 v[18:19], v[18:19], v[22:23]
	v_fmac_f64_e32 v[16:17], v[16:17], v[22:23]
	v_fma_f64 v[8:9], v[6:7], v[10:11], -v[8:9]
	s_delay_alu instid0(VALU_DEP_4) | instskip(SKIP_2) | instid1(VALU_DEP_3)
	v_fma_f64 v[20:21], v[14:15], s[22:23], |v[4:5]|
	s_mov_b64 s[22:23], 0x3e5ade156a5dcb37
	v_cvt_i32_f64_e32 v1, v[14:15]
	v_add_f64_e32 v[8:9], 0x3c83f3dd076041cd, v[8:9]
	s_delay_alu instid0(VALU_DEP_3) | instskip(NEXT) | instid1(VALU_DEP_1)
	v_fmamk_f64 v[20:21], v[14:15], 0xbc7abc9e3b39803f, v[20:21]
	v_fmaak_f64 v[24:25], s[22:23], v[20:21], 0x3e928af3fca7ab0c
	s_delay_alu instid0(VALU_DEP_3) | instskip(NEXT) | instid1(VALU_DEP_2)
	v_fma_f64 v[10:11], v[6:7], v[8:9], -v[10:11]
	v_fmaak_f64 v[24:25], v[20:21], v[24:25], 0x3ec71dee623fde64
	s_delay_alu instid0(VALU_DEP_1) | instskip(NEXT) | instid1(VALU_DEP_1)
	v_fmaak_f64 v[24:25], v[20:21], v[24:25], 0x3efa01997c89e6b0
	v_fmaak_f64 v[24:25], v[20:21], v[24:25], 0x3f2a01a014761f6e
	s_delay_alu instid0(VALU_DEP_1) | instskip(NEXT) | instid1(VALU_DEP_1)
	v_fmaak_f64 v[24:25], v[20:21], v[24:25], 0x3f56c16c1852b7b0
	v_fmaak_f64 v[24:25], v[20:21], v[24:25], 0x3f81111111122322
	v_add_f64_e32 v[10:11], 0xbcb4600babd21fe4, v[10:11]
	s_delay_alu instid0(VALU_DEP_1) | instskip(NEXT) | instid1(VALU_DEP_1)
	v_fma_f64 v[8:9], v[6:7], v[10:11], -v[8:9]
	v_add_f64_e32 v[8:9], 0xbcb8aee7d908de38, v[8:9]
	s_delay_alu instid0(VALU_DEP_1) | instskip(NEXT) | instid1(VALU_DEP_1)
	v_fma_f64 v[10:11], v[6:7], v[8:9], -v[10:11]
	;; [unrolled: 3-line block ×19, first 2 shown]
	v_add_f64_e32 v[8:9], 0x3f6b998ca2e59049, v[8:9]
	s_delay_alu instid0(VALU_DEP_1) | instskip(SKIP_1) | instid1(VALU_DEP_1)
	v_fma_f64 v[6:7], v[6:7], v[8:9], -v[10:11]
	v_fmaak_f64 v[8:9], v[20:21], v[24:25], 0x3fa55555555502a1
	v_fmaak_f64 v[8:9], v[20:21], v[8:9], 0x3fc5555555555511
	s_delay_alu instid0(VALU_DEP_1) | instskip(NEXT) | instid1(VALU_DEP_1)
	v_fmaak_f64 v[8:9], v[20:21], v[8:9], 0x3fe000000000000b
	v_fma_f64 v[8:9], v[20:21], v[8:9], 1.0
	v_add_f64_e32 v[6:7], 0x3fe9be62aca809cb, v[6:7]
	s_delay_alu instid0(VALU_DEP_2) | instskip(NEXT) | instid1(VALU_DEP_2)
	v_fma_f64 v[8:9], v[20:21], v[8:9], 1.0
	v_add_f64_e64 v[6:7], v[6:7], -v[10:11]
	s_delay_alu instid0(VALU_DEP_2) | instskip(SKIP_1) | instid1(VALU_DEP_3)
	v_ldexp_f64 v[8:9], v[8:9], v1
	v_cndmask_b32_e64 v1, 0, 0xffffff80, s24
	v_mul_f64_e32 v[4:5], 0.5, v[6:7]
	s_delay_alu instid0(VALU_DEP_3) | instskip(NEXT) | instid1(VALU_DEP_4)
	v_cndmask_b32_e32 v7, 0x7ff00000, v9, vcc_lo
	v_cndmask_b32_e32 v6, 0, v8, vcc_lo
	v_cmp_class_f64_e64 vcc_lo, v[12:13], 0x260
	v_fma_f64 v[22:23], -v[18:19], v[18:19], v[12:13]
	s_delay_alu instid0(VALU_DEP_3) | instskip(NEXT) | instid1(VALU_DEP_2)
	v_mul_f64_e32 v[4:5], v[6:7], v[4:5]
	v_fmac_f64_e32 v[18:19], v[22:23], v[16:17]
	s_delay_alu instid0(VALU_DEP_1) | instskip(NEXT) | instid1(VALU_DEP_1)
	v_fma_f64 v[14:15], -v[18:19], v[18:19], v[12:13]
	v_fmac_f64_e32 v[18:19], v[14:15], v[16:17]
	s_delay_alu instid0(VALU_DEP_1) | instskip(NEXT) | instid1(VALU_DEP_1)
	v_ldexp_f64 v[8:9], v[18:19], v1
	v_dual_cndmask_b32 v7, v9, v13 :: v_dual_cndmask_b32 v6, v8, v12
	s_delay_alu instid0(VALU_DEP_1) | instskip(NEXT) | instid1(VALU_DEP_1)
	v_div_scale_f64 v[8:9], null, v[6:7], v[6:7], v[4:5]
	v_rcp_f64_e32 v[10:11], v[8:9]
	v_nop
	s_delay_alu instid0(TRANS32_DEP_1) | instskip(NEXT) | instid1(VALU_DEP_1)
	v_fma_f64 v[12:13], -v[8:9], v[10:11], 1.0
	v_fmac_f64_e32 v[10:11], v[10:11], v[12:13]
	s_delay_alu instid0(VALU_DEP_1) | instskip(NEXT) | instid1(VALU_DEP_1)
	v_fma_f64 v[12:13], -v[8:9], v[10:11], 1.0
	v_fmac_f64_e32 v[10:11], v[10:11], v[12:13]
	v_div_scale_f64 v[12:13], vcc_lo, v[4:5], v[6:7], v[4:5]
	s_delay_alu instid0(VALU_DEP_1) | instskip(NEXT) | instid1(VALU_DEP_1)
	v_mul_f64_e32 v[14:15], v[12:13], v[10:11]
	v_fma_f64 v[8:9], -v[8:9], v[14:15], v[12:13]
	s_delay_alu instid0(VALU_DEP_1) | instskip(NEXT) | instid1(VALU_DEP_1)
	v_div_fmas_f64 v[8:9], v[8:9], v[10:11], v[14:15]
	v_div_fixup_f64 v[6:7], v[8:9], v[6:7], v[4:5]
.LBB7_122:
	s_or_b32 exec_lo, exec_lo, s14
	v_add_nc_u32_e32 v0, 0x80, v0
	global_store_b64 v2, v[6:7], s[0:1]
	s_wait_xcnt 0x0
	s_or_b32 exec_lo, exec_lo, s5
	s_delay_alu instid0(SALU_CYCLE_1)
	s_mov_b32 s5, exec_lo
	v_cmpx_gt_i32_e64 s34, v0
	s_cbranch_execnz .LBB7_104
.LBB7_123:
	s_or_b32 exec_lo, exec_lo, s5
	s_delay_alu instid0(SALU_CYCLE_1)
	s_mov_b32 s5, exec_lo
	v_cmpx_gt_i32_e64 s34, v0
	s_cbranch_execnz .LBB7_138
.LBB7_124:
	s_or_b32 exec_lo, exec_lo, s5
                                        ; implicit-def: $vgpr8
                                        ; implicit-def: $vgpr0
	s_and_not1_saveexec_b32 s0, s31
	s_cbranch_execnz .LBB7_8
.LBB7_125:
	s_endpgm
.LBB7_126:
	v_mov_b64_e32 v[2:3], 0
	v_mov_b32_e32 v1, v0
	s_mov_b32 s22, 0
.LBB7_127:
	s_and_b32 s14, s14, 3
	s_mov_b32 s23, 0
	s_cmp_eq_u32 s14, 0
	s_cbranch_scc1 .LBB7_130
; %bb.128:
	s_lshl_b32 s24, s22, 3
	s_mov_b32 s25, s23
	s_mul_u64 s[26:27], s[22:23], 12
	s_add_nc_u64 s[24:25], s[12:13], s[24:25]
	s_delay_alu instid0(SALU_CYCLE_1)
	s_add_nc_u64 s[22:23], s[24:25], 0xc4
	s_add_nc_u64 s[24:25], s[12:13], s[26:27]
.LBB7_129:                              ; =>This Inner Loop Header: Depth=1
	s_load_b96 s[40:42], s[24:25], 0x4
	s_load_b64 s[26:27], s[22:23], 0x0
	s_add_co_i32 s14, s14, -1
	s_wait_xcnt 0x0
	s_add_nc_u64 s[24:25], s[24:25], 12
	s_cmp_lg_u32 s14, 0
	s_add_nc_u64 s[22:23], s[22:23], 8
	s_wait_kmcnt 0x0
	v_mul_hi_u32 v4, s41, v1
	s_delay_alu instid0(VALU_DEP_1) | instskip(NEXT) | instid1(VALU_DEP_1)
	v_add_nc_u32_e32 v4, v1, v4
	v_lshrrev_b32_e32 v4, s42, v4
	s_delay_alu instid0(VALU_DEP_1) | instskip(NEXT) | instid1(VALU_DEP_1)
	v_mul_lo_u32 v5, v4, s40
	v_sub_nc_u32_e32 v1, v1, v5
	s_delay_alu instid0(VALU_DEP_1)
	v_mad_u32 v3, v1, s27, v3
	v_mad_u32 v2, v1, s26, v2
	v_mov_b32_e32 v1, v4
	s_cbranch_scc1 .LBB7_129
.LBB7_130:
	s_cbranch_execnz .LBB7_133
.LBB7_131:
	v_mov_b32_e32 v1, 0
	s_and_not1_b32 vcc_lo, exec_lo, s33
	s_delay_alu instid0(VALU_DEP_1) | instskip(NEXT) | instid1(VALU_DEP_1)
	v_mul_u64_e32 v[2:3], s[16:17], v[0:1]
	v_add_nc_u32_e32 v2, v0, v3
	s_delay_alu instid0(VALU_DEP_1) | instskip(NEXT) | instid1(VALU_DEP_1)
	v_lshrrev_b32_e32 v4, s6, v2
	v_mul_lo_u32 v2, v4, s4
	s_delay_alu instid0(VALU_DEP_1) | instskip(NEXT) | instid1(VALU_DEP_1)
	v_sub_nc_u32_e32 v2, v0, v2
	v_mul_lo_u32 v3, v2, s9
	v_mul_lo_u32 v2, v2, s8
	s_cbranch_vccnz .LBB7_133
; %bb.132:
	v_mov_b32_e32 v5, v1
	s_delay_alu instid0(VALU_DEP_1) | instskip(NEXT) | instid1(VALU_DEP_1)
	v_mul_u64_e32 v[6:7], s[18:19], v[4:5]
	v_add_nc_u32_e32 v1, v4, v7
	s_delay_alu instid0(VALU_DEP_1) | instskip(NEXT) | instid1(VALU_DEP_1)
	v_lshrrev_b32_e32 v1, s15, v1
	v_mul_lo_u32 v1, v1, s7
	s_delay_alu instid0(VALU_DEP_1) | instskip(NEXT) | instid1(VALU_DEP_1)
	v_sub_nc_u32_e32 v1, v4, v1
	v_mad_u32 v2, v1, s10, v2
	v_mad_u32 v3, v1, s11, v3
.LBB7_133:
	global_load_b64 v[4:5], v3, s[2:3]
                                        ; implicit-def: $vgpr6_vgpr7
	s_wait_loadcnt 0x0
	v_cmp_ge_f64_e64 s14, 0x40200000, |v[4:5]|
	s_wait_xcnt 0x0
	s_and_saveexec_b32 s22, s14
	s_delay_alu instid0(SALU_CYCLE_1)
	s_xor_b32 s14, exec_lo, s22
	s_cbranch_execz .LBB7_135
; %bb.134:
	v_fma_f64 v[6:7], |v[4:5]|, 0.5, -2.0
	s_mov_b64 s[22:23], 0xbc545cb72134d0ef
	s_delay_alu instid0(VALU_DEP_1) | instid1(SALU_CYCLE_1)
	v_fmaak_f64 v[8:9], s[22:23], v[6:7], 0x3c833362977da589
	s_mov_b64 s[22:23], 0x3ff71547652b82fe
	s_delay_alu instid0(SALU_CYCLE_1) | instskip(SKIP_1) | instid1(VALU_DEP_2)
	v_mul_f64_e64 v[12:13], |v[4:5]|, s[22:23]
	s_mov_b64 s[22:23], 0xbfe62e42fefa39ef
	v_fmaak_f64 v[10:11], v[6:7], v[8:9], 0x3c545cb72134d0ef
	s_delay_alu instid0(VALU_DEP_1) | instskip(NEXT) | instid1(VALU_DEP_3)
	v_add_f64_e32 v[10:11], 0xbcb184eb721ebbb4, v[10:11]
	v_rndne_f64_e32 v[12:13], v[12:13]
	s_delay_alu instid0(VALU_DEP_2) | instskip(NEXT) | instid1(VALU_DEP_2)
	v_fma_f64 v[8:9], v[6:7], v[10:11], -v[8:9]
	v_fma_f64 v[4:5], v[12:13], s[22:23], |v[4:5]|
	s_mov_b64 s[22:23], 0x3e5ade156a5dcb37
	v_cvt_i32_f64_e32 v1, v[12:13]
	s_delay_alu instid0(VALU_DEP_3) | instskip(NEXT) | instid1(VALU_DEP_3)
	v_add_f64_e32 v[8:9], 0x3cdee6d893f65eba, v[8:9]
	v_fmamk_f64 v[4:5], v[12:13], 0xbc7abc9e3b39803f, v[4:5]
	s_delay_alu instid0(VALU_DEP_1) | instskip(NEXT) | instid1(VALU_DEP_3)
	v_fmaak_f64 v[14:15], s[22:23], v[4:5], 0x3e928af3fca7ab0c
	v_fma_f64 v[10:11], v[6:7], v[8:9], -v[10:11]
	s_delay_alu instid0(VALU_DEP_2) | instskip(NEXT) | instid1(VALU_DEP_1)
	v_fmaak_f64 v[14:15], v[4:5], v[14:15], 0x3ec71dee623fde64
	v_fmaak_f64 v[14:15], v[4:5], v[14:15], 0x3efa01997c89e6b0
	s_delay_alu instid0(VALU_DEP_1) | instskip(NEXT) | instid1(VALU_DEP_1)
	v_fmaak_f64 v[14:15], v[4:5], v[14:15], 0x3f2a01a014761f6e
	v_fmaak_f64 v[14:15], v[4:5], v[14:15], 0x3f56c16c1852b7b0
	v_add_f64_e32 v[10:11], 0xbd0a5022c297fbeb, v[10:11]
	s_delay_alu instid0(VALU_DEP_1) | instskip(NEXT) | instid1(VALU_DEP_1)
	v_fma_f64 v[8:9], v[6:7], v[10:11], -v[8:9]
	v_add_f64_e32 v[8:9], 0x3d359b464b262627, v[8:9]
	s_delay_alu instid0(VALU_DEP_1) | instskip(NEXT) | instid1(VALU_DEP_1)
	v_fma_f64 v[10:11], v[6:7], v[8:9], -v[10:11]
	;; [unrolled: 3-line block ×24, first 2 shown]
	v_add_f64_e32 v[10:11], 0xbfd37febc057cd8d, v[10:11]
	s_delay_alu instid0(VALU_DEP_1) | instskip(SKIP_1) | instid1(VALU_DEP_1)
	v_fma_f64 v[6:7], v[6:7], v[10:11], -v[8:9]
	v_fmaak_f64 v[10:11], v[4:5], v[14:15], 0x3f81111111122322
	v_fmaak_f64 v[10:11], v[4:5], v[10:11], 0x3fa55555555502a1
	s_delay_alu instid0(VALU_DEP_1) | instskip(NEXT) | instid1(VALU_DEP_1)
	v_fmaak_f64 v[10:11], v[4:5], v[10:11], 0x3fc5555555555511
	v_fmaak_f64 v[10:11], v[4:5], v[10:11], 0x3fe000000000000b
	s_delay_alu instid0(VALU_DEP_1) | instskip(SKIP_1) | instid1(VALU_DEP_2)
	v_fma_f64 v[10:11], v[4:5], v[10:11], 1.0
	v_add_f64_e32 v[6:7], 0x3fe5a84e9035a22a, v[6:7]
	v_fma_f64 v[4:5], v[4:5], v[10:11], 1.0
	s_delay_alu instid0(VALU_DEP_2) | instskip(NEXT) | instid1(VALU_DEP_2)
	v_add_f64_e64 v[6:7], v[6:7], -v[8:9]
	v_ldexp_f64 v[4:5], v[4:5], v1
	s_delay_alu instid0(VALU_DEP_2) | instskip(NEXT) | instid1(VALU_DEP_1)
	v_mul_f64_e32 v[6:7], 0.5, v[6:7]
	v_mul_f64_e32 v[6:7], v[4:5], v[6:7]
                                        ; implicit-def: $vgpr4_vgpr5
.LBB7_135:
	s_and_not1_saveexec_b32 s14, s14
	s_cbranch_execz .LBB7_137
; %bb.136:
	v_and_b32_e32 v7, 0x7fffffff, v5
	v_mov_b32_e32 v6, v4
	s_mov_b64 s[22:23], 0xbc60adb754ca8b19
	v_cmp_gt_f64_e64 s24, 0x10000000, |v[4:5]|
	s_delay_alu instid0(VALU_DEP_2) | instskip(SKIP_1) | instid1(VALU_DEP_3)
	v_div_scale_f64 v[8:9], null, v[6:7], v[6:7], 0x40400000
	v_div_scale_f64 v[6:7], vcc_lo, 0x40400000, v[6:7], 0x40400000
	v_cndmask_b32_e64 v1, 0, 0x100, s24
	s_delay_alu instid0(VALU_DEP_3) | instskip(SKIP_1) | instid1(TRANS32_DEP_1)
	v_rcp_f64_e32 v[10:11], v[8:9]
	v_nop
	v_fma_f64 v[12:13], -v[8:9], v[10:11], 1.0
	s_delay_alu instid0(VALU_DEP_1) | instskip(NEXT) | instid1(VALU_DEP_1)
	v_fmac_f64_e32 v[10:11], v[10:11], v[12:13]
	v_fma_f64 v[12:13], -v[8:9], v[10:11], 1.0
	s_delay_alu instid0(VALU_DEP_1) | instskip(NEXT) | instid1(VALU_DEP_1)
	v_fmac_f64_e32 v[10:11], v[10:11], v[12:13]
	v_mul_f64_e32 v[12:13], v[6:7], v[10:11]
	s_delay_alu instid0(VALU_DEP_1) | instskip(NEXT) | instid1(VALU_DEP_1)
	v_fma_f64 v[6:7], -v[8:9], v[12:13], v[6:7]
	v_div_fmas_f64 v[6:7], v[6:7], v[10:11], v[12:13]
	v_ldexp_f64 v[12:13], |v[4:5]|, v1
	v_cmp_nlt_f64_e64 vcc_lo, 0x40900000, |v[4:5]|
	s_delay_alu instid0(VALU_DEP_3) | instskip(NEXT) | instid1(VALU_DEP_3)
	v_div_fixup_f64 v[6:7], v[6:7], |v[4:5]|, 0x40400000
	v_rsq_f64_e32 v[16:17], v[12:13]
	s_delay_alu instid0(VALU_DEP_1) | instskip(NEXT) | instid1(TRANS32_DEP_1)
	v_add_f64_e32 v[6:7], -2.0, v[6:7]
	v_mul_f64_e32 v[18:19], v[12:13], v[16:17]
	v_mul_f64_e32 v[16:17], 0.5, v[16:17]
	s_delay_alu instid0(VALU_DEP_3) | instskip(SKIP_1) | instid1(SALU_CYCLE_1)
	v_fmaak_f64 v[8:9], s[22:23], v[6:7], 0xbc5646da66119130
	s_mov_b64 s[22:23], 0x3ff71547652b82fe
	v_mul_f64_e64 v[14:15], |v[4:5]|, s[22:23]
	s_mov_b64 s[22:23], 0xbfe62e42fefa39ef
	s_delay_alu instid0(VALU_DEP_2) | instskip(NEXT) | instid1(VALU_DEP_4)
	v_fmaak_f64 v[10:11], v[6:7], v[8:9], 0x3c60adb754ca8b19
	v_fma_f64 v[22:23], -v[16:17], v[18:19], 0.5
	s_delay_alu instid0(VALU_DEP_2) | instskip(NEXT) | instid1(VALU_DEP_4)
	v_add_f64_e32 v[10:11], 0x3c89be1812d98421, v[10:11]
	v_rndne_f64_e32 v[14:15], v[14:15]
	s_delay_alu instid0(VALU_DEP_3) | instskip(SKIP_1) | instid1(VALU_DEP_4)
	v_fmac_f64_e32 v[18:19], v[18:19], v[22:23]
	v_fmac_f64_e32 v[16:17], v[16:17], v[22:23]
	v_fma_f64 v[8:9], v[6:7], v[10:11], -v[8:9]
	s_delay_alu instid0(VALU_DEP_4) | instskip(SKIP_2) | instid1(VALU_DEP_3)
	v_fma_f64 v[20:21], v[14:15], s[22:23], |v[4:5]|
	s_mov_b64 s[22:23], 0x3e5ade156a5dcb37
	v_cvt_i32_f64_e32 v1, v[14:15]
	v_add_f64_e32 v[8:9], 0x3c83f3dd076041cd, v[8:9]
	s_delay_alu instid0(VALU_DEP_3) | instskip(NEXT) | instid1(VALU_DEP_1)
	v_fmamk_f64 v[20:21], v[14:15], 0xbc7abc9e3b39803f, v[20:21]
	v_fmaak_f64 v[24:25], s[22:23], v[20:21], 0x3e928af3fca7ab0c
	s_delay_alu instid0(VALU_DEP_3) | instskip(NEXT) | instid1(VALU_DEP_2)
	v_fma_f64 v[10:11], v[6:7], v[8:9], -v[10:11]
	v_fmaak_f64 v[24:25], v[20:21], v[24:25], 0x3ec71dee623fde64
	s_delay_alu instid0(VALU_DEP_1) | instskip(NEXT) | instid1(VALU_DEP_1)
	v_fmaak_f64 v[24:25], v[20:21], v[24:25], 0x3efa01997c89e6b0
	v_fmaak_f64 v[24:25], v[20:21], v[24:25], 0x3f2a01a014761f6e
	s_delay_alu instid0(VALU_DEP_1) | instskip(NEXT) | instid1(VALU_DEP_1)
	v_fmaak_f64 v[24:25], v[20:21], v[24:25], 0x3f56c16c1852b7b0
	v_fmaak_f64 v[24:25], v[20:21], v[24:25], 0x3f81111111122322
	v_add_f64_e32 v[10:11], 0xbcb4600babd21fe4, v[10:11]
	s_delay_alu instid0(VALU_DEP_1) | instskip(NEXT) | instid1(VALU_DEP_1)
	v_fma_f64 v[8:9], v[6:7], v[10:11], -v[8:9]
	v_add_f64_e32 v[8:9], 0xbcb8aee7d908de38, v[8:9]
	s_delay_alu instid0(VALU_DEP_1) | instskip(NEXT) | instid1(VALU_DEP_1)
	v_fma_f64 v[10:11], v[6:7], v[8:9], -v[10:11]
	;; [unrolled: 3-line block ×19, first 2 shown]
	v_add_f64_e32 v[8:9], 0x3f6b998ca2e59049, v[8:9]
	s_delay_alu instid0(VALU_DEP_1) | instskip(SKIP_1) | instid1(VALU_DEP_1)
	v_fma_f64 v[6:7], v[6:7], v[8:9], -v[10:11]
	v_fmaak_f64 v[8:9], v[20:21], v[24:25], 0x3fa55555555502a1
	v_fmaak_f64 v[8:9], v[20:21], v[8:9], 0x3fc5555555555511
	s_delay_alu instid0(VALU_DEP_1) | instskip(NEXT) | instid1(VALU_DEP_1)
	v_fmaak_f64 v[8:9], v[20:21], v[8:9], 0x3fe000000000000b
	v_fma_f64 v[8:9], v[20:21], v[8:9], 1.0
	v_add_f64_e32 v[6:7], 0x3fe9be62aca809cb, v[6:7]
	s_delay_alu instid0(VALU_DEP_2) | instskip(NEXT) | instid1(VALU_DEP_2)
	v_fma_f64 v[8:9], v[20:21], v[8:9], 1.0
	v_add_f64_e64 v[6:7], v[6:7], -v[10:11]
	s_delay_alu instid0(VALU_DEP_2) | instskip(SKIP_1) | instid1(VALU_DEP_3)
	v_ldexp_f64 v[8:9], v[8:9], v1
	v_cndmask_b32_e64 v1, 0, 0xffffff80, s24
	v_mul_f64_e32 v[4:5], 0.5, v[6:7]
	s_delay_alu instid0(VALU_DEP_3) | instskip(NEXT) | instid1(VALU_DEP_4)
	v_cndmask_b32_e32 v7, 0x7ff00000, v9, vcc_lo
	v_cndmask_b32_e32 v6, 0, v8, vcc_lo
	v_cmp_class_f64_e64 vcc_lo, v[12:13], 0x260
	v_fma_f64 v[22:23], -v[18:19], v[18:19], v[12:13]
	s_delay_alu instid0(VALU_DEP_3) | instskip(NEXT) | instid1(VALU_DEP_2)
	v_mul_f64_e32 v[4:5], v[6:7], v[4:5]
	v_fmac_f64_e32 v[18:19], v[22:23], v[16:17]
	s_delay_alu instid0(VALU_DEP_1) | instskip(NEXT) | instid1(VALU_DEP_1)
	v_fma_f64 v[14:15], -v[18:19], v[18:19], v[12:13]
	v_fmac_f64_e32 v[18:19], v[14:15], v[16:17]
	s_delay_alu instid0(VALU_DEP_1) | instskip(NEXT) | instid1(VALU_DEP_1)
	v_ldexp_f64 v[8:9], v[18:19], v1
	v_dual_cndmask_b32 v7, v9, v13 :: v_dual_cndmask_b32 v6, v8, v12
	s_delay_alu instid0(VALU_DEP_1) | instskip(NEXT) | instid1(VALU_DEP_1)
	v_div_scale_f64 v[8:9], null, v[6:7], v[6:7], v[4:5]
	v_rcp_f64_e32 v[10:11], v[8:9]
	v_nop
	s_delay_alu instid0(TRANS32_DEP_1) | instskip(NEXT) | instid1(VALU_DEP_1)
	v_fma_f64 v[12:13], -v[8:9], v[10:11], 1.0
	v_fmac_f64_e32 v[10:11], v[10:11], v[12:13]
	s_delay_alu instid0(VALU_DEP_1) | instskip(NEXT) | instid1(VALU_DEP_1)
	v_fma_f64 v[12:13], -v[8:9], v[10:11], 1.0
	v_fmac_f64_e32 v[10:11], v[10:11], v[12:13]
	v_div_scale_f64 v[12:13], vcc_lo, v[4:5], v[6:7], v[4:5]
	s_delay_alu instid0(VALU_DEP_1) | instskip(NEXT) | instid1(VALU_DEP_1)
	v_mul_f64_e32 v[14:15], v[12:13], v[10:11]
	v_fma_f64 v[8:9], -v[8:9], v[14:15], v[12:13]
	s_delay_alu instid0(VALU_DEP_1) | instskip(NEXT) | instid1(VALU_DEP_1)
	v_div_fmas_f64 v[8:9], v[8:9], v[10:11], v[14:15]
	v_div_fixup_f64 v[6:7], v[8:9], v[6:7], v[4:5]
.LBB7_137:
	s_or_b32 exec_lo, exec_lo, s14
	v_add_nc_u32_e32 v0, 0x80, v0
	global_store_b64 v2, v[6:7], s[0:1]
	s_wait_xcnt 0x0
	s_or_b32 exec_lo, exec_lo, s5
	s_delay_alu instid0(SALU_CYCLE_1)
	s_mov_b32 s5, exec_lo
	v_cmpx_gt_i32_e64 s34, v0
	s_cbranch_execz .LBB7_124
.LBB7_138:
	s_and_not1_b32 vcc_lo, exec_lo, s30
	s_cbranch_vccnz .LBB7_143
; %bb.139:
	s_and_not1_b32 vcc_lo, exec_lo, s36
	s_cbranch_vccnz .LBB7_144
; %bb.140:
	s_add_co_i32 s35, s35, 1
	s_cmp_eq_u32 s29, 2
	s_cbranch_scc1 .LBB7_145
; %bb.141:
	v_dual_mov_b32 v2, 0 :: v_dual_mov_b32 v3, 0
	v_mov_b32_e32 v1, v0
	s_and_b32 s22, s35, 28
	s_mov_b32 s14, 0
	s_mov_b64 s[24:25], s[12:13]
.LBB7_142:                              ; =>This Inner Loop Header: Depth=1
	s_clause 0x1
	s_load_b256 s[36:43], s[24:25], 0x4
	s_load_b128 s[52:55], s[24:25], 0x24
	s_load_b256 s[44:51], s[20:21], 0x0
	s_add_co_i32 s14, s14, 4
	s_wait_xcnt 0x0
	s_add_nc_u64 s[24:25], s[24:25], 48
	s_cmp_eq_u32 s22, s14
	s_add_nc_u64 s[20:21], s[20:21], 32
	s_wait_kmcnt 0x0
	v_mul_hi_u32 v4, s37, v1
	s_delay_alu instid0(VALU_DEP_1) | instskip(NEXT) | instid1(VALU_DEP_1)
	v_add_nc_u32_e32 v4, v1, v4
	v_lshrrev_b32_e32 v4, s38, v4
	s_delay_alu instid0(VALU_DEP_1) | instskip(NEXT) | instid1(VALU_DEP_1)
	v_mul_hi_u32 v5, s40, v4
	v_add_nc_u32_e32 v5, v4, v5
	s_delay_alu instid0(VALU_DEP_1) | instskip(NEXT) | instid1(VALU_DEP_1)
	v_lshrrev_b32_e32 v5, s41, v5
	v_mul_hi_u32 v6, s43, v5
	s_delay_alu instid0(VALU_DEP_1) | instskip(SKIP_1) | instid1(VALU_DEP_1)
	v_add_nc_u32_e32 v6, v5, v6
	v_mul_lo_u32 v7, v4, s36
	v_sub_nc_u32_e32 v1, v1, v7
	v_mul_lo_u32 v7, v5, s39
	s_delay_alu instid0(VALU_DEP_4) | instskip(NEXT) | instid1(VALU_DEP_3)
	v_lshrrev_b32_e32 v6, s52, v6
	v_mad_u32 v3, v1, s45, v3
	v_mad_u32 v1, v1, s44, v2
	s_delay_alu instid0(VALU_DEP_4) | instskip(NEXT) | instid1(VALU_DEP_4)
	v_sub_nc_u32_e32 v2, v4, v7
	v_mul_hi_u32 v8, s54, v6
	v_mul_lo_u32 v4, v6, s42
	s_delay_alu instid0(VALU_DEP_3) | instskip(SKIP_1) | instid1(VALU_DEP_4)
	v_mad_u32 v3, v2, s47, v3
	v_mad_u32 v2, v2, s46, v1
	v_add_nc_u32_e32 v7, v6, v8
	s_delay_alu instid0(VALU_DEP_1) | instskip(NEXT) | instid1(VALU_DEP_1)
	v_dual_sub_nc_u32 v4, v5, v4 :: v_dual_lshrrev_b32 v1, s55, v7
	v_mad_u32 v3, v4, s49, v3
	s_delay_alu instid0(VALU_DEP_4) | instskip(NEXT) | instid1(VALU_DEP_3)
	v_mad_u32 v2, v4, s48, v2
	v_mul_lo_u32 v5, v1, s53
	s_delay_alu instid0(VALU_DEP_1) | instskip(NEXT) | instid1(VALU_DEP_1)
	v_sub_nc_u32_e32 v4, v6, v5
	v_mad_u32 v3, v4, s51, v3
	s_delay_alu instid0(VALU_DEP_4)
	v_mad_u32 v2, v4, s50, v2
	s_cbranch_scc0 .LBB7_142
	s_branch .LBB7_146
.LBB7_143:
                                        ; implicit-def: $vgpr3
	s_branch .LBB7_150
.LBB7_144:
	v_dual_mov_b32 v3, 0 :: v_dual_mov_b32 v2, 0
	s_branch .LBB7_149
.LBB7_145:
	v_mov_b64_e32 v[2:3], 0
	v_mov_b32_e32 v1, v0
	s_mov_b32 s22, 0
.LBB7_146:
	s_and_b32 s14, s35, 3
	s_mov_b32 s23, 0
	s_cmp_eq_u32 s14, 0
	s_cbranch_scc1 .LBB7_149
; %bb.147:
	s_lshl_b32 s20, s22, 3
	s_mov_b32 s21, s23
	s_mul_u64 s[22:23], s[22:23], 12
	s_add_nc_u64 s[20:21], s[12:13], s[20:21]
	s_add_nc_u64 s[22:23], s[12:13], s[22:23]
	;; [unrolled: 1-line block ×3, first 2 shown]
.LBB7_148:                              ; =>This Inner Loop Header: Depth=1
	s_load_b96 s[24:26], s[22:23], 0x4
	s_add_co_i32 s14, s14, -1
	s_wait_xcnt 0x0
	s_add_nc_u64 s[22:23], s[22:23], 12
	s_cmp_lg_u32 s14, 0
	s_wait_kmcnt 0x0
	v_mul_hi_u32 v4, s25, v1
	s_delay_alu instid0(VALU_DEP_1) | instskip(NEXT) | instid1(VALU_DEP_1)
	v_add_nc_u32_e32 v4, v1, v4
	v_lshrrev_b32_e32 v4, s26, v4
	s_load_b64 s[26:27], s[20:21], 0x0
	s_wait_xcnt 0x0
	s_add_nc_u64 s[20:21], s[20:21], 8
	s_delay_alu instid0(VALU_DEP_1) | instskip(NEXT) | instid1(VALU_DEP_1)
	v_mul_lo_u32 v5, v4, s24
	v_sub_nc_u32_e32 v1, v1, v5
	s_wait_kmcnt 0x0
	s_delay_alu instid0(VALU_DEP_1)
	v_mad_u32 v3, v1, s27, v3
	v_mad_u32 v2, v1, s26, v2
	v_mov_b32_e32 v1, v4
	s_cbranch_scc1 .LBB7_148
.LBB7_149:
	s_cbranch_execnz .LBB7_152
.LBB7_150:
	v_mov_b32_e32 v1, 0
	s_and_not1_b32 vcc_lo, exec_lo, s33
	s_delay_alu instid0(VALU_DEP_1) | instskip(NEXT) | instid1(VALU_DEP_1)
	v_mul_u64_e32 v[2:3], s[16:17], v[0:1]
	v_add_nc_u32_e32 v2, v0, v3
	s_delay_alu instid0(VALU_DEP_1) | instskip(NEXT) | instid1(VALU_DEP_1)
	v_lshrrev_b32_e32 v4, s6, v2
	v_mul_lo_u32 v2, v4, s4
	s_delay_alu instid0(VALU_DEP_1) | instskip(NEXT) | instid1(VALU_DEP_1)
	v_sub_nc_u32_e32 v0, v0, v2
	v_mul_lo_u32 v3, v0, s9
	v_mul_lo_u32 v2, v0, s8
	s_cbranch_vccnz .LBB7_152
; %bb.151:
	v_mov_b32_e32 v5, v1
	s_delay_alu instid0(VALU_DEP_1) | instskip(NEXT) | instid1(VALU_DEP_1)
	v_mul_u64_e32 v[0:1], s[18:19], v[4:5]
	v_add_nc_u32_e32 v0, v4, v1
	s_delay_alu instid0(VALU_DEP_1) | instskip(NEXT) | instid1(VALU_DEP_1)
	v_lshrrev_b32_e32 v0, s15, v0
	v_mul_lo_u32 v0, v0, s7
	s_delay_alu instid0(VALU_DEP_1) | instskip(NEXT) | instid1(VALU_DEP_1)
	v_sub_nc_u32_e32 v0, v4, v0
	v_mad_u32 v2, v0, s10, v2
	v_mad_u32 v3, v0, s11, v3
.LBB7_152:
	global_load_b64 v[0:1], v3, s[2:3]
                                        ; implicit-def: $vgpr4_vgpr5
	s_wait_loadcnt 0x0
	v_cmp_ge_f64_e64 s2, 0x40200000, |v[0:1]|
	s_and_saveexec_b32 s3, s2
	s_delay_alu instid0(SALU_CYCLE_1)
	s_xor_b32 s2, exec_lo, s3
	s_cbranch_execz .LBB7_154
; %bb.153:
	v_fma_f64 v[4:5], |v[0:1]|, 0.5, -2.0
	s_mov_b64 s[6:7], 0xbc545cb72134d0ef
	s_delay_alu instid0(VALU_DEP_1) | instid1(SALU_CYCLE_1)
	v_fmaak_f64 v[6:7], s[6:7], v[4:5], 0x3c833362977da589
	s_mov_b64 s[6:7], 0x3ff71547652b82fe
	s_delay_alu instid0(SALU_CYCLE_1) | instskip(SKIP_1) | instid1(VALU_DEP_2)
	v_mul_f64_e64 v[10:11], |v[0:1]|, s[6:7]
	s_mov_b64 s[6:7], 0xbfe62e42fefa39ef
	v_fmaak_f64 v[8:9], v[4:5], v[6:7], 0x3c545cb72134d0ef
	s_delay_alu instid0(VALU_DEP_1) | instskip(NEXT) | instid1(VALU_DEP_3)
	v_add_f64_e32 v[8:9], 0xbcb184eb721ebbb4, v[8:9]
	v_rndne_f64_e32 v[10:11], v[10:11]
	s_delay_alu instid0(VALU_DEP_2) | instskip(NEXT) | instid1(VALU_DEP_2)
	v_fma_f64 v[6:7], v[4:5], v[8:9], -v[6:7]
	v_fma_f64 v[0:1], v[10:11], s[6:7], |v[0:1]|
	s_mov_b64 s[6:7], 0x3e5ade156a5dcb37
	v_cvt_i32_f64_e32 v3, v[10:11]
	s_delay_alu instid0(VALU_DEP_3) | instskip(NEXT) | instid1(VALU_DEP_3)
	v_add_f64_e32 v[6:7], 0x3cdee6d893f65eba, v[6:7]
	v_fmamk_f64 v[0:1], v[10:11], 0xbc7abc9e3b39803f, v[0:1]
	s_delay_alu instid0(VALU_DEP_1) | instskip(NEXT) | instid1(VALU_DEP_3)
	v_fmaak_f64 v[12:13], s[6:7], v[0:1], 0x3e928af3fca7ab0c
	v_fma_f64 v[8:9], v[4:5], v[6:7], -v[8:9]
	s_delay_alu instid0(VALU_DEP_2) | instskip(NEXT) | instid1(VALU_DEP_1)
	v_fmaak_f64 v[12:13], v[0:1], v[12:13], 0x3ec71dee623fde64
	v_fmaak_f64 v[12:13], v[0:1], v[12:13], 0x3efa01997c89e6b0
	s_delay_alu instid0(VALU_DEP_1) | instskip(NEXT) | instid1(VALU_DEP_1)
	v_fmaak_f64 v[12:13], v[0:1], v[12:13], 0x3f2a01a014761f6e
	v_fmaak_f64 v[12:13], v[0:1], v[12:13], 0x3f56c16c1852b7b0
	v_add_f64_e32 v[8:9], 0xbd0a5022c297fbeb, v[8:9]
	s_delay_alu instid0(VALU_DEP_1) | instskip(NEXT) | instid1(VALU_DEP_1)
	v_fma_f64 v[6:7], v[4:5], v[8:9], -v[6:7]
	v_add_f64_e32 v[6:7], 0x3d359b464b262627, v[6:7]
	s_delay_alu instid0(VALU_DEP_1) | instskip(NEXT) | instid1(VALU_DEP_1)
	v_fma_f64 v[8:9], v[4:5], v[6:7], -v[8:9]
	;; [unrolled: 3-line block ×24, first 2 shown]
	v_add_f64_e32 v[8:9], 0xbfd37febc057cd8d, v[8:9]
	s_delay_alu instid0(VALU_DEP_1) | instskip(SKIP_1) | instid1(VALU_DEP_1)
	v_fma_f64 v[4:5], v[4:5], v[8:9], -v[6:7]
	v_fmaak_f64 v[8:9], v[0:1], v[12:13], 0x3f81111111122322
	v_fmaak_f64 v[8:9], v[0:1], v[8:9], 0x3fa55555555502a1
	s_delay_alu instid0(VALU_DEP_1) | instskip(NEXT) | instid1(VALU_DEP_1)
	v_fmaak_f64 v[8:9], v[0:1], v[8:9], 0x3fc5555555555511
	v_fmaak_f64 v[8:9], v[0:1], v[8:9], 0x3fe000000000000b
	s_delay_alu instid0(VALU_DEP_1) | instskip(SKIP_1) | instid1(VALU_DEP_2)
	v_fma_f64 v[8:9], v[0:1], v[8:9], 1.0
	v_add_f64_e32 v[4:5], 0x3fe5a84e9035a22a, v[4:5]
	v_fma_f64 v[0:1], v[0:1], v[8:9], 1.0
	s_delay_alu instid0(VALU_DEP_2) | instskip(NEXT) | instid1(VALU_DEP_2)
	v_add_f64_e64 v[4:5], v[4:5], -v[6:7]
	v_ldexp_f64 v[0:1], v[0:1], v3
	s_delay_alu instid0(VALU_DEP_2) | instskip(NEXT) | instid1(VALU_DEP_1)
	v_mul_f64_e32 v[4:5], 0.5, v[4:5]
	v_mul_f64_e32 v[4:5], v[0:1], v[4:5]
                                        ; implicit-def: $vgpr0_vgpr1
.LBB7_154:
	s_and_not1_saveexec_b32 s2, s2
	s_cbranch_execz .LBB7_156
; %bb.155:
	v_and_b32_e32 v5, 0x7fffffff, v1
	v_mov_b32_e32 v4, v0
	s_mov_b64 s[6:7], 0xbc60adb754ca8b19
	v_cmp_gt_f64_e64 s3, 0x10000000, |v[0:1]|
	s_delay_alu instid0(VALU_DEP_2) | instskip(SKIP_1) | instid1(VALU_DEP_3)
	v_div_scale_f64 v[6:7], null, v[4:5], v[4:5], 0x40400000
	v_div_scale_f64 v[4:5], vcc_lo, 0x40400000, v[4:5], 0x40400000
	v_cndmask_b32_e64 v3, 0, 0x100, s3
	s_delay_alu instid0(VALU_DEP_3) | instskip(SKIP_1) | instid1(TRANS32_DEP_1)
	v_rcp_f64_e32 v[8:9], v[6:7]
	v_nop
	v_fma_f64 v[10:11], -v[6:7], v[8:9], 1.0
	s_delay_alu instid0(VALU_DEP_1) | instskip(NEXT) | instid1(VALU_DEP_1)
	v_fmac_f64_e32 v[8:9], v[8:9], v[10:11]
	v_fma_f64 v[10:11], -v[6:7], v[8:9], 1.0
	s_delay_alu instid0(VALU_DEP_1) | instskip(NEXT) | instid1(VALU_DEP_1)
	v_fmac_f64_e32 v[8:9], v[8:9], v[10:11]
	v_mul_f64_e32 v[10:11], v[4:5], v[8:9]
	s_delay_alu instid0(VALU_DEP_1) | instskip(NEXT) | instid1(VALU_DEP_1)
	v_fma_f64 v[4:5], -v[6:7], v[10:11], v[4:5]
	v_div_fmas_f64 v[4:5], v[4:5], v[8:9], v[10:11]
	v_ldexp_f64 v[10:11], |v[0:1]|, v3
	v_cmp_nlt_f64_e64 vcc_lo, 0x40900000, |v[0:1]|
	s_delay_alu instid0(VALU_DEP_3) | instskip(NEXT) | instid1(VALU_DEP_3)
	v_div_fixup_f64 v[4:5], v[4:5], |v[0:1]|, 0x40400000
	v_rsq_f64_e32 v[14:15], v[10:11]
	s_delay_alu instid0(VALU_DEP_1) | instskip(NEXT) | instid1(TRANS32_DEP_1)
	v_add_f64_e32 v[4:5], -2.0, v[4:5]
	v_mul_f64_e32 v[16:17], v[10:11], v[14:15]
	v_mul_f64_e32 v[14:15], 0.5, v[14:15]
	s_delay_alu instid0(VALU_DEP_3) | instskip(SKIP_1) | instid1(SALU_CYCLE_1)
	v_fmaak_f64 v[6:7], s[6:7], v[4:5], 0xbc5646da66119130
	s_mov_b64 s[6:7], 0x3ff71547652b82fe
	v_mul_f64_e64 v[12:13], |v[0:1]|, s[6:7]
	s_mov_b64 s[6:7], 0xbfe62e42fefa39ef
	s_delay_alu instid0(VALU_DEP_2) | instskip(NEXT) | instid1(VALU_DEP_4)
	v_fmaak_f64 v[8:9], v[4:5], v[6:7], 0x3c60adb754ca8b19
	v_fma_f64 v[20:21], -v[14:15], v[16:17], 0.5
	s_delay_alu instid0(VALU_DEP_2) | instskip(NEXT) | instid1(VALU_DEP_4)
	v_add_f64_e32 v[8:9], 0x3c89be1812d98421, v[8:9]
	v_rndne_f64_e32 v[12:13], v[12:13]
	s_delay_alu instid0(VALU_DEP_3) | instskip(SKIP_1) | instid1(VALU_DEP_4)
	v_fmac_f64_e32 v[16:17], v[16:17], v[20:21]
	v_fmac_f64_e32 v[14:15], v[14:15], v[20:21]
	v_fma_f64 v[6:7], v[4:5], v[8:9], -v[6:7]
	s_delay_alu instid0(VALU_DEP_4) | instskip(SKIP_2) | instid1(VALU_DEP_3)
	v_fma_f64 v[18:19], v[12:13], s[6:7], |v[0:1]|
	s_mov_b64 s[6:7], 0x3e5ade156a5dcb37
	v_cvt_i32_f64_e32 v3, v[12:13]
	v_add_f64_e32 v[6:7], 0x3c83f3dd076041cd, v[6:7]
	s_delay_alu instid0(VALU_DEP_3) | instskip(NEXT) | instid1(VALU_DEP_1)
	v_fmamk_f64 v[18:19], v[12:13], 0xbc7abc9e3b39803f, v[18:19]
	v_fmaak_f64 v[22:23], s[6:7], v[18:19], 0x3e928af3fca7ab0c
	s_delay_alu instid0(VALU_DEP_3) | instskip(NEXT) | instid1(VALU_DEP_2)
	v_fma_f64 v[8:9], v[4:5], v[6:7], -v[8:9]
	v_fmaak_f64 v[22:23], v[18:19], v[22:23], 0x3ec71dee623fde64
	s_delay_alu instid0(VALU_DEP_1) | instskip(NEXT) | instid1(VALU_DEP_1)
	v_fmaak_f64 v[22:23], v[18:19], v[22:23], 0x3efa01997c89e6b0
	v_fmaak_f64 v[22:23], v[18:19], v[22:23], 0x3f2a01a014761f6e
	s_delay_alu instid0(VALU_DEP_1) | instskip(NEXT) | instid1(VALU_DEP_1)
	v_fmaak_f64 v[22:23], v[18:19], v[22:23], 0x3f56c16c1852b7b0
	v_fmaak_f64 v[22:23], v[18:19], v[22:23], 0x3f81111111122322
	v_add_f64_e32 v[8:9], 0xbcb4600babd21fe4, v[8:9]
	s_delay_alu instid0(VALU_DEP_1) | instskip(NEXT) | instid1(VALU_DEP_1)
	v_fma_f64 v[6:7], v[4:5], v[8:9], -v[6:7]
	v_add_f64_e32 v[6:7], 0xbcb8aee7d908de38, v[6:7]
	s_delay_alu instid0(VALU_DEP_1) | instskip(NEXT) | instid1(VALU_DEP_1)
	v_fma_f64 v[8:9], v[4:5], v[6:7], -v[8:9]
	;; [unrolled: 3-line block ×19, first 2 shown]
	v_add_f64_e32 v[6:7], 0x3f6b998ca2e59049, v[6:7]
	s_delay_alu instid0(VALU_DEP_1) | instskip(SKIP_1) | instid1(VALU_DEP_1)
	v_fma_f64 v[4:5], v[4:5], v[6:7], -v[8:9]
	v_fmaak_f64 v[6:7], v[18:19], v[22:23], 0x3fa55555555502a1
	v_fmaak_f64 v[6:7], v[18:19], v[6:7], 0x3fc5555555555511
	s_delay_alu instid0(VALU_DEP_1) | instskip(NEXT) | instid1(VALU_DEP_1)
	v_fmaak_f64 v[6:7], v[18:19], v[6:7], 0x3fe000000000000b
	v_fma_f64 v[6:7], v[18:19], v[6:7], 1.0
	v_add_f64_e32 v[4:5], 0x3fe9be62aca809cb, v[4:5]
	s_delay_alu instid0(VALU_DEP_2) | instskip(NEXT) | instid1(VALU_DEP_2)
	v_fma_f64 v[6:7], v[18:19], v[6:7], 1.0
	v_add_f64_e64 v[4:5], v[4:5], -v[8:9]
	s_delay_alu instid0(VALU_DEP_2) | instskip(SKIP_1) | instid1(VALU_DEP_3)
	v_ldexp_f64 v[6:7], v[6:7], v3
	v_cndmask_b32_e64 v3, 0, 0xffffff80, s3
	v_mul_f64_e32 v[0:1], 0.5, v[4:5]
	s_delay_alu instid0(VALU_DEP_3) | instskip(NEXT) | instid1(VALU_DEP_4)
	v_cndmask_b32_e32 v5, 0x7ff00000, v7, vcc_lo
	v_cndmask_b32_e32 v4, 0, v6, vcc_lo
	v_cmp_class_f64_e64 vcc_lo, v[10:11], 0x260
	v_fma_f64 v[20:21], -v[16:17], v[16:17], v[10:11]
	s_delay_alu instid0(VALU_DEP_3) | instskip(NEXT) | instid1(VALU_DEP_2)
	v_mul_f64_e32 v[0:1], v[4:5], v[0:1]
	v_fmac_f64_e32 v[16:17], v[20:21], v[14:15]
	s_delay_alu instid0(VALU_DEP_1) | instskip(NEXT) | instid1(VALU_DEP_1)
	v_fma_f64 v[12:13], -v[16:17], v[16:17], v[10:11]
	v_fmac_f64_e32 v[16:17], v[12:13], v[14:15]
	s_delay_alu instid0(VALU_DEP_1) | instskip(NEXT) | instid1(VALU_DEP_1)
	v_ldexp_f64 v[6:7], v[16:17], v3
	v_dual_cndmask_b32 v5, v7, v11 :: v_dual_cndmask_b32 v4, v6, v10
	s_delay_alu instid0(VALU_DEP_1) | instskip(NEXT) | instid1(VALU_DEP_1)
	v_div_scale_f64 v[6:7], null, v[4:5], v[4:5], v[0:1]
	v_rcp_f64_e32 v[8:9], v[6:7]
	v_nop
	s_delay_alu instid0(TRANS32_DEP_1) | instskip(NEXT) | instid1(VALU_DEP_1)
	v_fma_f64 v[10:11], -v[6:7], v[8:9], 1.0
	v_fmac_f64_e32 v[8:9], v[8:9], v[10:11]
	s_delay_alu instid0(VALU_DEP_1) | instskip(NEXT) | instid1(VALU_DEP_1)
	v_fma_f64 v[10:11], -v[6:7], v[8:9], 1.0
	v_fmac_f64_e32 v[8:9], v[8:9], v[10:11]
	v_div_scale_f64 v[10:11], vcc_lo, v[0:1], v[4:5], v[0:1]
	s_delay_alu instid0(VALU_DEP_1) | instskip(NEXT) | instid1(VALU_DEP_1)
	v_mul_f64_e32 v[12:13], v[10:11], v[8:9]
	v_fma_f64 v[6:7], -v[6:7], v[12:13], v[10:11]
	s_delay_alu instid0(VALU_DEP_1) | instskip(NEXT) | instid1(VALU_DEP_1)
	v_div_fmas_f64 v[6:7], v[6:7], v[8:9], v[12:13]
	v_div_fixup_f64 v[4:5], v[6:7], v[4:5], v[0:1]
.LBB7_156:
	s_or_b32 exec_lo, exec_lo, s2
	global_store_b64 v2, v[4:5], s[0:1]
	s_wait_xcnt 0x0
	s_or_b32 exec_lo, exec_lo, s5
                                        ; implicit-def: $vgpr8
                                        ; implicit-def: $vgpr0
	s_and_not1_saveexec_b32 s0, s31
	s_cbranch_execz .LBB7_125
	s_branch .LBB7_8
	.section	.rodata,"a",@progbits
	.p2align	6, 0x0
	.amdhsa_kernel _ZN2at6native32elementwise_kernel_manual_unrollILi128ELi4EZNS0_22gpu_kernel_impl_nocastIZZZNS0_12_GLOBAL__N_130modified_bessel_i0_kernel_cudaERNS_18TensorIteratorBaseEENKUlvE_clEvENKUlvE_clEvEUldE_EEvS5_RKT_EUlibE_EEviT1_
		.amdhsa_group_segment_fixed_size 0
		.amdhsa_private_segment_fixed_size 0
		.amdhsa_kernarg_size 360
		.amdhsa_user_sgpr_count 2
		.amdhsa_user_sgpr_dispatch_ptr 0
		.amdhsa_user_sgpr_queue_ptr 0
		.amdhsa_user_sgpr_kernarg_segment_ptr 1
		.amdhsa_user_sgpr_dispatch_id 0
		.amdhsa_user_sgpr_kernarg_preload_length 0
		.amdhsa_user_sgpr_kernarg_preload_offset 0
		.amdhsa_user_sgpr_private_segment_size 0
		.amdhsa_wavefront_size32 1
		.amdhsa_uses_dynamic_stack 0
		.amdhsa_enable_private_segment 0
		.amdhsa_system_sgpr_workgroup_id_x 1
		.amdhsa_system_sgpr_workgroup_id_y 0
		.amdhsa_system_sgpr_workgroup_id_z 0
		.amdhsa_system_sgpr_workgroup_info 0
		.amdhsa_system_vgpr_workitem_id 0
		.amdhsa_next_free_vgpr 36
		.amdhsa_next_free_sgpr 60
		.amdhsa_named_barrier_count 0
		.amdhsa_reserve_vcc 1
		.amdhsa_float_round_mode_32 0
		.amdhsa_float_round_mode_16_64 0
		.amdhsa_float_denorm_mode_32 3
		.amdhsa_float_denorm_mode_16_64 3
		.amdhsa_fp16_overflow 0
		.amdhsa_memory_ordered 1
		.amdhsa_forward_progress 1
		.amdhsa_inst_pref_size 189
		.amdhsa_round_robin_scheduling 0
		.amdhsa_exception_fp_ieee_invalid_op 0
		.amdhsa_exception_fp_denorm_src 0
		.amdhsa_exception_fp_ieee_div_zero 0
		.amdhsa_exception_fp_ieee_overflow 0
		.amdhsa_exception_fp_ieee_underflow 0
		.amdhsa_exception_fp_ieee_inexact 0
		.amdhsa_exception_int_div_zero 0
	.end_amdhsa_kernel
	.section	.text._ZN2at6native32elementwise_kernel_manual_unrollILi128ELi4EZNS0_22gpu_kernel_impl_nocastIZZZNS0_12_GLOBAL__N_130modified_bessel_i0_kernel_cudaERNS_18TensorIteratorBaseEENKUlvE_clEvENKUlvE_clEvEUldE_EEvS5_RKT_EUlibE_EEviT1_,"axG",@progbits,_ZN2at6native32elementwise_kernel_manual_unrollILi128ELi4EZNS0_22gpu_kernel_impl_nocastIZZZNS0_12_GLOBAL__N_130modified_bessel_i0_kernel_cudaERNS_18TensorIteratorBaseEENKUlvE_clEvENKUlvE_clEvEUldE_EEvS5_RKT_EUlibE_EEviT1_,comdat
.Lfunc_end7:
	.size	_ZN2at6native32elementwise_kernel_manual_unrollILi128ELi4EZNS0_22gpu_kernel_impl_nocastIZZZNS0_12_GLOBAL__N_130modified_bessel_i0_kernel_cudaERNS_18TensorIteratorBaseEENKUlvE_clEvENKUlvE_clEvEUldE_EEvS5_RKT_EUlibE_EEviT1_, .Lfunc_end7-_ZN2at6native32elementwise_kernel_manual_unrollILi128ELi4EZNS0_22gpu_kernel_impl_nocastIZZZNS0_12_GLOBAL__N_130modified_bessel_i0_kernel_cudaERNS_18TensorIteratorBaseEENKUlvE_clEvENKUlvE_clEvEUldE_EEvS5_RKT_EUlibE_EEviT1_
                                        ; -- End function
	.set _ZN2at6native32elementwise_kernel_manual_unrollILi128ELi4EZNS0_22gpu_kernel_impl_nocastIZZZNS0_12_GLOBAL__N_130modified_bessel_i0_kernel_cudaERNS_18TensorIteratorBaseEENKUlvE_clEvENKUlvE_clEvEUldE_EEvS5_RKT_EUlibE_EEviT1_.num_vgpr, 36
	.set _ZN2at6native32elementwise_kernel_manual_unrollILi128ELi4EZNS0_22gpu_kernel_impl_nocastIZZZNS0_12_GLOBAL__N_130modified_bessel_i0_kernel_cudaERNS_18TensorIteratorBaseEENKUlvE_clEvENKUlvE_clEvEUldE_EEvS5_RKT_EUlibE_EEviT1_.num_agpr, 0
	.set _ZN2at6native32elementwise_kernel_manual_unrollILi128ELi4EZNS0_22gpu_kernel_impl_nocastIZZZNS0_12_GLOBAL__N_130modified_bessel_i0_kernel_cudaERNS_18TensorIteratorBaseEENKUlvE_clEvENKUlvE_clEvEUldE_EEvS5_RKT_EUlibE_EEviT1_.numbered_sgpr, 60
	.set _ZN2at6native32elementwise_kernel_manual_unrollILi128ELi4EZNS0_22gpu_kernel_impl_nocastIZZZNS0_12_GLOBAL__N_130modified_bessel_i0_kernel_cudaERNS_18TensorIteratorBaseEENKUlvE_clEvENKUlvE_clEvEUldE_EEvS5_RKT_EUlibE_EEviT1_.num_named_barrier, 0
	.set _ZN2at6native32elementwise_kernel_manual_unrollILi128ELi4EZNS0_22gpu_kernel_impl_nocastIZZZNS0_12_GLOBAL__N_130modified_bessel_i0_kernel_cudaERNS_18TensorIteratorBaseEENKUlvE_clEvENKUlvE_clEvEUldE_EEvS5_RKT_EUlibE_EEviT1_.private_seg_size, 0
	.set _ZN2at6native32elementwise_kernel_manual_unrollILi128ELi4EZNS0_22gpu_kernel_impl_nocastIZZZNS0_12_GLOBAL__N_130modified_bessel_i0_kernel_cudaERNS_18TensorIteratorBaseEENKUlvE_clEvENKUlvE_clEvEUldE_EEvS5_RKT_EUlibE_EEviT1_.uses_vcc, 1
	.set _ZN2at6native32elementwise_kernel_manual_unrollILi128ELi4EZNS0_22gpu_kernel_impl_nocastIZZZNS0_12_GLOBAL__N_130modified_bessel_i0_kernel_cudaERNS_18TensorIteratorBaseEENKUlvE_clEvENKUlvE_clEvEUldE_EEvS5_RKT_EUlibE_EEviT1_.uses_flat_scratch, 0
	.set _ZN2at6native32elementwise_kernel_manual_unrollILi128ELi4EZNS0_22gpu_kernel_impl_nocastIZZZNS0_12_GLOBAL__N_130modified_bessel_i0_kernel_cudaERNS_18TensorIteratorBaseEENKUlvE_clEvENKUlvE_clEvEUldE_EEvS5_RKT_EUlibE_EEviT1_.has_dyn_sized_stack, 0
	.set _ZN2at6native32elementwise_kernel_manual_unrollILi128ELi4EZNS0_22gpu_kernel_impl_nocastIZZZNS0_12_GLOBAL__N_130modified_bessel_i0_kernel_cudaERNS_18TensorIteratorBaseEENKUlvE_clEvENKUlvE_clEvEUldE_EEvS5_RKT_EUlibE_EEviT1_.has_recursion, 0
	.set _ZN2at6native32elementwise_kernel_manual_unrollILi128ELi4EZNS0_22gpu_kernel_impl_nocastIZZZNS0_12_GLOBAL__N_130modified_bessel_i0_kernel_cudaERNS_18TensorIteratorBaseEENKUlvE_clEvENKUlvE_clEvEUldE_EEvS5_RKT_EUlibE_EEviT1_.has_indirect_call, 0
	.section	.AMDGPU.csdata,"",@progbits
; Kernel info:
; codeLenInByte = 24120
; TotalNumSgprs: 62
; NumVgprs: 36
; ScratchSize: 0
; MemoryBound: 0
; FloatMode: 240
; IeeeMode: 1
; LDSByteSize: 0 bytes/workgroup (compile time only)
; SGPRBlocks: 0
; VGPRBlocks: 2
; NumSGPRsForWavesPerEU: 62
; NumVGPRsForWavesPerEU: 36
; NamedBarCnt: 0
; Occupancy: 16
; WaveLimiterHint : 1
; COMPUTE_PGM_RSRC2:SCRATCH_EN: 0
; COMPUTE_PGM_RSRC2:USER_SGPR: 2
; COMPUTE_PGM_RSRC2:TRAP_HANDLER: 0
; COMPUTE_PGM_RSRC2:TGID_X_EN: 1
; COMPUTE_PGM_RSRC2:TGID_Y_EN: 0
; COMPUTE_PGM_RSRC2:TGID_Z_EN: 0
; COMPUTE_PGM_RSRC2:TIDIG_COMP_CNT: 0
	.section	.text._ZN2at6native32elementwise_kernel_manual_unrollILi128ELi4EZNS0_15gpu_kernel_implIZZZNS0_12_GLOBAL__N_130modified_bessel_i0_kernel_cudaERNS_18TensorIteratorBaseEENKUlvE_clEvENKUlvE_clEvEUldE_EEvS5_RKT_EUlibE_EEviT1_,"axG",@progbits,_ZN2at6native32elementwise_kernel_manual_unrollILi128ELi4EZNS0_15gpu_kernel_implIZZZNS0_12_GLOBAL__N_130modified_bessel_i0_kernel_cudaERNS_18TensorIteratorBaseEENKUlvE_clEvENKUlvE_clEvEUldE_EEvS5_RKT_EUlibE_EEviT1_,comdat
	.globl	_ZN2at6native32elementwise_kernel_manual_unrollILi128ELi4EZNS0_15gpu_kernel_implIZZZNS0_12_GLOBAL__N_130modified_bessel_i0_kernel_cudaERNS_18TensorIteratorBaseEENKUlvE_clEvENKUlvE_clEvEUldE_EEvS5_RKT_EUlibE_EEviT1_ ; -- Begin function _ZN2at6native32elementwise_kernel_manual_unrollILi128ELi4EZNS0_15gpu_kernel_implIZZZNS0_12_GLOBAL__N_130modified_bessel_i0_kernel_cudaERNS_18TensorIteratorBaseEENKUlvE_clEvENKUlvE_clEvEUldE_EEvS5_RKT_EUlibE_EEviT1_
	.p2align	8
	.type	_ZN2at6native32elementwise_kernel_manual_unrollILi128ELi4EZNS0_15gpu_kernel_implIZZZNS0_12_GLOBAL__N_130modified_bessel_i0_kernel_cudaERNS_18TensorIteratorBaseEENKUlvE_clEvENKUlvE_clEvEUldE_EEvS5_RKT_EUlibE_EEviT1_,@function
_ZN2at6native32elementwise_kernel_manual_unrollILi128ELi4EZNS0_15gpu_kernel_implIZZZNS0_12_GLOBAL__N_130modified_bessel_i0_kernel_cudaERNS_18TensorIteratorBaseEENKUlvE_clEvENKUlvE_clEvEUldE_EEvS5_RKT_EUlibE_EEviT1_: ; @_ZN2at6native32elementwise_kernel_manual_unrollILi128ELi4EZNS0_15gpu_kernel_implIZZZNS0_12_GLOBAL__N_130modified_bessel_i0_kernel_cudaERNS_18TensorIteratorBaseEENKUlvE_clEvENKUlvE_clEvEUldE_EEvS5_RKT_EUlibE_EEviT1_
; %bb.0:
	v_mov_b32_e32 v1, 0
	s_bfe_u32 s9, ttmp6, 0x4000c
	s_clause 0x1
	s_load_b32 s12, s[0:1], 0x0
	s_load_b128 s[4:7], s[0:1], 0x8
	s_add_co_i32 s9, s9, 1
	s_and_b32 s10, ttmp6, 15
	global_load_u16 v1, v1, s[0:1] offset:33
	s_load_b64 s[2:3], s[0:1], 0x18
	s_wait_xcnt 0x0
	s_mul_i32 s1, ttmp9, s9
	s_getreg_b32 s11, hwreg(HW_REG_IB_STS2, 6, 4)
	s_add_co_i32 s10, s10, s1
	s_mov_b32 s1, 0
	s_wait_loadcnt 0x0
	v_readfirstlane_b32 s8, v1
	s_and_b32 s0, 0xffff, s8
	s_delay_alu instid0(SALU_CYCLE_1) | instskip(SKIP_3) | instid1(SALU_CYCLE_1)
	s_lshr_b32 s9, s0, 8
	s_cmp_eq_u32 s11, 0
	s_mov_b32 s11, 0
	s_cselect_b32 s0, ttmp9, s10
	v_lshl_or_b32 v14, s0, 9, v0
	s_mov_b32 s0, exec_lo
	s_delay_alu instid0(VALU_DEP_1) | instskip(SKIP_1) | instid1(VALU_DEP_1)
	v_or_b32_e32 v0, 0x180, v14
	s_wait_kmcnt 0x0
	v_cmpx_le_i32_e64 s12, v0
	s_xor_b32 s10, exec_lo, s0
	s_cbranch_execz .LBB8_1047
; %bb.1:
	s_mov_b32 s17, -1
	s_mov_b32 s15, 0
	s_mov_b32 s13, 0
	s_mov_b32 s14, exec_lo
	v_cmpx_gt_i32_e64 s12, v14
	s_cbranch_execz .LBB8_256
; %bb.2:
	v_mul_lo_u32 v0, v14, s3
	s_and_b32 s0, 0xffff, s9
	s_delay_alu instid0(SALU_CYCLE_1) | instskip(NEXT) | instid1(VALU_DEP_1)
	s_cmp_lt_i32 s0, 11
	v_ashrrev_i32_e32 v1, 31, v0
	s_delay_alu instid0(VALU_DEP_1)
	v_add_nc_u64_e32 v[0:1], s[6:7], v[0:1]
	s_cbranch_scc1 .LBB8_9
; %bb.3:
	s_cmp_gt_i32 s0, 25
	s_cbranch_scc0 .LBB8_22
; %bb.4:
	s_cmp_gt_i32 s0, 28
	s_cbranch_scc0 .LBB8_25
; %bb.5:
	s_cmp_gt_i32 s0, 43
	s_cbranch_scc0 .LBB8_27
; %bb.6:
	s_cmp_gt_i32 s0, 45
	s_cbranch_scc0 .LBB8_29
; %bb.7:
	s_cmp_eq_u32 s0, 46
	s_mov_b32 s16, 0
	s_cbranch_scc0 .LBB8_31
; %bb.8:
	global_load_b32 v2, v[0:1], off
	s_mov_b32 s11, -1
	s_wait_loadcnt 0x0
	v_lshlrev_b32_e32 v2, 16, v2
	s_delay_alu instid0(VALU_DEP_1)
	v_cvt_f64_f32_e32 v[2:3], v2
	s_branch .LBB8_33
.LBB8_9:
                                        ; implicit-def: $vgpr2_vgpr3
	s_cbranch_execnz .LBB8_206
.LBB8_10:
	s_and_not1_b32 vcc_lo, exec_lo, s11
	s_cbranch_vccnz .LBB8_253
.LBB8_11:
	s_wait_loadcnt 0x0
	s_delay_alu instid0(VALU_DEP_1) | instskip(SKIP_1) | instid1(SALU_CYCLE_1)
	v_cmp_ge_f64_e64 s0, 0x40200000, |v[2:3]|
                                        ; implicit-def: $vgpr0_vgpr1
	s_and_saveexec_b32 s11, s0
	s_xor_b32 s0, exec_lo, s11
	s_cbranch_execz .LBB8_13
; %bb.12:
	v_fma_f64 v[0:1], |v[2:3]|, 0.5, -2.0
	s_mov_b64 s[16:17], 0xbc545cb72134d0ef
	s_delay_alu instid0(VALU_DEP_1) | instid1(SALU_CYCLE_1)
	v_fmaak_f64 v[4:5], s[16:17], v[0:1], 0x3c833362977da589
	s_mov_b64 s[16:17], 0x3ff71547652b82fe
	s_delay_alu instid0(SALU_CYCLE_1) | instskip(SKIP_1) | instid1(VALU_DEP_2)
	v_mul_f64_e64 v[8:9], |v[2:3]|, s[16:17]
	s_mov_b64 s[16:17], 0xbfe62e42fefa39ef
	v_fmaak_f64 v[6:7], v[0:1], v[4:5], 0x3c545cb72134d0ef
	s_delay_alu instid0(VALU_DEP_1) | instskip(NEXT) | instid1(VALU_DEP_3)
	v_add_f64_e32 v[6:7], 0xbcb184eb721ebbb4, v[6:7]
	v_rndne_f64_e32 v[8:9], v[8:9]
	s_delay_alu instid0(VALU_DEP_2) | instskip(NEXT) | instid1(VALU_DEP_2)
	v_fma_f64 v[4:5], v[0:1], v[6:7], -v[4:5]
	v_fma_f64 v[2:3], v[8:9], s[16:17], |v[2:3]|
	s_mov_b64 s[16:17], 0x3e5ade156a5dcb37
	s_delay_alu instid0(VALU_DEP_2) | instskip(NEXT) | instid1(VALU_DEP_2)
	v_add_f64_e32 v[4:5], 0x3cdee6d893f65eba, v[4:5]
	v_fmamk_f64 v[2:3], v[8:9], 0xbc7abc9e3b39803f, v[2:3]
	s_delay_alu instid0(VALU_DEP_1) | instskip(NEXT) | instid1(VALU_DEP_3)
	v_fmaak_f64 v[10:11], s[16:17], v[2:3], 0x3e928af3fca7ab0c
	v_fma_f64 v[6:7], v[0:1], v[4:5], -v[6:7]
	s_delay_alu instid0(VALU_DEP_2) | instskip(NEXT) | instid1(VALU_DEP_1)
	v_fmaak_f64 v[10:11], v[2:3], v[10:11], 0x3ec71dee623fde64
	v_fmaak_f64 v[10:11], v[2:3], v[10:11], 0x3efa01997c89e6b0
	s_delay_alu instid0(VALU_DEP_1) | instskip(NEXT) | instid1(VALU_DEP_1)
	v_fmaak_f64 v[10:11], v[2:3], v[10:11], 0x3f2a01a014761f6e
	v_fmaak_f64 v[10:11], v[2:3], v[10:11], 0x3f56c16c1852b7b0
	v_add_f64_e32 v[6:7], 0xbd0a5022c297fbeb, v[6:7]
	s_delay_alu instid0(VALU_DEP_1) | instskip(NEXT) | instid1(VALU_DEP_1)
	v_fma_f64 v[4:5], v[0:1], v[6:7], -v[4:5]
	v_add_f64_e32 v[4:5], 0x3d359b464b262627, v[4:5]
	s_delay_alu instid0(VALU_DEP_1) | instskip(NEXT) | instid1(VALU_DEP_1)
	v_fma_f64 v[6:7], v[0:1], v[4:5], -v[6:7]
	;; [unrolled: 3-line block ×24, first 2 shown]
	v_add_f64_e32 v[6:7], 0xbfd37febc057cd8d, v[6:7]
	s_delay_alu instid0(VALU_DEP_1) | instskip(SKIP_1) | instid1(VALU_DEP_1)
	v_fma_f64 v[0:1], v[0:1], v[6:7], -v[4:5]
	v_fmaak_f64 v[6:7], v[2:3], v[10:11], 0x3f81111111122322
	v_fmaak_f64 v[6:7], v[2:3], v[6:7], 0x3fa55555555502a1
	s_delay_alu instid0(VALU_DEP_1) | instskip(NEXT) | instid1(VALU_DEP_1)
	v_fmaak_f64 v[6:7], v[2:3], v[6:7], 0x3fc5555555555511
	v_fmaak_f64 v[6:7], v[2:3], v[6:7], 0x3fe000000000000b
	s_delay_alu instid0(VALU_DEP_1) | instskip(SKIP_1) | instid1(VALU_DEP_2)
	v_fma_f64 v[6:7], v[2:3], v[6:7], 1.0
	v_add_f64_e32 v[0:1], 0x3fe5a84e9035a22a, v[0:1]
	v_fma_f64 v[2:3], v[2:3], v[6:7], 1.0
	v_cvt_i32_f64_e32 v6, v[8:9]
	s_delay_alu instid0(VALU_DEP_3) | instskip(NEXT) | instid1(VALU_DEP_2)
	v_add_f64_e64 v[0:1], v[0:1], -v[4:5]
	v_ldexp_f64 v[2:3], v[2:3], v6
	s_delay_alu instid0(VALU_DEP_2) | instskip(NEXT) | instid1(VALU_DEP_1)
	v_mul_f64_e32 v[0:1], 0.5, v[0:1]
	v_mul_f64_e32 v[0:1], v[2:3], v[0:1]
                                        ; implicit-def: $vgpr2_vgpr3
.LBB8_13:
	s_and_not1_saveexec_b32 s0, s0
	s_cbranch_execz .LBB8_15
; %bb.14:
	v_and_b32_e32 v1, 0x7fffffff, v3
	v_mov_b32_e32 v0, v2
	s_mov_b64 s[16:17], 0xbc60adb754ca8b19
	v_cmp_gt_f64_e64 s11, 0x10000000, |v[2:3]|
	s_delay_alu instid0(VALU_DEP_2) | instskip(SKIP_1) | instid1(VALU_DEP_2)
	v_div_scale_f64 v[4:5], null, v[0:1], v[0:1], 0x40400000
	v_div_scale_f64 v[0:1], vcc_lo, 0x40400000, v[0:1], 0x40400000
	v_rcp_f64_e32 v[6:7], v[4:5]
	v_nop
	s_delay_alu instid0(TRANS32_DEP_1) | instskip(NEXT) | instid1(VALU_DEP_1)
	v_fma_f64 v[8:9], -v[4:5], v[6:7], 1.0
	v_fmac_f64_e32 v[6:7], v[6:7], v[8:9]
	s_delay_alu instid0(VALU_DEP_1) | instskip(NEXT) | instid1(VALU_DEP_1)
	v_fma_f64 v[8:9], -v[4:5], v[6:7], 1.0
	v_fmac_f64_e32 v[6:7], v[6:7], v[8:9]
	s_delay_alu instid0(VALU_DEP_1) | instskip(NEXT) | instid1(VALU_DEP_1)
	v_mul_f64_e32 v[8:9], v[0:1], v[6:7]
	v_fma_f64 v[0:1], -v[4:5], v[8:9], v[0:1]
	s_delay_alu instid0(VALU_DEP_1) | instskip(SKIP_2) | instid1(VALU_DEP_2)
	v_div_fmas_f64 v[0:1], v[0:1], v[6:7], v[8:9]
	v_cndmask_b32_e64 v8, 0, 0x100, s11
	v_cmp_nlt_f64_e64 vcc_lo, 0x40900000, |v[2:3]|
	v_ldexp_f64 v[8:9], |v[2:3]|, v8
	s_delay_alu instid0(VALU_DEP_4) | instskip(NEXT) | instid1(VALU_DEP_2)
	v_div_fixup_f64 v[0:1], v[0:1], |v[2:3]|, 0x40400000
	v_rsq_f64_e32 v[12:13], v[8:9]
	s_delay_alu instid0(VALU_DEP_1) | instskip(NEXT) | instid1(TRANS32_DEP_1)
	v_add_f64_e32 v[0:1], -2.0, v[0:1]
	v_mul_f64_e32 v[16:17], v[8:9], v[12:13]
	v_mul_f64_e32 v[12:13], 0.5, v[12:13]
	s_delay_alu instid0(VALU_DEP_3) | instskip(SKIP_1) | instid1(SALU_CYCLE_1)
	v_fmaak_f64 v[4:5], s[16:17], v[0:1], 0xbc5646da66119130
	s_mov_b64 s[16:17], 0x3ff71547652b82fe
	v_mul_f64_e64 v[10:11], |v[2:3]|, s[16:17]
	s_mov_b64 s[16:17], 0xbfe62e42fefa39ef
	s_delay_alu instid0(VALU_DEP_2) | instskip(NEXT) | instid1(VALU_DEP_4)
	v_fmaak_f64 v[6:7], v[0:1], v[4:5], 0x3c60adb754ca8b19
	v_fma_f64 v[20:21], -v[12:13], v[16:17], 0.5
	s_delay_alu instid0(VALU_DEP_2) | instskip(NEXT) | instid1(VALU_DEP_4)
	v_add_f64_e32 v[6:7], 0x3c89be1812d98421, v[6:7]
	v_rndne_f64_e32 v[10:11], v[10:11]
	s_delay_alu instid0(VALU_DEP_3) | instskip(NEXT) | instid1(VALU_DEP_3)
	v_fmac_f64_e32 v[16:17], v[16:17], v[20:21]
	v_fma_f64 v[4:5], v[0:1], v[6:7], -v[4:5]
	v_fmac_f64_e32 v[12:13], v[12:13], v[20:21]
	s_delay_alu instid0(VALU_DEP_4) | instskip(SKIP_4) | instid1(VALU_DEP_4)
	v_fma_f64 v[18:19], v[10:11], s[16:17], |v[2:3]|
	s_mov_b64 s[16:17], 0x3e5ade156a5dcb37
	v_cvt_i32_f64_e32 v15, v[10:11]
	v_fma_f64 v[20:21], -v[16:17], v[16:17], v[8:9]
	v_add_f64_e32 v[4:5], 0x3c83f3dd076041cd, v[4:5]
	v_fmamk_f64 v[18:19], v[10:11], 0xbc7abc9e3b39803f, v[18:19]
	s_delay_alu instid0(VALU_DEP_1) | instskip(NEXT) | instid1(VALU_DEP_4)
	v_fmaak_f64 v[22:23], s[16:17], v[18:19], 0x3e928af3fca7ab0c
	v_fmac_f64_e32 v[16:17], v[20:21], v[12:13]
	s_delay_alu instid0(VALU_DEP_4) | instskip(NEXT) | instid1(VALU_DEP_3)
	v_fma_f64 v[6:7], v[0:1], v[4:5], -v[6:7]
	v_fmaak_f64 v[22:23], v[18:19], v[22:23], 0x3ec71dee623fde64
	s_delay_alu instid0(VALU_DEP_1) | instskip(NEXT) | instid1(VALU_DEP_1)
	v_fmaak_f64 v[22:23], v[18:19], v[22:23], 0x3efa01997c89e6b0
	v_fmaak_f64 v[22:23], v[18:19], v[22:23], 0x3f2a01a014761f6e
	s_delay_alu instid0(VALU_DEP_1) | instskip(SKIP_2) | instid1(VALU_DEP_3)
	v_fmaak_f64 v[22:23], v[18:19], v[22:23], 0x3f56c16c1852b7b0
	v_fma_f64 v[10:11], -v[16:17], v[16:17], v[8:9]
	v_add_f64_e32 v[6:7], 0xbcb4600babd21fe4, v[6:7]
	v_fmaak_f64 v[22:23], v[18:19], v[22:23], 0x3f81111111122322
	s_delay_alu instid0(VALU_DEP_3) | instskip(NEXT) | instid1(VALU_DEP_3)
	v_fmac_f64_e32 v[16:17], v[10:11], v[12:13]
	v_fma_f64 v[4:5], v[0:1], v[6:7], -v[4:5]
	s_delay_alu instid0(VALU_DEP_1) | instskip(NEXT) | instid1(VALU_DEP_1)
	v_add_f64_e32 v[4:5], 0xbcb8aee7d908de38, v[4:5]
	v_fma_f64 v[6:7], v[0:1], v[4:5], -v[6:7]
	s_delay_alu instid0(VALU_DEP_1) | instskip(NEXT) | instid1(VALU_DEP_1)
	v_add_f64_e32 v[6:7], 0x3cdfee7da3eafb1f, v[6:7]
	v_fma_f64 v[4:5], v[0:1], v[6:7], -v[4:5]
	s_delay_alu instid0(VALU_DEP_1) | instskip(NEXT) | instid1(VALU_DEP_1)
	v_add_f64_e32 v[4:5], 0x3cf12a919094e6d7, v[4:5]
	v_fma_f64 v[6:7], v[0:1], v[4:5], -v[6:7]
	s_delay_alu instid0(VALU_DEP_1) | instskip(NEXT) | instid1(VALU_DEP_1)
	v_add_f64_e32 v[6:7], 0xbd0583fe7e65629a, v[6:7]
	v_fma_f64 v[4:5], v[0:1], v[6:7], -v[4:5]
	s_delay_alu instid0(VALU_DEP_1) | instskip(NEXT) | instid1(VALU_DEP_1)
	v_add_f64_e32 v[4:5], 0xbd275d99cf68bb32, v[4:5]
	v_fma_f64 v[6:7], v[0:1], v[4:5], -v[6:7]
	s_delay_alu instid0(VALU_DEP_1) | instskip(NEXT) | instid1(VALU_DEP_1)
	v_add_f64_e32 v[6:7], 0x3d1156ff0d5fc545, v[6:7]
	v_fma_f64 v[4:5], v[0:1], v[6:7], -v[4:5]
	s_delay_alu instid0(VALU_DEP_1) | instskip(NEXT) | instid1(VALU_DEP_1)
	v_add_f64_e32 v[4:5], 0x3d5b1c8c6b83c073, v[4:5]
	v_fma_f64 v[6:7], v[0:1], v[4:5], -v[6:7]
	s_delay_alu instid0(VALU_DEP_1) | instskip(NEXT) | instid1(VALU_DEP_1)
	v_add_f64_e32 v[6:7], 0x3d694347fa268cec, v[6:7]
	v_fma_f64 v[4:5], v[0:1], v[6:7], -v[4:5]
	s_delay_alu instid0(VALU_DEP_1) | instskip(NEXT) | instid1(VALU_DEP_1)
	v_add_f64_e32 v[4:5], 0xbd7f904303178d66, v[4:5]
	v_fma_f64 v[6:7], v[0:1], v[4:5], -v[6:7]
	s_delay_alu instid0(VALU_DEP_1) | instskip(NEXT) | instid1(VALU_DEP_1)
	v_add_f64_e32 v[6:7], 0xbdad0fd7357e7bf2, v[6:7]
	v_fma_f64 v[4:5], v[0:1], v[6:7], -v[4:5]
	s_delay_alu instid0(VALU_DEP_1) | instskip(NEXT) | instid1(VALU_DEP_1)
	v_add_f64_e32 v[4:5], 0xbdc1511d08397425, v[4:5]
	v_fma_f64 v[6:7], v[0:1], v[4:5], -v[6:7]
	s_delay_alu instid0(VALU_DEP_1) | instskip(NEXT) | instid1(VALU_DEP_1)
	v_add_f64_e32 v[6:7], 0x3daa24feabe8004f, v[6:7]
	v_fma_f64 v[4:5], v[0:1], v[6:7], -v[4:5]
	s_delay_alu instid0(VALU_DEP_1) | instskip(NEXT) | instid1(VALU_DEP_1)
	v_add_f64_e32 v[4:5], 0x3e00f9ccc0f46f75, v[4:5]
	v_fma_f64 v[6:7], v[0:1], v[4:5], -v[6:7]
	s_delay_alu instid0(VALU_DEP_1) | instskip(NEXT) | instid1(VALU_DEP_1)
	v_add_f64_e32 v[6:7], 0x3e2d2c64a9225b87, v[6:7]
	v_fma_f64 v[4:5], v[0:1], v[6:7], -v[4:5]
	s_delay_alu instid0(VALU_DEP_1) | instskip(NEXT) | instid1(VALU_DEP_1)
	v_add_f64_e32 v[4:5], 0x3e58569280d6d56d, v[4:5]
	v_fma_f64 v[6:7], v[0:1], v[4:5], -v[6:7]
	s_delay_alu instid0(VALU_DEP_1) | instskip(NEXT) | instid1(VALU_DEP_1)
	v_add_f64_e32 v[6:7], 0x3e8b8007d9cd616e, v[6:7]
	v_fma_f64 v[4:5], v[0:1], v[6:7], -v[4:5]
	s_delay_alu instid0(VALU_DEP_1) | instskip(NEXT) | instid1(VALU_DEP_1)
	v_add_f64_e32 v[4:5], 0x3ec8412bc101c586, v[4:5]
	v_fma_f64 v[6:7], v[0:1], v[4:5], -v[6:7]
	s_delay_alu instid0(VALU_DEP_1) | instskip(NEXT) | instid1(VALU_DEP_1)
	v_add_f64_e32 v[6:7], 0x3f120fa378999e52, v[6:7]
	v_fma_f64 v[4:5], v[0:1], v[6:7], -v[4:5]
	s_delay_alu instid0(VALU_DEP_1) | instskip(NEXT) | instid1(VALU_DEP_1)
	v_add_f64_e32 v[4:5], 0x3f6b998ca2e59049, v[4:5]
	v_fma_f64 v[0:1], v[0:1], v[4:5], -v[6:7]
	v_fmaak_f64 v[4:5], v[18:19], v[22:23], 0x3fa55555555502a1
	s_delay_alu instid0(VALU_DEP_1) | instskip(NEXT) | instid1(VALU_DEP_1)
	v_fmaak_f64 v[4:5], v[18:19], v[4:5], 0x3fc5555555555511
	v_fmaak_f64 v[4:5], v[18:19], v[4:5], 0x3fe000000000000b
	s_delay_alu instid0(VALU_DEP_1) | instskip(SKIP_1) | instid1(VALU_DEP_2)
	v_fma_f64 v[4:5], v[18:19], v[4:5], 1.0
	v_add_f64_e32 v[0:1], 0x3fe9be62aca809cb, v[0:1]
	v_fma_f64 v[4:5], v[18:19], v[4:5], 1.0
	s_delay_alu instid0(VALU_DEP_2) | instskip(SKIP_1) | instid1(VALU_DEP_3)
	v_add_f64_e64 v[0:1], v[0:1], -v[6:7]
	v_cndmask_b32_e64 v6, 0, 0xffffff80, s11
	v_ldexp_f64 v[4:5], v[4:5], v15
	s_delay_alu instid0(VALU_DEP_3) | instskip(NEXT) | instid1(VALU_DEP_2)
	v_mul_f64_e32 v[0:1], 0.5, v[0:1]
	v_cndmask_b32_e32 v3, 0x7ff00000, v5, vcc_lo
	s_delay_alu instid0(VALU_DEP_3) | instskip(SKIP_2) | instid1(VALU_DEP_3)
	v_cndmask_b32_e32 v2, 0, v4, vcc_lo
	v_ldexp_f64 v[4:5], v[16:17], v6
	v_cmp_class_f64_e64 vcc_lo, v[8:9], 0x260
	v_mul_f64_e32 v[0:1], v[2:3], v[0:1]
	s_delay_alu instid0(VALU_DEP_3) | instskip(NEXT) | instid1(VALU_DEP_1)
	v_dual_cndmask_b32 v3, v5, v9 :: v_dual_cndmask_b32 v2, v4, v8
	v_div_scale_f64 v[4:5], null, v[2:3], v[2:3], v[0:1]
	s_delay_alu instid0(VALU_DEP_1) | instskip(SKIP_1) | instid1(TRANS32_DEP_1)
	v_rcp_f64_e32 v[6:7], v[4:5]
	v_nop
	v_fma_f64 v[8:9], -v[4:5], v[6:7], 1.0
	s_delay_alu instid0(VALU_DEP_1) | instskip(NEXT) | instid1(VALU_DEP_1)
	v_fmac_f64_e32 v[6:7], v[6:7], v[8:9]
	v_fma_f64 v[8:9], -v[4:5], v[6:7], 1.0
	s_delay_alu instid0(VALU_DEP_1) | instskip(SKIP_1) | instid1(VALU_DEP_1)
	v_fmac_f64_e32 v[6:7], v[6:7], v[8:9]
	v_div_scale_f64 v[8:9], vcc_lo, v[0:1], v[2:3], v[0:1]
	v_mul_f64_e32 v[10:11], v[8:9], v[6:7]
	s_delay_alu instid0(VALU_DEP_1) | instskip(NEXT) | instid1(VALU_DEP_1)
	v_fma_f64 v[4:5], -v[4:5], v[10:11], v[8:9]
	v_div_fmas_f64 v[4:5], v[4:5], v[6:7], v[10:11]
	s_delay_alu instid0(VALU_DEP_1)
	v_div_fixup_f64 v[0:1], v[4:5], v[2:3], v[0:1]
.LBB8_15:
	s_or_b32 exec_lo, exec_lo, s0
	v_mul_lo_u32 v2, v14, s2
	s_and_b32 s11, s8, 0xff
	s_delay_alu instid0(SALU_CYCLE_1) | instskip(NEXT) | instid1(VALU_DEP_1)
	s_cmp_lt_i32 s11, 11
	v_ashrrev_i32_e32 v3, 31, v2
	s_delay_alu instid0(VALU_DEP_1)
	v_add_nc_u64_e32 v[4:5], s[4:5], v[2:3]
	s_cbranch_scc1 .LBB8_23
; %bb.16:
	s_and_b32 s16, 0xffff, s11
	s_delay_alu instid0(SALU_CYCLE_1)
	s_cmp_gt_i32 s16, 25
	s_cbranch_scc0 .LBB8_26
; %bb.17:
	s_cmp_gt_i32 s16, 28
	s_cbranch_scc0 .LBB8_28
; %bb.18:
	;; [unrolled: 3-line block ×4, first 2 shown]
	s_mov_b32 s18, 0
	s_mov_b32 s0, -1
	s_cmp_eq_u32 s16, 46
	s_mov_b32 s17, 0
	s_cbranch_scc0 .LBB8_37
; %bb.21:
	s_delay_alu instid0(VALU_DEP_4) | instskip(SKIP_2) | instid1(VALU_DEP_1)
	v_cvt_f32_f64_e32 v2, v[0:1]
	s_mov_b32 s17, -1
	s_mov_b32 s0, 0
	v_bfe_u32 v3, v2, 16, 1
	v_cmp_o_f32_e32 vcc_lo, v2, v2
	s_delay_alu instid0(VALU_DEP_2) | instskip(NEXT) | instid1(VALU_DEP_1)
	v_add3_u32 v3, v2, v3, 0x7fff
	v_lshrrev_b32_e32 v3, 16, v3
	s_delay_alu instid0(VALU_DEP_1)
	v_cndmask_b32_e32 v2, 0x7fc0, v3, vcc_lo
	global_store_b32 v[4:5], v2, off
	s_branch .LBB8_37
.LBB8_22:
                                        ; implicit-def: $vgpr2_vgpr3
	s_cbranch_execnz .LBB8_171
	s_branch .LBB8_205
.LBB8_23:
	s_mov_b32 s0, 0
	s_mov_b32 s17, 0
	s_cbranch_execnz .LBB8_106
.LBB8_24:
	s_and_not1_b32 vcc_lo, exec_lo, s17
	s_cbranch_vccnz .LBB8_254
	s_branch .LBB8_144
.LBB8_25:
	s_mov_b32 s16, -1
                                        ; implicit-def: $vgpr2_vgpr3
	s_branch .LBB8_152
.LBB8_26:
	s_mov_b32 s18, -1
	s_mov_b32 s0, 0
	s_mov_b32 s17, 0
	s_branch .LBB8_64
.LBB8_27:
	s_mov_b32 s16, -1
                                        ; implicit-def: $vgpr2_vgpr3
	s_branch .LBB8_147
.LBB8_28:
	s_mov_b32 s18, -1
	s_mov_b32 s0, 0
	s_mov_b32 s17, 0
	s_branch .LBB8_47
.LBB8_29:
	s_mov_b32 s16, -1
	s_branch .LBB8_32
.LBB8_30:
	s_mov_b32 s18, -1
	s_mov_b32 s0, 0
	s_mov_b32 s17, 0
	s_branch .LBB8_43
.LBB8_31:
	s_mov_b32 s13, -1
.LBB8_32:
                                        ; implicit-def: $vgpr2_vgpr3
.LBB8_33:
	s_and_b32 vcc_lo, exec_lo, s16
	s_cbranch_vccz .LBB8_146
; %bb.34:
	s_cmp_eq_u32 s0, 44
	s_cbranch_scc0 .LBB8_145
; %bb.35:
	global_load_u8 v4, v[0:1], off
	s_mov_b32 s13, 0
	s_mov_b32 s11, -1
	s_wait_loadcnt 0x0
	v_cmp_ne_u32_e32 vcc_lo, 0xff, v4
	v_lshlrev_b32_e32 v2, 23, v4
	s_delay_alu instid0(VALU_DEP_1) | instskip(NEXT) | instid1(VALU_DEP_1)
	v_cvt_f64_f32_e32 v[2:3], v2
	v_cndmask_b32_e32 v2, 0x20000000, v2, vcc_lo
	s_delay_alu instid0(VALU_DEP_2) | instskip(SKIP_1) | instid1(VALU_DEP_2)
	v_cndmask_b32_e32 v3, 0x7ff80000, v3, vcc_lo
	v_cmp_ne_u32_e32 vcc_lo, 0, v4
	v_cndmask_b32_e32 v3, 0x38000000, v3, vcc_lo
	s_delay_alu instid0(VALU_DEP_4)
	v_cndmask_b32_e32 v2, 0, v2, vcc_lo
	s_branch .LBB8_146
.LBB8_36:
	s_mov_b32 s18, -1
	s_mov_b32 s0, 0
	s_mov_b32 s17, 0
.LBB8_37:
	s_and_b32 vcc_lo, exec_lo, s18
	s_cbranch_vccz .LBB8_42
; %bb.38:
	s_cmp_eq_u32 s16, 44
	s_mov_b32 s0, -1
	s_cbranch_scc0 .LBB8_42
; %bb.39:
	s_wait_xcnt 0x0
	s_delay_alu instid0(VALU_DEP_4) | instskip(SKIP_2) | instid1(VALU_DEP_2)
	v_cvt_f32_f64_e32 v2, v[0:1]
	v_mov_b32_e32 v3, 0xff
	s_mov_b32 s17, exec_lo
	v_bfe_u32 v6, v2, 23, 8
	s_delay_alu instid0(VALU_DEP_1)
	v_cmpx_ne_u32_e32 0xff, v6
	s_cbranch_execz .LBB8_41
; %bb.40:
	v_and_b32_e32 v3, 0x400000, v2
	v_and_or_b32 v6, 0x3fffff, v2, v6
	v_lshrrev_b32_e32 v2, 23, v2
	s_delay_alu instid0(VALU_DEP_3) | instskip(NEXT) | instid1(VALU_DEP_3)
	v_cmp_ne_u32_e32 vcc_lo, 0, v3
	v_cmp_ne_u32_e64 s0, 0, v6
	s_and_b32 s0, vcc_lo, s0
	s_delay_alu instid0(SALU_CYCLE_1) | instskip(NEXT) | instid1(VALU_DEP_1)
	v_cndmask_b32_e64 v3, 0, 1, s0
	v_add_nc_u32_e32 v3, v2, v3
.LBB8_41:
	s_or_b32 exec_lo, exec_lo, s17
	s_mov_b32 s17, -1
	s_mov_b32 s0, 0
	global_store_b8 v[4:5], v3, off
.LBB8_42:
	s_mov_b32 s18, 0
.LBB8_43:
	s_delay_alu instid0(SALU_CYCLE_1)
	s_and_b32 vcc_lo, exec_lo, s18
	s_cbranch_vccz .LBB8_46
; %bb.44:
	s_cmp_eq_u32 s16, 29
	s_mov_b32 s0, -1
	s_cbranch_scc0 .LBB8_46
; %bb.45:
	s_wait_xcnt 0x0
	s_delay_alu instid0(VALU_DEP_4) | instskip(SKIP_3) | instid1(VALU_DEP_1)
	v_trunc_f64_e32 v[2:3], v[0:1]
	s_mov_b32 s17, -1
	s_mov_b32 s0, 0
	s_mov_b32 s18, 0
	v_ldexp_f64 v[6:7], v[2:3], 0xffffffe0
	s_delay_alu instid0(VALU_DEP_1) | instskip(NEXT) | instid1(VALU_DEP_1)
	v_floor_f64_e32 v[6:7], v[6:7]
	v_fmamk_f64 v[2:3], v[6:7], 0xc1f00000, v[2:3]
	v_cvt_u32_f64_e32 v7, v[6:7]
	s_delay_alu instid0(VALU_DEP_2)
	v_cvt_u32_f64_e32 v6, v[2:3]
	global_store_b64 v[4:5], v[6:7], off
	s_branch .LBB8_47
.LBB8_46:
	s_mov_b32 s18, 0
.LBB8_47:
	s_delay_alu instid0(SALU_CYCLE_1)
	s_and_b32 vcc_lo, exec_lo, s18
	s_cbranch_vccz .LBB8_63
; %bb.48:
	s_cmp_lt_i32 s16, 27
	s_mov_b32 s17, -1
	s_cbranch_scc1 .LBB8_54
; %bb.49:
	s_wait_xcnt 0x0
	s_delay_alu instid0(VALU_DEP_4)
	v_cvt_u32_f64_e32 v2, v[0:1]
	s_cmp_gt_i32 s16, 27
	s_cbranch_scc0 .LBB8_51
; %bb.50:
	s_mov_b32 s17, 0
	global_store_b32 v[4:5], v2, off
.LBB8_51:
	s_and_not1_b32 vcc_lo, exec_lo, s17
	s_cbranch_vccnz .LBB8_53
; %bb.52:
	global_store_b16 v[4:5], v2, off
.LBB8_53:
	s_mov_b32 s17, 0
.LBB8_54:
	s_delay_alu instid0(SALU_CYCLE_1)
	s_and_not1_b32 vcc_lo, exec_lo, s17
	s_cbranch_vccnz .LBB8_62
; %bb.55:
	s_wait_xcnt 0x0
	s_delay_alu instid0(VALU_DEP_4) | instskip(SKIP_2) | instid1(VALU_DEP_2)
	v_cvt_f32_f64_e32 v2, v[0:1]
	v_mov_b32_e32 v6, 0x80
	s_mov_b32 s17, exec_lo
	v_and_b32_e32 v3, 0x7fffffff, v2
	s_delay_alu instid0(VALU_DEP_1)
	v_cmpx_gt_u32_e32 0x43800000, v3
	s_cbranch_execz .LBB8_61
; %bb.56:
	v_cmp_lt_u32_e32 vcc_lo, 0x3bffffff, v3
	s_mov_b32 s18, 0
                                        ; implicit-def: $vgpr3
	s_and_saveexec_b32 s19, vcc_lo
	s_delay_alu instid0(SALU_CYCLE_1)
	s_xor_b32 s19, exec_lo, s19
	s_cbranch_execz .LBB8_287
; %bb.57:
	v_bfe_u32 v3, v2, 20, 1
	s_mov_b32 s18, exec_lo
	s_delay_alu instid0(VALU_DEP_1) | instskip(NEXT) | instid1(VALU_DEP_1)
	v_add3_u32 v3, v2, v3, 0x487ffff
	v_lshrrev_b32_e32 v3, 20, v3
	s_and_not1_saveexec_b32 s19, s19
	s_cbranch_execnz .LBB8_288
.LBB8_58:
	s_or_b32 exec_lo, exec_lo, s19
	v_mov_b32_e32 v6, 0
	s_and_saveexec_b32 s19, s18
.LBB8_59:
	v_lshrrev_b32_e32 v2, 24, v2
	s_delay_alu instid0(VALU_DEP_1)
	v_and_or_b32 v6, 0x80, v2, v3
.LBB8_60:
	s_or_b32 exec_lo, exec_lo, s19
.LBB8_61:
	s_delay_alu instid0(SALU_CYCLE_1)
	s_or_b32 exec_lo, exec_lo, s17
	global_store_b8 v[4:5], v6, off
.LBB8_62:
	s_mov_b32 s17, -1
.LBB8_63:
	s_mov_b32 s18, 0
.LBB8_64:
	s_delay_alu instid0(SALU_CYCLE_1)
	s_and_b32 vcc_lo, exec_lo, s18
	s_cbranch_vccz .LBB8_105
; %bb.65:
	s_cmp_gt_i32 s16, 22
	s_mov_b32 s18, -1
	s_cbranch_scc0 .LBB8_97
; %bb.66:
	s_cmp_lt_i32 s16, 24
	s_mov_b32 s17, -1
	s_cbranch_scc1 .LBB8_86
; %bb.67:
	s_cmp_gt_i32 s16, 24
	s_cbranch_scc0 .LBB8_75
; %bb.68:
	s_wait_xcnt 0x0
	s_delay_alu instid0(VALU_DEP_4) | instskip(SKIP_2) | instid1(VALU_DEP_2)
	v_cvt_f32_f64_e32 v2, v[0:1]
	v_mov_b32_e32 v6, 0x80
	s_mov_b32 s17, exec_lo
	v_and_b32_e32 v3, 0x7fffffff, v2
	s_delay_alu instid0(VALU_DEP_1)
	v_cmpx_gt_u32_e32 0x47800000, v3
	s_cbranch_execz .LBB8_74
; %bb.69:
	v_cmp_lt_u32_e32 vcc_lo, 0x37ffffff, v3
	s_mov_b32 s18, 0
                                        ; implicit-def: $vgpr3
	s_and_saveexec_b32 s19, vcc_lo
	s_delay_alu instid0(SALU_CYCLE_1)
	s_xor_b32 s19, exec_lo, s19
	s_cbranch_execz .LBB8_291
; %bb.70:
	v_bfe_u32 v3, v2, 21, 1
	s_mov_b32 s18, exec_lo
	s_delay_alu instid0(VALU_DEP_1) | instskip(NEXT) | instid1(VALU_DEP_1)
	v_add3_u32 v3, v2, v3, 0x88fffff
	v_lshrrev_b32_e32 v3, 21, v3
	s_and_not1_saveexec_b32 s19, s19
	s_cbranch_execnz .LBB8_292
.LBB8_71:
	s_or_b32 exec_lo, exec_lo, s19
	v_mov_b32_e32 v6, 0
	s_and_saveexec_b32 s19, s18
.LBB8_72:
	v_lshrrev_b32_e32 v2, 24, v2
	s_delay_alu instid0(VALU_DEP_1)
	v_and_or_b32 v6, 0x80, v2, v3
.LBB8_73:
	s_or_b32 exec_lo, exec_lo, s19
.LBB8_74:
	s_delay_alu instid0(SALU_CYCLE_1)
	s_or_b32 exec_lo, exec_lo, s17
	s_mov_b32 s17, 0
	global_store_b8 v[4:5], v6, off
.LBB8_75:
	s_and_b32 vcc_lo, exec_lo, s17
	s_cbranch_vccz .LBB8_85
; %bb.76:
	s_wait_xcnt 0x0
	s_delay_alu instid0(VALU_DEP_4) | instskip(SKIP_1) | instid1(VALU_DEP_1)
	v_cvt_f32_f64_e32 v2, v[0:1]
	s_mov_b32 s17, exec_lo
                                        ; implicit-def: $vgpr3
	v_and_b32_e32 v6, 0x7fffffff, v2
	s_delay_alu instid0(VALU_DEP_1)
	v_cmpx_gt_u32_e32 0x43f00000, v6
	s_xor_b32 s17, exec_lo, s17
	s_cbranch_execz .LBB8_82
; %bb.77:
	s_mov_b32 s18, exec_lo
                                        ; implicit-def: $vgpr3
	v_cmpx_lt_u32_e32 0x3c7fffff, v6
	s_xor_b32 s18, exec_lo, s18
; %bb.78:
	v_bfe_u32 v3, v2, 20, 1
	s_delay_alu instid0(VALU_DEP_1) | instskip(NEXT) | instid1(VALU_DEP_1)
	v_add3_u32 v3, v2, v3, 0x407ffff
	v_and_b32_e32 v6, 0xff00000, v3
	v_lshrrev_b32_e32 v3, 20, v3
	s_delay_alu instid0(VALU_DEP_2) | instskip(NEXT) | instid1(VALU_DEP_2)
	v_cmp_ne_u32_e32 vcc_lo, 0x7f00000, v6
	v_cndmask_b32_e32 v3, 0x7e, v3, vcc_lo
; %bb.79:
	s_and_not1_saveexec_b32 s18, s18
; %bb.80:
	v_add_f32_e64 v3, 0x46800000, |v2|
; %bb.81:
	s_or_b32 exec_lo, exec_lo, s18
                                        ; implicit-def: $vgpr6
.LBB8_82:
	s_and_not1_saveexec_b32 s17, s17
; %bb.83:
	v_mov_b32_e32 v3, 0x7f
	v_cmp_lt_u32_e32 vcc_lo, 0x7f800000, v6
	s_delay_alu instid0(VALU_DEP_2)
	v_cndmask_b32_e32 v3, 0x7e, v3, vcc_lo
; %bb.84:
	s_or_b32 exec_lo, exec_lo, s17
	v_lshrrev_b32_e32 v2, 24, v2
	s_delay_alu instid0(VALU_DEP_1)
	v_and_or_b32 v2, 0x80, v2, v3
	global_store_b8 v[4:5], v2, off
.LBB8_85:
	s_mov_b32 s17, 0
.LBB8_86:
	s_delay_alu instid0(SALU_CYCLE_1)
	s_and_not1_b32 vcc_lo, exec_lo, s17
	s_cbranch_vccnz .LBB8_96
; %bb.87:
	s_wait_xcnt 0x0
	s_delay_alu instid0(VALU_DEP_4) | instskip(SKIP_1) | instid1(VALU_DEP_1)
	v_cvt_f32_f64_e32 v2, v[0:1]
	s_mov_b32 s17, exec_lo
                                        ; implicit-def: $vgpr3
	v_and_b32_e32 v6, 0x7fffffff, v2
	s_delay_alu instid0(VALU_DEP_1)
	v_cmpx_gt_u32_e32 0x47800000, v6
	s_xor_b32 s17, exec_lo, s17
	s_cbranch_execz .LBB8_93
; %bb.88:
	s_mov_b32 s18, exec_lo
                                        ; implicit-def: $vgpr3
	v_cmpx_lt_u32_e32 0x387fffff, v6
	s_xor_b32 s18, exec_lo, s18
; %bb.89:
	v_bfe_u32 v3, v2, 21, 1
	s_delay_alu instid0(VALU_DEP_1) | instskip(NEXT) | instid1(VALU_DEP_1)
	v_add3_u32 v3, v2, v3, 0x80fffff
	v_lshrrev_b32_e32 v3, 21, v3
; %bb.90:
	s_and_not1_saveexec_b32 s18, s18
; %bb.91:
	v_add_f32_e64 v3, 0x43000000, |v2|
; %bb.92:
	s_or_b32 exec_lo, exec_lo, s18
                                        ; implicit-def: $vgpr6
.LBB8_93:
	s_and_not1_saveexec_b32 s17, s17
; %bb.94:
	v_mov_b32_e32 v3, 0x7f
	v_cmp_lt_u32_e32 vcc_lo, 0x7f800000, v6
	s_delay_alu instid0(VALU_DEP_2)
	v_cndmask_b32_e32 v3, 0x7c, v3, vcc_lo
; %bb.95:
	s_or_b32 exec_lo, exec_lo, s17
	v_lshrrev_b32_e32 v2, 24, v2
	s_delay_alu instid0(VALU_DEP_1)
	v_and_or_b32 v2, 0x80, v2, v3
	global_store_b8 v[4:5], v2, off
.LBB8_96:
	s_mov_b32 s18, 0
	s_mov_b32 s17, -1
.LBB8_97:
	s_and_not1_b32 vcc_lo, exec_lo, s18
	s_cbranch_vccnz .LBB8_105
; %bb.98:
	s_cmp_gt_i32 s16, 14
	s_mov_b32 s18, -1
	s_cbranch_scc0 .LBB8_102
; %bb.99:
	s_cmp_eq_u32 s16, 15
	s_mov_b32 s0, -1
	s_cbranch_scc0 .LBB8_101
; %bb.100:
	s_wait_xcnt 0x0
	s_delay_alu instid0(VALU_DEP_4) | instskip(SKIP_2) | instid1(VALU_DEP_1)
	v_cvt_f32_f64_e32 v2, v[0:1]
	s_mov_b32 s17, -1
	s_mov_b32 s0, 0
	v_bfe_u32 v3, v2, 16, 1
	v_cmp_o_f32_e32 vcc_lo, v2, v2
	s_delay_alu instid0(VALU_DEP_2) | instskip(NEXT) | instid1(VALU_DEP_1)
	v_add3_u32 v3, v2, v3, 0x7fff
	v_lshrrev_b32_e32 v3, 16, v3
	s_delay_alu instid0(VALU_DEP_1)
	v_cndmask_b32_e32 v2, 0x7fc0, v3, vcc_lo
	global_store_b16 v[4:5], v2, off
.LBB8_101:
	s_mov_b32 s18, 0
.LBB8_102:
	s_delay_alu instid0(SALU_CYCLE_1)
	s_and_b32 vcc_lo, exec_lo, s18
	s_cbranch_vccz .LBB8_105
; %bb.103:
	s_cmp_eq_u32 s16, 11
	s_mov_b32 s0, -1
	s_cbranch_scc0 .LBB8_105
; %bb.104:
	s_delay_alu instid0(VALU_DEP_4)
	v_cmp_neq_f64_e32 vcc_lo, 0, v[0:1]
	s_mov_b32 s17, -1
	s_mov_b32 s0, 0
	s_wait_xcnt 0x0
	v_cndmask_b32_e64 v2, 0, 1, vcc_lo
	global_store_b8 v[4:5], v2, off
.LBB8_105:
	s_branch .LBB8_24
.LBB8_106:
	s_and_b32 s11, 0xffff, s11
	s_mov_b32 s16, -1
	s_cmp_lt_i32 s11, 5
	s_cbranch_scc1 .LBB8_127
; %bb.107:
	s_cmp_lt_i32 s11, 8
	s_cbranch_scc1 .LBB8_117
; %bb.108:
	;; [unrolled: 3-line block ×3, first 2 shown]
	s_cmp_gt_i32 s11, 9
	s_cbranch_scc0 .LBB8_111
; %bb.110:
	s_wait_xcnt 0x0
	v_mov_b32_e32 v2, 0
	s_mov_b32 s16, 0
	s_delay_alu instid0(VALU_DEP_1)
	v_mov_b32_e32 v3, v2
	global_store_b128 v[4:5], v[0:3], off
.LBB8_111:
	s_and_not1_b32 vcc_lo, exec_lo, s16
	s_cbranch_vccnz .LBB8_113
; %bb.112:
	s_wait_xcnt 0x0
	s_delay_alu instid0(VALU_DEP_4)
	v_cvt_f32_f64_e32 v2, v[0:1]
	v_mov_b32_e32 v3, 0
	global_store_b64 v[4:5], v[2:3], off
.LBB8_113:
	s_mov_b32 s16, 0
.LBB8_114:
	s_delay_alu instid0(SALU_CYCLE_1)
	s_and_not1_b32 vcc_lo, exec_lo, s16
	s_cbranch_vccnz .LBB8_116
; %bb.115:
	s_wait_xcnt 0x0
	s_delay_alu instid0(VALU_DEP_4) | instskip(SKIP_2) | instid1(VALU_DEP_3)
	v_and_or_b32 v2, 0x1ff, v1, v0
	v_lshrrev_b32_e32 v3, 8, v1
	v_bfe_u32 v6, v1, 20, 11
	v_cmp_ne_u32_e32 vcc_lo, 0, v2
	s_delay_alu instid0(VALU_DEP_2) | instskip(SKIP_1) | instid1(VALU_DEP_1)
	v_sub_nc_u32_e32 v7, 0x3f1, v6
	v_cndmask_b32_e64 v2, 0, 1, vcc_lo
	v_and_or_b32 v2, 0xffe, v3, v2
	s_delay_alu instid0(VALU_DEP_3) | instskip(NEXT) | instid1(VALU_DEP_2)
	v_med3_i32 v3, v7, 0, 13
	v_or_b32_e32 v7, 0x1000, v2
	s_delay_alu instid0(VALU_DEP_1) | instskip(NEXT) | instid1(VALU_DEP_1)
	v_lshrrev_b32_e32 v8, v3, v7
	v_lshlrev_b32_e32 v3, v3, v8
	s_delay_alu instid0(VALU_DEP_1) | instskip(SKIP_1) | instid1(VALU_DEP_1)
	v_cmp_ne_u32_e32 vcc_lo, v3, v7
	v_cndmask_b32_e64 v3, 0, 1, vcc_lo
	v_or_b32_e32 v3, v8, v3
	v_add_nc_u32_e32 v6, 0xfffffc10, v6
	s_delay_alu instid0(VALU_DEP_1) | instskip(SKIP_1) | instid1(VALU_DEP_2)
	v_lshl_or_b32 v7, v6, 12, v2
	v_cmp_gt_i32_e32 vcc_lo, 1, v6
	v_cndmask_b32_e32 v3, v7, v3, vcc_lo
	s_delay_alu instid0(VALU_DEP_1) | instskip(NEXT) | instid1(VALU_DEP_1)
	v_dual_lshrrev_b32 v3, 2, v3 :: v_dual_bitop2_b32 v7, 7, v3 bitop3:0x40
	v_cmp_lt_i32_e32 vcc_lo, 5, v7
	v_cndmask_b32_e64 v8, 0, 1, vcc_lo
	v_cmp_eq_u32_e32 vcc_lo, 3, v7
	v_cndmask_b32_e64 v7, 0, 1, vcc_lo
	v_cmp_ne_u32_e32 vcc_lo, 0, v2
	s_delay_alu instid0(VALU_DEP_2) | instskip(NEXT) | instid1(VALU_DEP_1)
	v_or_b32_e32 v7, v7, v8
	v_dual_mov_b32 v8, 0x7e00 :: v_dual_add_nc_u32 v3, v3, v7
	s_delay_alu instid0(VALU_DEP_1) | instskip(SKIP_2) | instid1(VALU_DEP_4)
	v_cndmask_b32_e32 v2, 0x7c00, v8, vcc_lo
	v_cmp_gt_i32_e32 vcc_lo, 31, v6
	v_lshrrev_b32_e32 v7, 16, v1
	v_cndmask_b32_e32 v3, 0x7c00, v3, vcc_lo
	v_cmp_eq_u32_e32 vcc_lo, 0x40f, v6
	s_delay_alu instid0(VALU_DEP_2) | instskip(NEXT) | instid1(VALU_DEP_4)
	v_cndmask_b32_e32 v2, v3, v2, vcc_lo
	v_and_b32_e32 v3, 0x8000, v7
	s_delay_alu instid0(VALU_DEP_1)
	v_bitop3_b32 v2, v3, 0xffff, v2 bitop3:0xc8
	global_store_b32 v[4:5], v2, off
.LBB8_116:
	s_mov_b32 s16, 0
.LBB8_117:
	s_delay_alu instid0(SALU_CYCLE_1)
	s_and_not1_b32 vcc_lo, exec_lo, s16
	s_cbranch_vccnz .LBB8_126
; %bb.118:
	s_cmp_lt_i32 s11, 6
	s_mov_b32 s16, -1
	s_cbranch_scc1 .LBB8_124
; %bb.119:
	s_cmp_gt_i32 s11, 6
	s_cbranch_scc0 .LBB8_121
; %bb.120:
	s_mov_b32 s16, 0
	global_store_b64 v[4:5], v[0:1], off
.LBB8_121:
	s_and_not1_b32 vcc_lo, exec_lo, s16
	s_cbranch_vccnz .LBB8_123
; %bb.122:
	s_wait_xcnt 0x0
	s_delay_alu instid0(VALU_DEP_4)
	v_cvt_f32_f64_e32 v2, v[0:1]
	global_store_b32 v[4:5], v2, off
.LBB8_123:
	s_mov_b32 s16, 0
.LBB8_124:
	s_delay_alu instid0(SALU_CYCLE_1)
	s_and_not1_b32 vcc_lo, exec_lo, s16
	s_cbranch_vccnz .LBB8_126
; %bb.125:
	s_wait_xcnt 0x0
	s_delay_alu instid0(VALU_DEP_4) | instskip(SKIP_2) | instid1(VALU_DEP_3)
	v_and_or_b32 v2, 0x1ff, v1, v0
	v_lshrrev_b32_e32 v3, 8, v1
	v_bfe_u32 v6, v1, 20, 11
	v_cmp_ne_u32_e32 vcc_lo, 0, v2
	s_delay_alu instid0(VALU_DEP_2) | instskip(SKIP_1) | instid1(VALU_DEP_1)
	v_sub_nc_u32_e32 v7, 0x3f1, v6
	v_cndmask_b32_e64 v2, 0, 1, vcc_lo
	v_and_or_b32 v2, 0xffe, v3, v2
	s_delay_alu instid0(VALU_DEP_3) | instskip(NEXT) | instid1(VALU_DEP_2)
	v_med3_i32 v3, v7, 0, 13
	v_or_b32_e32 v7, 0x1000, v2
	s_delay_alu instid0(VALU_DEP_1) | instskip(NEXT) | instid1(VALU_DEP_1)
	v_lshrrev_b32_e32 v8, v3, v7
	v_lshlrev_b32_e32 v3, v3, v8
	s_delay_alu instid0(VALU_DEP_1) | instskip(SKIP_1) | instid1(VALU_DEP_1)
	v_cmp_ne_u32_e32 vcc_lo, v3, v7
	v_cndmask_b32_e64 v3, 0, 1, vcc_lo
	v_or_b32_e32 v3, v8, v3
	v_add_nc_u32_e32 v6, 0xfffffc10, v6
	s_delay_alu instid0(VALU_DEP_1) | instskip(SKIP_1) | instid1(VALU_DEP_2)
	v_lshl_or_b32 v7, v6, 12, v2
	v_cmp_gt_i32_e32 vcc_lo, 1, v6
	v_cndmask_b32_e32 v3, v7, v3, vcc_lo
	s_delay_alu instid0(VALU_DEP_1) | instskip(NEXT) | instid1(VALU_DEP_1)
	v_dual_lshrrev_b32 v3, 2, v3 :: v_dual_bitop2_b32 v7, 7, v3 bitop3:0x40
	v_cmp_lt_i32_e32 vcc_lo, 5, v7
	v_cndmask_b32_e64 v8, 0, 1, vcc_lo
	v_cmp_eq_u32_e32 vcc_lo, 3, v7
	v_cndmask_b32_e64 v7, 0, 1, vcc_lo
	v_cmp_ne_u32_e32 vcc_lo, 0, v2
	s_delay_alu instid0(VALU_DEP_2) | instskip(NEXT) | instid1(VALU_DEP_1)
	v_or_b32_e32 v7, v7, v8
	v_dual_mov_b32 v8, 0x7e00 :: v_dual_add_nc_u32 v3, v3, v7
	s_delay_alu instid0(VALU_DEP_1) | instskip(SKIP_1) | instid1(VALU_DEP_3)
	v_cndmask_b32_e32 v2, 0x7c00, v8, vcc_lo
	v_cmp_gt_i32_e32 vcc_lo, 31, v6
	v_cndmask_b32_e32 v3, 0x7c00, v3, vcc_lo
	v_cmp_eq_u32_e32 vcc_lo, 0x40f, v6
	s_delay_alu instid0(VALU_DEP_2) | instskip(NEXT) | instid1(VALU_DEP_1)
	v_dual_cndmask_b32 v2, v3, v2 :: v_dual_lshrrev_b32 v3, 16, v1
	v_and_or_b32 v2, 0x8000, v3, v2
	global_store_b16 v[4:5], v2, off
.LBB8_126:
	s_mov_b32 s16, 0
.LBB8_127:
	s_delay_alu instid0(SALU_CYCLE_1)
	s_and_not1_b32 vcc_lo, exec_lo, s16
	s_cbranch_vccnz .LBB8_143
; %bb.128:
	s_cmp_lt_i32 s11, 2
	s_mov_b32 s16, -1
	s_cbranch_scc1 .LBB8_138
; %bb.129:
	s_cmp_lt_i32 s11, 3
	s_cbranch_scc1 .LBB8_135
; %bb.130:
	s_cmp_gt_i32 s11, 3
	s_cbranch_scc0 .LBB8_132
; %bb.131:
	s_wait_xcnt 0x0
	s_delay_alu instid0(VALU_DEP_4) | instskip(SKIP_1) | instid1(VALU_DEP_1)
	v_trunc_f64_e32 v[2:3], v[0:1]
	s_mov_b32 s16, 0
	v_ldexp_f64 v[6:7], v[2:3], 0xffffffe0
	s_delay_alu instid0(VALU_DEP_1) | instskip(NEXT) | instid1(VALU_DEP_1)
	v_floor_f64_e32 v[6:7], v[6:7]
	v_fmamk_f64 v[2:3], v[6:7], 0xc1f00000, v[2:3]
	v_cvt_i32_f64_e32 v7, v[6:7]
	s_delay_alu instid0(VALU_DEP_2)
	v_cvt_u32_f64_e32 v6, v[2:3]
	global_store_b64 v[4:5], v[6:7], off
.LBB8_132:
	s_and_not1_b32 vcc_lo, exec_lo, s16
	s_cbranch_vccnz .LBB8_134
; %bb.133:
	s_wait_xcnt 0x0
	s_delay_alu instid0(VALU_DEP_4)
	v_cvt_i32_f64_e32 v2, v[0:1]
	global_store_b32 v[4:5], v2, off
.LBB8_134:
	s_mov_b32 s16, 0
.LBB8_135:
	s_delay_alu instid0(SALU_CYCLE_1)
	s_and_not1_b32 vcc_lo, exec_lo, s16
	s_cbranch_vccnz .LBB8_137
; %bb.136:
	s_wait_xcnt 0x0
	s_delay_alu instid0(VALU_DEP_4)
	v_cvt_i32_f64_e32 v2, v[0:1]
	global_store_b16 v[4:5], v2, off
.LBB8_137:
	s_mov_b32 s16, 0
.LBB8_138:
	s_delay_alu instid0(SALU_CYCLE_1)
	s_and_not1_b32 vcc_lo, exec_lo, s16
	s_cbranch_vccnz .LBB8_143
; %bb.139:
	s_cmp_gt_i32 s11, 0
	s_mov_b32 s11, -1
	s_cbranch_scc0 .LBB8_141
; %bb.140:
	s_wait_xcnt 0x0
	s_delay_alu instid0(VALU_DEP_4)
	v_cvt_i32_f64_e32 v2, v[0:1]
	s_mov_b32 s11, 0
	global_store_b8 v[4:5], v2, off
.LBB8_141:
	s_and_not1_b32 vcc_lo, exec_lo, s11
	s_cbranch_vccnz .LBB8_143
; %bb.142:
	s_wait_xcnt 0x0
	s_delay_alu instid0(VALU_DEP_4) | instskip(NEXT) | instid1(VALU_DEP_1)
	v_trunc_f64_e32 v[0:1], v[0:1]
	v_ldexp_f64 v[2:3], v[0:1], 0xffffffe0
	s_delay_alu instid0(VALU_DEP_1) | instskip(NEXT) | instid1(VALU_DEP_1)
	v_floor_f64_e32 v[2:3], v[2:3]
	v_fmamk_f64 v[0:1], v[2:3], 0xc1f00000, v[0:1]
	s_delay_alu instid0(VALU_DEP_1)
	v_cvt_u32_f64_e32 v0, v[0:1]
	global_store_b8 v[4:5], v0, off
.LBB8_143:
.LBB8_144:
	v_add_nc_u32_e32 v14, 0x80, v14
	s_mov_b32 s16, -1
	s_branch .LBB8_255
.LBB8_145:
	s_mov_b32 s13, -1
                                        ; implicit-def: $vgpr2_vgpr3
.LBB8_146:
	s_mov_b32 s16, 0
.LBB8_147:
	s_delay_alu instid0(SALU_CYCLE_1)
	s_and_b32 vcc_lo, exec_lo, s16
	s_cbranch_vccz .LBB8_151
; %bb.148:
	s_cmp_eq_u32 s0, 29
	s_cbranch_scc0 .LBB8_150
; %bb.149:
	global_load_b64 v[2:3], v[0:1], off
	s_mov_b32 s11, -1
	s_mov_b32 s13, 0
	s_mov_b32 s16, 0
	s_wait_loadcnt 0x0
	v_cvt_f64_u32_e32 v[4:5], v3
	v_cvt_f64_u32_e32 v[2:3], v2
	s_delay_alu instid0(VALU_DEP_2) | instskip(NEXT) | instid1(VALU_DEP_1)
	v_ldexp_f64 v[4:5], v[4:5], 32
	v_add_f64_e32 v[2:3], v[4:5], v[2:3]
	s_branch .LBB8_152
.LBB8_150:
	s_mov_b32 s13, -1
                                        ; implicit-def: $vgpr2_vgpr3
.LBB8_151:
	s_mov_b32 s16, 0
.LBB8_152:
	s_delay_alu instid0(SALU_CYCLE_1)
	s_and_b32 vcc_lo, exec_lo, s16
	s_cbranch_vccz .LBB8_170
; %bb.153:
	s_cmp_lt_i32 s0, 27
	s_cbranch_scc1 .LBB8_156
; %bb.154:
	s_cmp_gt_i32 s0, 27
	s_cbranch_scc0 .LBB8_157
; %bb.155:
	global_load_b32 v2, v[0:1], off
	s_mov_b32 s11, 0
	s_wait_loadcnt 0x0
	v_cvt_f64_u32_e32 v[2:3], v2
	s_branch .LBB8_158
.LBB8_156:
	s_mov_b32 s11, -1
                                        ; implicit-def: $vgpr2_vgpr3
	s_branch .LBB8_161
.LBB8_157:
	s_mov_b32 s11, -1
                                        ; implicit-def: $vgpr2_vgpr3
.LBB8_158:
	s_delay_alu instid0(SALU_CYCLE_1)
	s_and_not1_b32 vcc_lo, exec_lo, s11
	s_cbranch_vccnz .LBB8_160
; %bb.159:
	global_load_u16 v2, v[0:1], off
	s_wait_loadcnt 0x0
	v_cvt_f64_u32_e32 v[2:3], v2
.LBB8_160:
	s_mov_b32 s11, 0
.LBB8_161:
	s_delay_alu instid0(SALU_CYCLE_1)
	s_and_not1_b32 vcc_lo, exec_lo, s11
	s_cbranch_vccnz .LBB8_169
; %bb.162:
	global_load_u8 v4, v[0:1], off
	s_mov_b32 s11, 0
	s_mov_b32 s16, exec_lo
	s_wait_loadcnt 0x0
	v_cmpx_lt_i16_e32 0x7f, v4
	s_xor_b32 s16, exec_lo, s16
	s_cbranch_execz .LBB8_182
; %bb.163:
	s_mov_b32 s11, -1
	s_mov_b32 s17, exec_lo
	v_cmpx_eq_u16_e32 0x80, v4
; %bb.164:
	s_xor_b32 s11, exec_lo, -1
; %bb.165:
	s_or_b32 exec_lo, exec_lo, s17
	s_delay_alu instid0(SALU_CYCLE_1)
	s_and_b32 s11, s11, exec_lo
	s_or_saveexec_b32 s16, s16
	v_mov_b64_e32 v[2:3], 0x7ff8000020000000
	s_xor_b32 exec_lo, exec_lo, s16
	s_cbranch_execnz .LBB8_183
.LBB8_166:
	s_or_b32 exec_lo, exec_lo, s16
	s_and_saveexec_b32 s16, s11
	s_cbranch_execz .LBB8_168
.LBB8_167:
	v_and_b32_e32 v2, 0xffff, v4
	s_delay_alu instid0(VALU_DEP_1) | instskip(SKIP_1) | instid1(VALU_DEP_2)
	v_and_b32_e32 v3, 7, v2
	v_bfe_u32 v7, v2, 3, 4
	v_clz_i32_u32_e32 v5, v3
	s_delay_alu instid0(VALU_DEP_2) | instskip(NEXT) | instid1(VALU_DEP_2)
	v_cmp_eq_u32_e32 vcc_lo, 0, v7
	v_min_u32_e32 v5, 32, v5
	s_delay_alu instid0(VALU_DEP_1) | instskip(NEXT) | instid1(VALU_DEP_1)
	v_subrev_nc_u32_e32 v6, 28, v5
	v_dual_lshlrev_b32 v2, v6, v2 :: v_dual_sub_nc_u32 v5, 29, v5
	s_delay_alu instid0(VALU_DEP_1) | instskip(NEXT) | instid1(VALU_DEP_2)
	v_dual_lshlrev_b32 v4, 24, v4 :: v_dual_bitop2_b32 v2, 7, v2 bitop3:0x40
	v_cndmask_b32_e32 v5, v7, v5, vcc_lo
	s_delay_alu instid0(VALU_DEP_2) | instskip(NEXT) | instid1(VALU_DEP_3)
	v_cndmask_b32_e32 v2, v3, v2, vcc_lo
	v_and_b32_e32 v3, 0x80000000, v4
	s_delay_alu instid0(VALU_DEP_3) | instskip(NEXT) | instid1(VALU_DEP_3)
	v_lshl_add_u32 v4, v5, 23, 0x3b800000
	v_lshlrev_b32_e32 v2, 20, v2
	s_delay_alu instid0(VALU_DEP_1) | instskip(NEXT) | instid1(VALU_DEP_1)
	v_or3_b32 v2, v3, v4, v2
	v_cvt_f64_f32_e32 v[2:3], v2
.LBB8_168:
	s_or_b32 exec_lo, exec_lo, s16
.LBB8_169:
	s_mov_b32 s11, -1
.LBB8_170:
	s_branch .LBB8_205
.LBB8_171:
	s_cmp_gt_i32 s0, 22
	s_cbranch_scc0 .LBB8_181
; %bb.172:
	s_cmp_lt_i32 s0, 24
	s_cbranch_scc1 .LBB8_184
; %bb.173:
	s_cmp_gt_i32 s0, 24
	s_cbranch_scc0 .LBB8_185
; %bb.174:
	global_load_u8 v4, v[0:1], off
	s_mov_b32 s11, 0
	s_mov_b32 s16, exec_lo
	s_wait_loadcnt 0x0
	v_cmpx_lt_i16_e32 0x7f, v4
	s_xor_b32 s16, exec_lo, s16
	s_cbranch_execz .LBB8_197
; %bb.175:
	s_mov_b32 s11, -1
	s_mov_b32 s17, exec_lo
	v_cmpx_eq_u16_e32 0x80, v4
; %bb.176:
	s_xor_b32 s11, exec_lo, -1
; %bb.177:
	s_or_b32 exec_lo, exec_lo, s17
	s_delay_alu instid0(SALU_CYCLE_1)
	s_and_b32 s11, s11, exec_lo
	s_or_saveexec_b32 s16, s16
	v_mov_b64_e32 v[2:3], 0x7ff8000020000000
	s_xor_b32 exec_lo, exec_lo, s16
	s_cbranch_execnz .LBB8_198
.LBB8_178:
	s_or_b32 exec_lo, exec_lo, s16
	s_and_saveexec_b32 s16, s11
	s_cbranch_execz .LBB8_180
.LBB8_179:
	v_and_b32_e32 v2, 0xffff, v4
	s_delay_alu instid0(VALU_DEP_1) | instskip(SKIP_1) | instid1(VALU_DEP_2)
	v_and_b32_e32 v3, 3, v2
	v_bfe_u32 v7, v2, 2, 5
	v_clz_i32_u32_e32 v5, v3
	s_delay_alu instid0(VALU_DEP_2) | instskip(NEXT) | instid1(VALU_DEP_2)
	v_cmp_eq_u32_e32 vcc_lo, 0, v7
	v_min_u32_e32 v5, 32, v5
	s_delay_alu instid0(VALU_DEP_1) | instskip(NEXT) | instid1(VALU_DEP_1)
	v_subrev_nc_u32_e32 v6, 29, v5
	v_dual_lshlrev_b32 v2, v6, v2 :: v_dual_sub_nc_u32 v5, 30, v5
	s_delay_alu instid0(VALU_DEP_1) | instskip(NEXT) | instid1(VALU_DEP_2)
	v_dual_lshlrev_b32 v4, 24, v4 :: v_dual_bitop2_b32 v2, 3, v2 bitop3:0x40
	v_cndmask_b32_e32 v5, v7, v5, vcc_lo
	s_delay_alu instid0(VALU_DEP_2) | instskip(NEXT) | instid1(VALU_DEP_3)
	v_cndmask_b32_e32 v2, v3, v2, vcc_lo
	v_and_b32_e32 v3, 0x80000000, v4
	s_delay_alu instid0(VALU_DEP_3) | instskip(NEXT) | instid1(VALU_DEP_3)
	v_lshl_add_u32 v4, v5, 23, 0x37800000
	v_lshlrev_b32_e32 v2, 21, v2
	s_delay_alu instid0(VALU_DEP_1) | instskip(NEXT) | instid1(VALU_DEP_1)
	v_or3_b32 v2, v3, v4, v2
	v_cvt_f64_f32_e32 v[2:3], v2
.LBB8_180:
	s_or_b32 exec_lo, exec_lo, s16
	s_mov_b32 s11, 0
	s_branch .LBB8_186
.LBB8_181:
	s_mov_b32 s16, -1
                                        ; implicit-def: $vgpr2_vgpr3
	s_branch .LBB8_192
.LBB8_182:
	s_or_saveexec_b32 s16, s16
	v_mov_b64_e32 v[2:3], 0x7ff8000020000000
	s_xor_b32 exec_lo, exec_lo, s16
	s_cbranch_execz .LBB8_166
.LBB8_183:
	v_cmp_ne_u16_e32 vcc_lo, 0, v4
	v_mov_b64_e32 v[2:3], 0
	s_and_not1_b32 s11, s11, exec_lo
	s_and_b32 s17, vcc_lo, exec_lo
	s_delay_alu instid0(SALU_CYCLE_1)
	s_or_b32 s11, s11, s17
	s_or_b32 exec_lo, exec_lo, s16
	s_and_saveexec_b32 s16, s11
	s_cbranch_execnz .LBB8_167
	s_branch .LBB8_168
.LBB8_184:
	s_mov_b32 s11, -1
                                        ; implicit-def: $vgpr2_vgpr3
	s_branch .LBB8_189
.LBB8_185:
	s_mov_b32 s11, -1
                                        ; implicit-def: $vgpr2_vgpr3
.LBB8_186:
	s_delay_alu instid0(SALU_CYCLE_1)
	s_and_b32 vcc_lo, exec_lo, s11
	s_cbranch_vccz .LBB8_188
; %bb.187:
	global_load_u8 v2, v[0:1], off
	s_wait_loadcnt 0x0
	v_lshlrev_b32_e32 v2, 24, v2
	s_delay_alu instid0(VALU_DEP_1) | instskip(NEXT) | instid1(VALU_DEP_1)
	v_and_b32_e32 v3, 0x7f000000, v2
	v_clz_i32_u32_e32 v4, v3
	v_cmp_ne_u32_e32 vcc_lo, 0, v3
	v_add_nc_u32_e32 v6, 0x1000000, v3
	s_delay_alu instid0(VALU_DEP_3) | instskip(NEXT) | instid1(VALU_DEP_1)
	v_min_u32_e32 v4, 32, v4
	v_sub_nc_u32_e64 v4, v4, 4 clamp
	s_delay_alu instid0(VALU_DEP_1) | instskip(NEXT) | instid1(VALU_DEP_1)
	v_dual_lshlrev_b32 v5, v4, v3 :: v_dual_lshlrev_b32 v4, 23, v4
	v_lshrrev_b32_e32 v5, 4, v5
	s_delay_alu instid0(VALU_DEP_1) | instskip(NEXT) | instid1(VALU_DEP_1)
	v_dual_sub_nc_u32 v4, v5, v4 :: v_dual_ashrrev_i32 v5, 8, v6
	v_add_nc_u32_e32 v4, 0x3c000000, v4
	s_delay_alu instid0(VALU_DEP_1) | instskip(NEXT) | instid1(VALU_DEP_1)
	v_and_or_b32 v4, 0x7f800000, v5, v4
	v_cndmask_b32_e32 v3, 0, v4, vcc_lo
	s_delay_alu instid0(VALU_DEP_1) | instskip(NEXT) | instid1(VALU_DEP_1)
	v_and_or_b32 v2, 0x80000000, v2, v3
	v_cvt_f64_f32_e32 v[2:3], v2
.LBB8_188:
	s_mov_b32 s11, 0
.LBB8_189:
	s_delay_alu instid0(SALU_CYCLE_1)
	s_and_not1_b32 vcc_lo, exec_lo, s11
	s_cbranch_vccnz .LBB8_191
; %bb.190:
	global_load_u8 v2, v[0:1], off
	s_wait_loadcnt 0x0
	v_lshlrev_b32_e32 v3, 25, v2
	v_lshlrev_b16 v2, 8, v2
	s_delay_alu instid0(VALU_DEP_1) | instskip(SKIP_1) | instid1(VALU_DEP_2)
	v_and_or_b32 v5, 0x7f00, v2, 0.5
	v_bfe_i32 v2, v2, 0, 16
	v_dual_add_f32 v5, -0.5, v5 :: v_dual_lshrrev_b32 v4, 4, v3
	v_cmp_gt_u32_e32 vcc_lo, 0x8000000, v3
	s_delay_alu instid0(VALU_DEP_2) | instskip(NEXT) | instid1(VALU_DEP_1)
	v_or_b32_e32 v4, 0x70000000, v4
	v_mul_f32_e32 v4, 0x7800000, v4
	s_delay_alu instid0(VALU_DEP_1) | instskip(NEXT) | instid1(VALU_DEP_1)
	v_cndmask_b32_e32 v3, v4, v5, vcc_lo
	v_and_or_b32 v2, 0x80000000, v2, v3
	s_delay_alu instid0(VALU_DEP_1)
	v_cvt_f64_f32_e32 v[2:3], v2
.LBB8_191:
	s_mov_b32 s16, 0
	s_mov_b32 s11, -1
.LBB8_192:
	s_and_not1_b32 vcc_lo, exec_lo, s16
	s_cbranch_vccnz .LBB8_205
; %bb.193:
	s_cmp_gt_i32 s0, 14
	s_cbranch_scc0 .LBB8_196
; %bb.194:
	s_cmp_eq_u32 s0, 15
	s_cbranch_scc0 .LBB8_199
; %bb.195:
	global_load_u16 v2, v[0:1], off
	s_mov_b32 s11, -1
	s_mov_b32 s13, 0
	s_wait_loadcnt 0x0
	v_lshlrev_b32_e32 v2, 16, v2
	s_delay_alu instid0(VALU_DEP_1)
	v_cvt_f64_f32_e32 v[2:3], v2
	s_branch .LBB8_200
.LBB8_196:
	s_mov_b32 s16, -1
                                        ; implicit-def: $vgpr2_vgpr3
	s_branch .LBB8_201
.LBB8_197:
	s_or_saveexec_b32 s16, s16
	v_mov_b64_e32 v[2:3], 0x7ff8000020000000
	s_xor_b32 exec_lo, exec_lo, s16
	s_cbranch_execz .LBB8_178
.LBB8_198:
	v_cmp_ne_u16_e32 vcc_lo, 0, v4
	v_mov_b64_e32 v[2:3], 0
	s_and_not1_b32 s11, s11, exec_lo
	s_and_b32 s17, vcc_lo, exec_lo
	s_delay_alu instid0(SALU_CYCLE_1)
	s_or_b32 s11, s11, s17
	s_or_b32 exec_lo, exec_lo, s16
	s_and_saveexec_b32 s16, s11
	s_cbranch_execnz .LBB8_179
	s_branch .LBB8_180
.LBB8_199:
	s_mov_b32 s13, -1
                                        ; implicit-def: $vgpr2_vgpr3
.LBB8_200:
	s_mov_b32 s16, 0
.LBB8_201:
	s_delay_alu instid0(SALU_CYCLE_1)
	s_and_b32 vcc_lo, exec_lo, s16
	s_cbranch_vccz .LBB8_205
; %bb.202:
	s_cmp_eq_u32 s0, 11
	s_cbranch_scc0 .LBB8_204
; %bb.203:
	global_load_u8 v2, v[0:1], off
	s_mov_b32 s13, 0
	s_mov_b32 s11, -1
	s_wait_loadcnt 0x0
	v_cmp_ne_u16_e32 vcc_lo, 0, v2
	v_mov_b32_e32 v2, 0
	v_cndmask_b32_e64 v3, 0, 0x3ff00000, vcc_lo
	s_branch .LBB8_205
.LBB8_204:
	s_mov_b32 s13, -1
                                        ; implicit-def: $vgpr2_vgpr3
.LBB8_205:
	s_branch .LBB8_10
.LBB8_206:
	s_cmp_lt_i32 s0, 5
	s_cbranch_scc1 .LBB8_211
; %bb.207:
	s_cmp_lt_i32 s0, 8
	s_cbranch_scc1 .LBB8_212
; %bb.208:
	;; [unrolled: 3-line block ×3, first 2 shown]
	s_cmp_gt_i32 s0, 9
	s_cbranch_scc0 .LBB8_214
; %bb.210:
	global_load_b64 v[2:3], v[0:1], off
	s_mov_b32 s11, 0
	s_branch .LBB8_215
.LBB8_211:
                                        ; implicit-def: $vgpr2_vgpr3
	s_branch .LBB8_233
.LBB8_212:
	s_mov_b32 s11, -1
                                        ; implicit-def: $vgpr2_vgpr3
	s_branch .LBB8_221
.LBB8_213:
	s_mov_b32 s11, -1
                                        ; implicit-def: $vgpr2_vgpr3
	s_branch .LBB8_218
.LBB8_214:
	s_mov_b32 s11, -1
                                        ; implicit-def: $vgpr2_vgpr3
.LBB8_215:
	s_delay_alu instid0(SALU_CYCLE_1)
	s_and_not1_b32 vcc_lo, exec_lo, s11
	s_cbranch_vccnz .LBB8_217
; %bb.216:
	s_wait_loadcnt 0x0
	global_load_b32 v2, v[0:1], off
	s_wait_loadcnt 0x0
	v_cvt_f64_f32_e32 v[2:3], v2
.LBB8_217:
	s_mov_b32 s11, 0
.LBB8_218:
	s_delay_alu instid0(SALU_CYCLE_1)
	s_and_not1_b32 vcc_lo, exec_lo, s11
	s_cbranch_vccnz .LBB8_220
; %bb.219:
	s_wait_loadcnt 0x0
	global_load_b32 v2, v[0:1], off
	s_wait_loadcnt 0x0
	v_cvt_f32_f16_e32 v2, v2
	s_delay_alu instid0(VALU_DEP_1)
	v_cvt_f64_f32_e32 v[2:3], v2
.LBB8_220:
	s_mov_b32 s11, 0
.LBB8_221:
	s_delay_alu instid0(SALU_CYCLE_1)
	s_and_not1_b32 vcc_lo, exec_lo, s11
	s_cbranch_vccnz .LBB8_232
; %bb.222:
	s_cmp_lt_i32 s0, 6
	s_cbranch_scc1 .LBB8_225
; %bb.223:
	s_cmp_gt_i32 s0, 6
	s_cbranch_scc0 .LBB8_226
; %bb.224:
	s_wait_loadcnt 0x0
	global_load_b64 v[2:3], v[0:1], off
	s_mov_b32 s11, 0
	s_branch .LBB8_227
.LBB8_225:
	s_mov_b32 s11, -1
                                        ; implicit-def: $vgpr2_vgpr3
	s_branch .LBB8_230
.LBB8_226:
	s_mov_b32 s11, -1
                                        ; implicit-def: $vgpr2_vgpr3
.LBB8_227:
	s_delay_alu instid0(SALU_CYCLE_1)
	s_and_not1_b32 vcc_lo, exec_lo, s11
	s_cbranch_vccnz .LBB8_229
; %bb.228:
	s_wait_loadcnt 0x0
	global_load_b32 v2, v[0:1], off
	s_wait_loadcnt 0x0
	v_cvt_f64_f32_e32 v[2:3], v2
.LBB8_229:
	s_mov_b32 s11, 0
.LBB8_230:
	s_delay_alu instid0(SALU_CYCLE_1)
	s_and_not1_b32 vcc_lo, exec_lo, s11
	s_cbranch_vccnz .LBB8_232
; %bb.231:
	s_wait_loadcnt 0x0
	global_load_u16 v2, v[0:1], off
	s_wait_loadcnt 0x0
	v_cvt_f32_f16_e32 v2, v2
	s_delay_alu instid0(VALU_DEP_1)
	v_cvt_f64_f32_e32 v[2:3], v2
.LBB8_232:
	s_cbranch_execnz .LBB8_252
.LBB8_233:
	s_cmp_lt_i32 s0, 2
	s_cbranch_scc1 .LBB8_237
; %bb.234:
	s_cmp_lt_i32 s0, 3
	s_cbranch_scc1 .LBB8_238
; %bb.235:
	s_cmp_gt_i32 s0, 3
	s_cbranch_scc0 .LBB8_239
; %bb.236:
	s_wait_loadcnt 0x0
	global_load_b64 v[2:3], v[0:1], off
	s_mov_b32 s11, 0
	s_wait_loadcnt 0x0
	v_cvt_f64_i32_e32 v[4:5], v3
	v_cvt_f64_u32_e32 v[2:3], v2
	s_delay_alu instid0(VALU_DEP_2) | instskip(NEXT) | instid1(VALU_DEP_1)
	v_ldexp_f64 v[4:5], v[4:5], 32
	v_add_f64_e32 v[2:3], v[4:5], v[2:3]
	s_branch .LBB8_240
.LBB8_237:
	s_mov_b32 s11, -1
                                        ; implicit-def: $vgpr2_vgpr3
	s_branch .LBB8_246
.LBB8_238:
	s_mov_b32 s11, -1
                                        ; implicit-def: $vgpr2_vgpr3
	s_branch .LBB8_243
.LBB8_239:
	s_mov_b32 s11, -1
                                        ; implicit-def: $vgpr2_vgpr3
.LBB8_240:
	s_delay_alu instid0(SALU_CYCLE_1)
	s_and_not1_b32 vcc_lo, exec_lo, s11
	s_cbranch_vccnz .LBB8_242
; %bb.241:
	s_wait_loadcnt 0x0
	global_load_b32 v2, v[0:1], off
	s_wait_loadcnt 0x0
	v_cvt_f64_i32_e32 v[2:3], v2
.LBB8_242:
	s_mov_b32 s11, 0
.LBB8_243:
	s_delay_alu instid0(SALU_CYCLE_1)
	s_and_not1_b32 vcc_lo, exec_lo, s11
	s_cbranch_vccnz .LBB8_245
; %bb.244:
	s_wait_loadcnt 0x0
	global_load_i16 v2, v[0:1], off
	s_wait_loadcnt 0x0
	v_cvt_f64_i32_e32 v[2:3], v2
.LBB8_245:
	s_mov_b32 s11, 0
.LBB8_246:
	s_delay_alu instid0(SALU_CYCLE_1)
	s_and_not1_b32 vcc_lo, exec_lo, s11
	s_cbranch_vccnz .LBB8_252
; %bb.247:
	s_cmp_gt_i32 s0, 0
	s_mov_b32 s0, 0
	s_cbranch_scc0 .LBB8_249
; %bb.248:
	s_wait_loadcnt 0x0
	global_load_i8 v2, v[0:1], off
	s_wait_loadcnt 0x0
	v_cvt_f64_i32_e32 v[2:3], v2
	s_branch .LBB8_250
.LBB8_249:
	s_mov_b32 s0, -1
                                        ; implicit-def: $vgpr2_vgpr3
.LBB8_250:
	s_delay_alu instid0(SALU_CYCLE_1)
	s_and_not1_b32 vcc_lo, exec_lo, s0
	s_cbranch_vccnz .LBB8_252
; %bb.251:
	global_load_u8 v0, v[0:1], off
	s_wait_loadcnt 0x0
	v_cvt_f64_u32_e32 v[2:3], v0
.LBB8_252:
	s_branch .LBB8_11
.LBB8_253:
	s_mov_b32 s0, 0
.LBB8_254:
	s_mov_b32 s16, 0
                                        ; implicit-def: $vgpr14
.LBB8_255:
	s_and_b32 s11, s0, exec_lo
	s_and_b32 s13, s13, exec_lo
	s_or_not1_b32 s17, s16, exec_lo
.LBB8_256:
	s_wait_xcnt 0x0
	s_or_b32 exec_lo, exec_lo, s14
	s_mov_b32 s16, 0
	s_mov_b32 s0, 0
                                        ; implicit-def: $vgpr0_vgpr1
                                        ; implicit-def: $vgpr2_vgpr3
	s_and_saveexec_b32 s14, s17
	s_cbranch_execz .LBB8_265
; %bb.257:
	s_mov_b32 s0, -1
	s_mov_b32 s15, s13
	s_mov_b32 s16, s11
	s_mov_b32 s17, exec_lo
	v_cmpx_gt_i32_e64 s12, v14
	s_cbranch_execz .LBB8_523
; %bb.258:
	v_mul_lo_u32 v0, v14, s3
	s_and_b32 s0, 0xffff, s9
	s_delay_alu instid0(SALU_CYCLE_1) | instskip(NEXT) | instid1(VALU_DEP_1)
	s_cmp_lt_i32 s0, 11
	v_ashrrev_i32_e32 v1, 31, v0
	s_delay_alu instid0(VALU_DEP_1)
	v_add_nc_u64_e32 v[0:1], s[6:7], v[0:1]
	s_cbranch_scc1 .LBB8_268
; %bb.259:
	s_cmp_gt_i32 s0, 25
	s_cbranch_scc0 .LBB8_281
; %bb.260:
	s_cmp_gt_i32 s0, 28
	s_cbranch_scc0 .LBB8_283
	;; [unrolled: 3-line block ×4, first 2 shown]
; %bb.263:
	s_cmp_eq_u32 s0, 46
	s_mov_b32 s18, 0
	s_cbranch_scc0 .LBB8_293
; %bb.264:
	s_wait_loadcnt 0x0
	global_load_b32 v2, v[0:1], off
	s_mov_b32 s16, -1
	s_mov_b32 s15, 0
	s_wait_loadcnt 0x0
	v_lshlrev_b32_e32 v2, 16, v2
	s_delay_alu instid0(VALU_DEP_1)
	v_cvt_f64_f32_e32 v[2:3], v2
	s_branch .LBB8_295
.LBB8_265:
	s_or_b32 exec_lo, exec_lo, s14
	s_mov_b32 s12, 0
	s_and_saveexec_b32 s14, s13
	s_cbranch_execnz .LBB8_875
.LBB8_266:
	s_or_b32 exec_lo, exec_lo, s14
	s_and_saveexec_b32 s13, s15
	s_delay_alu instid0(SALU_CYCLE_1)
	s_xor_b32 s13, exec_lo, s13
	s_cbranch_execz .LBB8_876
.LBB8_267:
	s_wait_loadcnt 0x0
	global_load_u8 v2, v[0:1], off
	s_or_b32 s0, s0, exec_lo
	s_wait_loadcnt 0x0
	v_cmp_ne_u16_e32 vcc_lo, 0, v2
	v_mov_b32_e32 v2, 0
	v_cndmask_b32_e64 v3, 0, 0x3ff00000, vcc_lo
	s_wait_xcnt 0x0
	s_or_b32 exec_lo, exec_lo, s13
	s_and_saveexec_b32 s13, s16
	s_cbranch_execz .LBB8_922
	s_branch .LBB8_877
.LBB8_268:
	s_mov_b32 s16, 0
	s_mov_b32 s15, s13
                                        ; implicit-def: $vgpr2_vgpr3
	s_cbranch_execnz .LBB8_472
.LBB8_269:
	s_and_not1_b32 vcc_lo, exec_lo, s16
	s_cbranch_vccnz .LBB8_520
.LBB8_270:
	s_wait_loadcnt 0x0
	s_delay_alu instid0(VALU_DEP_1) | instskip(SKIP_2) | instid1(SALU_CYCLE_1)
	v_cmp_ge_f64_e64 s0, 0x40200000, |v[2:3]|
                                        ; implicit-def: $vgpr0_vgpr1
	s_wait_xcnt 0x0
	s_and_saveexec_b32 s16, s0
	s_xor_b32 s0, exec_lo, s16
	s_cbranch_execz .LBB8_272
; %bb.271:
	v_fma_f64 v[0:1], |v[2:3]|, 0.5, -2.0
	s_mov_b64 s[18:19], 0xbc545cb72134d0ef
	s_delay_alu instid0(VALU_DEP_1) | instid1(SALU_CYCLE_1)
	v_fmaak_f64 v[4:5], s[18:19], v[0:1], 0x3c833362977da589
	s_mov_b64 s[18:19], 0x3ff71547652b82fe
	s_delay_alu instid0(SALU_CYCLE_1) | instskip(SKIP_1) | instid1(VALU_DEP_2)
	v_mul_f64_e64 v[8:9], |v[2:3]|, s[18:19]
	s_mov_b64 s[18:19], 0xbfe62e42fefa39ef
	v_fmaak_f64 v[6:7], v[0:1], v[4:5], 0x3c545cb72134d0ef
	s_delay_alu instid0(VALU_DEP_1) | instskip(NEXT) | instid1(VALU_DEP_3)
	v_add_f64_e32 v[6:7], 0xbcb184eb721ebbb4, v[6:7]
	v_rndne_f64_e32 v[8:9], v[8:9]
	s_delay_alu instid0(VALU_DEP_2) | instskip(NEXT) | instid1(VALU_DEP_2)
	v_fma_f64 v[4:5], v[0:1], v[6:7], -v[4:5]
	v_fma_f64 v[2:3], v[8:9], s[18:19], |v[2:3]|
	s_mov_b64 s[18:19], 0x3e5ade156a5dcb37
	s_delay_alu instid0(VALU_DEP_2) | instskip(NEXT) | instid1(VALU_DEP_2)
	v_add_f64_e32 v[4:5], 0x3cdee6d893f65eba, v[4:5]
	v_fmamk_f64 v[2:3], v[8:9], 0xbc7abc9e3b39803f, v[2:3]
	s_delay_alu instid0(VALU_DEP_1) | instskip(NEXT) | instid1(VALU_DEP_3)
	v_fmaak_f64 v[10:11], s[18:19], v[2:3], 0x3e928af3fca7ab0c
	v_fma_f64 v[6:7], v[0:1], v[4:5], -v[6:7]
	s_delay_alu instid0(VALU_DEP_2) | instskip(NEXT) | instid1(VALU_DEP_1)
	v_fmaak_f64 v[10:11], v[2:3], v[10:11], 0x3ec71dee623fde64
	v_fmaak_f64 v[10:11], v[2:3], v[10:11], 0x3efa01997c89e6b0
	s_delay_alu instid0(VALU_DEP_1) | instskip(NEXT) | instid1(VALU_DEP_1)
	v_fmaak_f64 v[10:11], v[2:3], v[10:11], 0x3f2a01a014761f6e
	v_fmaak_f64 v[10:11], v[2:3], v[10:11], 0x3f56c16c1852b7b0
	v_add_f64_e32 v[6:7], 0xbd0a5022c297fbeb, v[6:7]
	s_delay_alu instid0(VALU_DEP_1) | instskip(NEXT) | instid1(VALU_DEP_1)
	v_fma_f64 v[4:5], v[0:1], v[6:7], -v[4:5]
	v_add_f64_e32 v[4:5], 0x3d359b464b262627, v[4:5]
	s_delay_alu instid0(VALU_DEP_1) | instskip(NEXT) | instid1(VALU_DEP_1)
	v_fma_f64 v[6:7], v[0:1], v[4:5], -v[6:7]
	;; [unrolled: 3-line block ×24, first 2 shown]
	v_add_f64_e32 v[6:7], 0xbfd37febc057cd8d, v[6:7]
	s_delay_alu instid0(VALU_DEP_1) | instskip(SKIP_1) | instid1(VALU_DEP_1)
	v_fma_f64 v[0:1], v[0:1], v[6:7], -v[4:5]
	v_fmaak_f64 v[6:7], v[2:3], v[10:11], 0x3f81111111122322
	v_fmaak_f64 v[6:7], v[2:3], v[6:7], 0x3fa55555555502a1
	s_delay_alu instid0(VALU_DEP_1) | instskip(NEXT) | instid1(VALU_DEP_1)
	v_fmaak_f64 v[6:7], v[2:3], v[6:7], 0x3fc5555555555511
	v_fmaak_f64 v[6:7], v[2:3], v[6:7], 0x3fe000000000000b
	s_delay_alu instid0(VALU_DEP_1) | instskip(SKIP_1) | instid1(VALU_DEP_2)
	v_fma_f64 v[6:7], v[2:3], v[6:7], 1.0
	v_add_f64_e32 v[0:1], 0x3fe5a84e9035a22a, v[0:1]
	v_fma_f64 v[2:3], v[2:3], v[6:7], 1.0
	v_cvt_i32_f64_e32 v6, v[8:9]
	s_delay_alu instid0(VALU_DEP_3) | instskip(NEXT) | instid1(VALU_DEP_2)
	v_add_f64_e64 v[0:1], v[0:1], -v[4:5]
	v_ldexp_f64 v[2:3], v[2:3], v6
	s_delay_alu instid0(VALU_DEP_2) | instskip(NEXT) | instid1(VALU_DEP_1)
	v_mul_f64_e32 v[0:1], 0.5, v[0:1]
	v_mul_f64_e32 v[0:1], v[2:3], v[0:1]
                                        ; implicit-def: $vgpr2_vgpr3
.LBB8_272:
	s_and_not1_saveexec_b32 s0, s0
	s_cbranch_execz .LBB8_274
; %bb.273:
	v_and_b32_e32 v1, 0x7fffffff, v3
	v_mov_b32_e32 v0, v2
	s_mov_b64 s[18:19], 0xbc60adb754ca8b19
	v_cmp_gt_f64_e64 s16, 0x10000000, |v[2:3]|
	s_delay_alu instid0(VALU_DEP_2) | instskip(SKIP_1) | instid1(VALU_DEP_2)
	v_div_scale_f64 v[4:5], null, v[0:1], v[0:1], 0x40400000
	v_div_scale_f64 v[0:1], vcc_lo, 0x40400000, v[0:1], 0x40400000
	v_rcp_f64_e32 v[6:7], v[4:5]
	v_nop
	s_delay_alu instid0(TRANS32_DEP_1) | instskip(NEXT) | instid1(VALU_DEP_1)
	v_fma_f64 v[8:9], -v[4:5], v[6:7], 1.0
	v_fmac_f64_e32 v[6:7], v[6:7], v[8:9]
	s_delay_alu instid0(VALU_DEP_1) | instskip(NEXT) | instid1(VALU_DEP_1)
	v_fma_f64 v[8:9], -v[4:5], v[6:7], 1.0
	v_fmac_f64_e32 v[6:7], v[6:7], v[8:9]
	s_delay_alu instid0(VALU_DEP_1) | instskip(NEXT) | instid1(VALU_DEP_1)
	v_mul_f64_e32 v[8:9], v[0:1], v[6:7]
	v_fma_f64 v[0:1], -v[4:5], v[8:9], v[0:1]
	s_delay_alu instid0(VALU_DEP_1) | instskip(SKIP_2) | instid1(VALU_DEP_2)
	v_div_fmas_f64 v[0:1], v[0:1], v[6:7], v[8:9]
	v_cndmask_b32_e64 v8, 0, 0x100, s16
	v_cmp_nlt_f64_e64 vcc_lo, 0x40900000, |v[2:3]|
	v_ldexp_f64 v[8:9], |v[2:3]|, v8
	s_delay_alu instid0(VALU_DEP_4) | instskip(NEXT) | instid1(VALU_DEP_2)
	v_div_fixup_f64 v[0:1], v[0:1], |v[2:3]|, 0x40400000
	v_rsq_f64_e32 v[12:13], v[8:9]
	s_delay_alu instid0(VALU_DEP_1) | instskip(NEXT) | instid1(TRANS32_DEP_1)
	v_add_f64_e32 v[0:1], -2.0, v[0:1]
	v_mul_f64_e32 v[16:17], v[8:9], v[12:13]
	v_mul_f64_e32 v[12:13], 0.5, v[12:13]
	s_delay_alu instid0(VALU_DEP_3) | instskip(SKIP_1) | instid1(SALU_CYCLE_1)
	v_fmaak_f64 v[4:5], s[18:19], v[0:1], 0xbc5646da66119130
	s_mov_b64 s[18:19], 0x3ff71547652b82fe
	v_mul_f64_e64 v[10:11], |v[2:3]|, s[18:19]
	s_mov_b64 s[18:19], 0xbfe62e42fefa39ef
	s_delay_alu instid0(VALU_DEP_2) | instskip(NEXT) | instid1(VALU_DEP_4)
	v_fmaak_f64 v[6:7], v[0:1], v[4:5], 0x3c60adb754ca8b19
	v_fma_f64 v[20:21], -v[12:13], v[16:17], 0.5
	s_delay_alu instid0(VALU_DEP_2) | instskip(NEXT) | instid1(VALU_DEP_4)
	v_add_f64_e32 v[6:7], 0x3c89be1812d98421, v[6:7]
	v_rndne_f64_e32 v[10:11], v[10:11]
	s_delay_alu instid0(VALU_DEP_3) | instskip(NEXT) | instid1(VALU_DEP_3)
	v_fmac_f64_e32 v[16:17], v[16:17], v[20:21]
	v_fma_f64 v[4:5], v[0:1], v[6:7], -v[4:5]
	v_fmac_f64_e32 v[12:13], v[12:13], v[20:21]
	s_delay_alu instid0(VALU_DEP_4) | instskip(SKIP_4) | instid1(VALU_DEP_4)
	v_fma_f64 v[18:19], v[10:11], s[18:19], |v[2:3]|
	s_mov_b64 s[18:19], 0x3e5ade156a5dcb37
	v_cvt_i32_f64_e32 v15, v[10:11]
	v_fma_f64 v[20:21], -v[16:17], v[16:17], v[8:9]
	v_add_f64_e32 v[4:5], 0x3c83f3dd076041cd, v[4:5]
	v_fmamk_f64 v[18:19], v[10:11], 0xbc7abc9e3b39803f, v[18:19]
	s_delay_alu instid0(VALU_DEP_1) | instskip(NEXT) | instid1(VALU_DEP_4)
	v_fmaak_f64 v[22:23], s[18:19], v[18:19], 0x3e928af3fca7ab0c
	v_fmac_f64_e32 v[16:17], v[20:21], v[12:13]
	s_delay_alu instid0(VALU_DEP_4) | instskip(NEXT) | instid1(VALU_DEP_3)
	v_fma_f64 v[6:7], v[0:1], v[4:5], -v[6:7]
	v_fmaak_f64 v[22:23], v[18:19], v[22:23], 0x3ec71dee623fde64
	s_delay_alu instid0(VALU_DEP_1) | instskip(NEXT) | instid1(VALU_DEP_1)
	v_fmaak_f64 v[22:23], v[18:19], v[22:23], 0x3efa01997c89e6b0
	v_fmaak_f64 v[22:23], v[18:19], v[22:23], 0x3f2a01a014761f6e
	s_delay_alu instid0(VALU_DEP_1) | instskip(SKIP_2) | instid1(VALU_DEP_3)
	v_fmaak_f64 v[22:23], v[18:19], v[22:23], 0x3f56c16c1852b7b0
	v_fma_f64 v[10:11], -v[16:17], v[16:17], v[8:9]
	v_add_f64_e32 v[6:7], 0xbcb4600babd21fe4, v[6:7]
	v_fmaak_f64 v[22:23], v[18:19], v[22:23], 0x3f81111111122322
	s_delay_alu instid0(VALU_DEP_3) | instskip(NEXT) | instid1(VALU_DEP_3)
	v_fmac_f64_e32 v[16:17], v[10:11], v[12:13]
	v_fma_f64 v[4:5], v[0:1], v[6:7], -v[4:5]
	s_delay_alu instid0(VALU_DEP_1) | instskip(NEXT) | instid1(VALU_DEP_1)
	v_add_f64_e32 v[4:5], 0xbcb8aee7d908de38, v[4:5]
	v_fma_f64 v[6:7], v[0:1], v[4:5], -v[6:7]
	s_delay_alu instid0(VALU_DEP_1) | instskip(NEXT) | instid1(VALU_DEP_1)
	v_add_f64_e32 v[6:7], 0x3cdfee7da3eafb1f, v[6:7]
	;; [unrolled: 3-line block ×19, first 2 shown]
	v_fma_f64 v[0:1], v[0:1], v[4:5], -v[6:7]
	v_fmaak_f64 v[4:5], v[18:19], v[22:23], 0x3fa55555555502a1
	s_delay_alu instid0(VALU_DEP_1) | instskip(NEXT) | instid1(VALU_DEP_1)
	v_fmaak_f64 v[4:5], v[18:19], v[4:5], 0x3fc5555555555511
	v_fmaak_f64 v[4:5], v[18:19], v[4:5], 0x3fe000000000000b
	s_delay_alu instid0(VALU_DEP_1) | instskip(SKIP_1) | instid1(VALU_DEP_2)
	v_fma_f64 v[4:5], v[18:19], v[4:5], 1.0
	v_add_f64_e32 v[0:1], 0x3fe9be62aca809cb, v[0:1]
	v_fma_f64 v[4:5], v[18:19], v[4:5], 1.0
	s_delay_alu instid0(VALU_DEP_2) | instskip(SKIP_1) | instid1(VALU_DEP_3)
	v_add_f64_e64 v[0:1], v[0:1], -v[6:7]
	v_cndmask_b32_e64 v6, 0, 0xffffff80, s16
	v_ldexp_f64 v[4:5], v[4:5], v15
	s_delay_alu instid0(VALU_DEP_3) | instskip(NEXT) | instid1(VALU_DEP_2)
	v_mul_f64_e32 v[0:1], 0.5, v[0:1]
	v_cndmask_b32_e32 v3, 0x7ff00000, v5, vcc_lo
	s_delay_alu instid0(VALU_DEP_3) | instskip(SKIP_2) | instid1(VALU_DEP_3)
	v_cndmask_b32_e32 v2, 0, v4, vcc_lo
	v_ldexp_f64 v[4:5], v[16:17], v6
	v_cmp_class_f64_e64 vcc_lo, v[8:9], 0x260
	v_mul_f64_e32 v[0:1], v[2:3], v[0:1]
	s_delay_alu instid0(VALU_DEP_3) | instskip(NEXT) | instid1(VALU_DEP_1)
	v_dual_cndmask_b32 v3, v5, v9 :: v_dual_cndmask_b32 v2, v4, v8
	v_div_scale_f64 v[4:5], null, v[2:3], v[2:3], v[0:1]
	s_delay_alu instid0(VALU_DEP_1) | instskip(SKIP_1) | instid1(TRANS32_DEP_1)
	v_rcp_f64_e32 v[6:7], v[4:5]
	v_nop
	v_fma_f64 v[8:9], -v[4:5], v[6:7], 1.0
	s_delay_alu instid0(VALU_DEP_1) | instskip(NEXT) | instid1(VALU_DEP_1)
	v_fmac_f64_e32 v[6:7], v[6:7], v[8:9]
	v_fma_f64 v[8:9], -v[4:5], v[6:7], 1.0
	s_delay_alu instid0(VALU_DEP_1) | instskip(SKIP_1) | instid1(VALU_DEP_1)
	v_fmac_f64_e32 v[6:7], v[6:7], v[8:9]
	v_div_scale_f64 v[8:9], vcc_lo, v[0:1], v[2:3], v[0:1]
	v_mul_f64_e32 v[10:11], v[8:9], v[6:7]
	s_delay_alu instid0(VALU_DEP_1) | instskip(NEXT) | instid1(VALU_DEP_1)
	v_fma_f64 v[4:5], -v[4:5], v[10:11], v[8:9]
	v_div_fmas_f64 v[4:5], v[4:5], v[6:7], v[10:11]
	s_delay_alu instid0(VALU_DEP_1)
	v_div_fixup_f64 v[0:1], v[4:5], v[2:3], v[0:1]
.LBB8_274:
	s_or_b32 exec_lo, exec_lo, s0
	v_mul_lo_u32 v2, v14, s2
	s_and_b32 s16, s8, 0xff
	s_delay_alu instid0(SALU_CYCLE_1) | instskip(NEXT) | instid1(VALU_DEP_1)
	s_cmp_lt_i32 s16, 11
	v_ashrrev_i32_e32 v3, 31, v2
	s_delay_alu instid0(VALU_DEP_1)
	v_add_nc_u64_e32 v[4:5], s[4:5], v[2:3]
	s_cbranch_scc1 .LBB8_282
; %bb.275:
	s_and_b32 s18, 0xffff, s16
	s_delay_alu instid0(SALU_CYCLE_1)
	s_cmp_gt_i32 s18, 25
	s_cbranch_scc0 .LBB8_284
; %bb.276:
	s_cmp_gt_i32 s18, 28
	s_cbranch_scc0 .LBB8_286
; %bb.277:
	;; [unrolled: 3-line block ×4, first 2 shown]
	s_mov_b32 s20, 0
	s_mov_b32 s0, -1
	s_cmp_eq_u32 s18, 46
	s_mov_b32 s19, 0
	s_cbranch_scc0 .LBB8_299
; %bb.280:
	s_delay_alu instid0(VALU_DEP_4) | instskip(SKIP_2) | instid1(VALU_DEP_1)
	v_cvt_f32_f64_e32 v2, v[0:1]
	s_mov_b32 s19, -1
	s_mov_b32 s0, 0
	v_bfe_u32 v3, v2, 16, 1
	v_cmp_o_f32_e32 vcc_lo, v2, v2
	s_delay_alu instid0(VALU_DEP_2) | instskip(NEXT) | instid1(VALU_DEP_1)
	v_add3_u32 v3, v2, v3, 0x7fff
	v_lshrrev_b32_e32 v3, 16, v3
	s_delay_alu instid0(VALU_DEP_1)
	v_cndmask_b32_e32 v2, 0x7fc0, v3, vcc_lo
	global_store_b32 v[4:5], v2, off
	s_branch .LBB8_299
.LBB8_281:
	s_mov_b32 s18, -1
	s_mov_b32 s16, 0
	s_mov_b32 s15, s13
                                        ; implicit-def: $vgpr2_vgpr3
	s_branch .LBB8_436
.LBB8_282:
	s_mov_b32 s18, -1
	s_mov_b32 s19, 0
	s_mov_b32 s0, s11
	s_branch .LBB8_368
.LBB8_283:
	s_mov_b32 s18, -1
	s_mov_b32 s16, 0
	s_mov_b32 s15, s13
                                        ; implicit-def: $vgpr2_vgpr3
	s_branch .LBB8_417
.LBB8_284:
	s_mov_b32 s20, -1
	s_mov_b32 s19, 0
	s_mov_b32 s0, s11
	s_branch .LBB8_326
.LBB8_285:
	s_mov_b32 s18, -1
	s_mov_b32 s16, 0
	s_mov_b32 s15, s13
                                        ; implicit-def: $vgpr2_vgpr3
	s_branch .LBB8_412
.LBB8_286:
	s_mov_b32 s20, -1
	s_mov_b32 s19, 0
	s_mov_b32 s0, s11
	s_branch .LBB8_309
.LBB8_287:
	s_and_not1_saveexec_b32 s19, s19
	s_cbranch_execz .LBB8_58
.LBB8_288:
	v_add_f32_e64 v3, 0x46000000, |v2|
	s_and_not1_b32 s18, s18, exec_lo
	s_delay_alu instid0(VALU_DEP_1) | instskip(NEXT) | instid1(VALU_DEP_1)
	v_and_b32_e32 v3, 0xff, v3
	v_cmp_ne_u32_e32 vcc_lo, 0, v3
	s_and_b32 s20, vcc_lo, exec_lo
	s_delay_alu instid0(SALU_CYCLE_1)
	s_or_b32 s18, s18, s20
	s_or_b32 exec_lo, exec_lo, s19
	v_mov_b32_e32 v6, 0
	s_and_saveexec_b32 s19, s18
	s_cbranch_execnz .LBB8_59
	s_branch .LBB8_60
.LBB8_289:
	s_mov_b32 s18, -1
	s_mov_b32 s16, 0
	s_mov_b32 s15, s13
	s_branch .LBB8_294
.LBB8_290:
	s_mov_b32 s20, -1
	s_mov_b32 s19, 0
	s_mov_b32 s0, s11
	s_branch .LBB8_305
.LBB8_291:
	s_and_not1_saveexec_b32 s19, s19
	s_cbranch_execz .LBB8_71
.LBB8_292:
	v_add_f32_e64 v3, 0x42800000, |v2|
	s_and_not1_b32 s18, s18, exec_lo
	s_delay_alu instid0(VALU_DEP_1) | instskip(NEXT) | instid1(VALU_DEP_1)
	v_and_b32_e32 v3, 0xff, v3
	v_cmp_ne_u32_e32 vcc_lo, 0, v3
	s_and_b32 s20, vcc_lo, exec_lo
	s_delay_alu instid0(SALU_CYCLE_1)
	s_or_b32 s18, s18, s20
	s_or_b32 exec_lo, exec_lo, s19
	v_mov_b32_e32 v6, 0
	s_and_saveexec_b32 s19, s18
	s_cbranch_execnz .LBB8_72
	s_branch .LBB8_73
.LBB8_293:
	s_mov_b32 s15, -1
	s_mov_b32 s16, 0
.LBB8_294:
                                        ; implicit-def: $vgpr2_vgpr3
.LBB8_295:
	s_and_b32 vcc_lo, exec_lo, s18
	s_cbranch_vccz .LBB8_411
; %bb.296:
	s_cmp_eq_u32 s0, 44
	s_cbranch_scc0 .LBB8_410
; %bb.297:
	global_load_u8 v4, v[0:1], off
	s_mov_b32 s15, 0
	s_mov_b32 s16, -1
	s_wait_loadcnt 0x0
	v_cmp_ne_u32_e32 vcc_lo, 0xff, v4
	v_lshlrev_b32_e32 v2, 23, v4
	s_delay_alu instid0(VALU_DEP_1) | instskip(NEXT) | instid1(VALU_DEP_1)
	v_cvt_f64_f32_e32 v[2:3], v2
	v_cndmask_b32_e32 v2, 0x20000000, v2, vcc_lo
	s_delay_alu instid0(VALU_DEP_2) | instskip(SKIP_1) | instid1(VALU_DEP_2)
	v_cndmask_b32_e32 v3, 0x7ff80000, v3, vcc_lo
	v_cmp_ne_u32_e32 vcc_lo, 0, v4
	v_cndmask_b32_e32 v3, 0x38000000, v3, vcc_lo
	s_delay_alu instid0(VALU_DEP_4)
	v_cndmask_b32_e32 v2, 0, v2, vcc_lo
	s_branch .LBB8_411
.LBB8_298:
	s_mov_b32 s20, -1
	s_mov_b32 s19, 0
	s_mov_b32 s0, s11
.LBB8_299:
	s_and_b32 vcc_lo, exec_lo, s20
	s_cbranch_vccz .LBB8_304
; %bb.300:
	s_cmp_eq_u32 s18, 44
	s_mov_b32 s0, -1
	s_cbranch_scc0 .LBB8_304
; %bb.301:
	s_wait_xcnt 0x0
	s_delay_alu instid0(VALU_DEP_4) | instskip(SKIP_2) | instid1(VALU_DEP_2)
	v_cvt_f32_f64_e32 v2, v[0:1]
	v_mov_b32_e32 v3, 0xff
	s_mov_b32 s19, exec_lo
	v_bfe_u32 v6, v2, 23, 8
	s_delay_alu instid0(VALU_DEP_1)
	v_cmpx_ne_u32_e32 0xff, v6
	s_cbranch_execz .LBB8_303
; %bb.302:
	v_and_b32_e32 v3, 0x400000, v2
	v_and_or_b32 v6, 0x3fffff, v2, v6
	v_lshrrev_b32_e32 v2, 23, v2
	s_delay_alu instid0(VALU_DEP_3) | instskip(NEXT) | instid1(VALU_DEP_3)
	v_cmp_ne_u32_e32 vcc_lo, 0, v3
	v_cmp_ne_u32_e64 s0, 0, v6
	s_and_b32 s0, vcc_lo, s0
	s_delay_alu instid0(SALU_CYCLE_1) | instskip(NEXT) | instid1(VALU_DEP_1)
	v_cndmask_b32_e64 v3, 0, 1, s0
	v_add_nc_u32_e32 v3, v2, v3
.LBB8_303:
	s_or_b32 exec_lo, exec_lo, s19
	s_mov_b32 s19, -1
	s_mov_b32 s0, 0
	global_store_b8 v[4:5], v3, off
.LBB8_304:
	s_mov_b32 s20, 0
.LBB8_305:
	s_delay_alu instid0(SALU_CYCLE_1)
	s_and_b32 vcc_lo, exec_lo, s20
	s_cbranch_vccz .LBB8_308
; %bb.306:
	s_cmp_eq_u32 s18, 29
	s_mov_b32 s0, -1
	s_cbranch_scc0 .LBB8_308
; %bb.307:
	s_wait_xcnt 0x0
	s_delay_alu instid0(VALU_DEP_4) | instskip(SKIP_3) | instid1(VALU_DEP_1)
	v_trunc_f64_e32 v[2:3], v[0:1]
	s_mov_b32 s19, -1
	s_mov_b32 s0, 0
	s_mov_b32 s20, 0
	v_ldexp_f64 v[6:7], v[2:3], 0xffffffe0
	s_delay_alu instid0(VALU_DEP_1) | instskip(NEXT) | instid1(VALU_DEP_1)
	v_floor_f64_e32 v[6:7], v[6:7]
	v_fmamk_f64 v[2:3], v[6:7], 0xc1f00000, v[2:3]
	v_cvt_u32_f64_e32 v7, v[6:7]
	s_delay_alu instid0(VALU_DEP_2)
	v_cvt_u32_f64_e32 v6, v[2:3]
	global_store_b64 v[4:5], v[6:7], off
	s_branch .LBB8_309
.LBB8_308:
	s_mov_b32 s20, 0
.LBB8_309:
	s_delay_alu instid0(SALU_CYCLE_1)
	s_and_b32 vcc_lo, exec_lo, s20
	s_cbranch_vccz .LBB8_325
; %bb.310:
	s_cmp_lt_i32 s18, 27
	s_mov_b32 s19, -1
	s_cbranch_scc1 .LBB8_316
; %bb.311:
	s_wait_xcnt 0x0
	s_delay_alu instid0(VALU_DEP_4)
	v_cvt_u32_f64_e32 v2, v[0:1]
	s_cmp_gt_i32 s18, 27
	s_cbranch_scc0 .LBB8_313
; %bb.312:
	s_mov_b32 s19, 0
	global_store_b32 v[4:5], v2, off
.LBB8_313:
	s_and_not1_b32 vcc_lo, exec_lo, s19
	s_cbranch_vccnz .LBB8_315
; %bb.314:
	global_store_b16 v[4:5], v2, off
.LBB8_315:
	s_mov_b32 s19, 0
.LBB8_316:
	s_delay_alu instid0(SALU_CYCLE_1)
	s_and_not1_b32 vcc_lo, exec_lo, s19
	s_cbranch_vccnz .LBB8_324
; %bb.317:
	s_wait_xcnt 0x0
	s_delay_alu instid0(VALU_DEP_4) | instskip(SKIP_2) | instid1(VALU_DEP_2)
	v_cvt_f32_f64_e32 v2, v[0:1]
	v_mov_b32_e32 v6, 0x80
	s_mov_b32 s19, exec_lo
	v_and_b32_e32 v3, 0x7fffffff, v2
	s_delay_alu instid0(VALU_DEP_1)
	v_cmpx_gt_u32_e32 0x43800000, v3
	s_cbranch_execz .LBB8_323
; %bb.318:
	v_cmp_lt_u32_e32 vcc_lo, 0x3bffffff, v3
	s_mov_b32 s20, 0
                                        ; implicit-def: $vgpr3
	s_and_saveexec_b32 s21, vcc_lo
	s_delay_alu instid0(SALU_CYCLE_1)
	s_xor_b32 s21, exec_lo, s21
	s_cbranch_execz .LBB8_536
; %bb.319:
	v_bfe_u32 v3, v2, 20, 1
	s_mov_b32 s20, exec_lo
	s_delay_alu instid0(VALU_DEP_1) | instskip(NEXT) | instid1(VALU_DEP_1)
	v_add3_u32 v3, v2, v3, 0x487ffff
	v_lshrrev_b32_e32 v3, 20, v3
	s_and_not1_saveexec_b32 s21, s21
	s_cbranch_execnz .LBB8_537
.LBB8_320:
	s_or_b32 exec_lo, exec_lo, s21
	v_mov_b32_e32 v6, 0
	s_and_saveexec_b32 s21, s20
.LBB8_321:
	v_lshrrev_b32_e32 v2, 24, v2
	s_delay_alu instid0(VALU_DEP_1)
	v_and_or_b32 v6, 0x80, v2, v3
.LBB8_322:
	s_or_b32 exec_lo, exec_lo, s21
.LBB8_323:
	s_delay_alu instid0(SALU_CYCLE_1)
	s_or_b32 exec_lo, exec_lo, s19
	global_store_b8 v[4:5], v6, off
.LBB8_324:
	s_mov_b32 s19, -1
.LBB8_325:
	s_mov_b32 s20, 0
.LBB8_326:
	s_delay_alu instid0(SALU_CYCLE_1)
	s_and_b32 vcc_lo, exec_lo, s20
	s_cbranch_vccz .LBB8_367
; %bb.327:
	s_cmp_gt_i32 s18, 22
	s_mov_b32 s20, -1
	s_cbranch_scc0 .LBB8_359
; %bb.328:
	s_cmp_lt_i32 s18, 24
	s_mov_b32 s19, -1
	s_cbranch_scc1 .LBB8_348
; %bb.329:
	s_cmp_gt_i32 s18, 24
	s_cbranch_scc0 .LBB8_337
; %bb.330:
	s_wait_xcnt 0x0
	s_delay_alu instid0(VALU_DEP_4) | instskip(SKIP_2) | instid1(VALU_DEP_2)
	v_cvt_f32_f64_e32 v2, v[0:1]
	v_mov_b32_e32 v6, 0x80
	s_mov_b32 s19, exec_lo
	v_and_b32_e32 v3, 0x7fffffff, v2
	s_delay_alu instid0(VALU_DEP_1)
	v_cmpx_gt_u32_e32 0x47800000, v3
	s_cbranch_execz .LBB8_336
; %bb.331:
	v_cmp_lt_u32_e32 vcc_lo, 0x37ffffff, v3
	s_mov_b32 s20, 0
                                        ; implicit-def: $vgpr3
	s_and_saveexec_b32 s21, vcc_lo
	s_delay_alu instid0(SALU_CYCLE_1)
	s_xor_b32 s21, exec_lo, s21
	s_cbranch_execz .LBB8_539
; %bb.332:
	v_bfe_u32 v3, v2, 21, 1
	s_mov_b32 s20, exec_lo
	s_delay_alu instid0(VALU_DEP_1) | instskip(NEXT) | instid1(VALU_DEP_1)
	v_add3_u32 v3, v2, v3, 0x88fffff
	v_lshrrev_b32_e32 v3, 21, v3
	s_and_not1_saveexec_b32 s21, s21
	s_cbranch_execnz .LBB8_540
.LBB8_333:
	s_or_b32 exec_lo, exec_lo, s21
	v_mov_b32_e32 v6, 0
	s_and_saveexec_b32 s21, s20
.LBB8_334:
	v_lshrrev_b32_e32 v2, 24, v2
	s_delay_alu instid0(VALU_DEP_1)
	v_and_or_b32 v6, 0x80, v2, v3
.LBB8_335:
	s_or_b32 exec_lo, exec_lo, s21
.LBB8_336:
	s_delay_alu instid0(SALU_CYCLE_1)
	s_or_b32 exec_lo, exec_lo, s19
	s_mov_b32 s19, 0
	global_store_b8 v[4:5], v6, off
.LBB8_337:
	s_and_b32 vcc_lo, exec_lo, s19
	s_cbranch_vccz .LBB8_347
; %bb.338:
	s_wait_xcnt 0x0
	s_delay_alu instid0(VALU_DEP_4) | instskip(SKIP_1) | instid1(VALU_DEP_1)
	v_cvt_f32_f64_e32 v2, v[0:1]
	s_mov_b32 s19, exec_lo
                                        ; implicit-def: $vgpr3
	v_and_b32_e32 v6, 0x7fffffff, v2
	s_delay_alu instid0(VALU_DEP_1)
	v_cmpx_gt_u32_e32 0x43f00000, v6
	s_xor_b32 s19, exec_lo, s19
	s_cbranch_execz .LBB8_344
; %bb.339:
	s_mov_b32 s20, exec_lo
                                        ; implicit-def: $vgpr3
	v_cmpx_lt_u32_e32 0x3c7fffff, v6
	s_xor_b32 s20, exec_lo, s20
; %bb.340:
	v_bfe_u32 v3, v2, 20, 1
	s_delay_alu instid0(VALU_DEP_1) | instskip(NEXT) | instid1(VALU_DEP_1)
	v_add3_u32 v3, v2, v3, 0x407ffff
	v_and_b32_e32 v6, 0xff00000, v3
	v_lshrrev_b32_e32 v3, 20, v3
	s_delay_alu instid0(VALU_DEP_2) | instskip(NEXT) | instid1(VALU_DEP_2)
	v_cmp_ne_u32_e32 vcc_lo, 0x7f00000, v6
	v_cndmask_b32_e32 v3, 0x7e, v3, vcc_lo
; %bb.341:
	s_and_not1_saveexec_b32 s20, s20
; %bb.342:
	v_add_f32_e64 v3, 0x46800000, |v2|
; %bb.343:
	s_or_b32 exec_lo, exec_lo, s20
                                        ; implicit-def: $vgpr6
.LBB8_344:
	s_and_not1_saveexec_b32 s19, s19
; %bb.345:
	v_mov_b32_e32 v3, 0x7f
	v_cmp_lt_u32_e32 vcc_lo, 0x7f800000, v6
	s_delay_alu instid0(VALU_DEP_2)
	v_cndmask_b32_e32 v3, 0x7e, v3, vcc_lo
; %bb.346:
	s_or_b32 exec_lo, exec_lo, s19
	v_lshrrev_b32_e32 v2, 24, v2
	s_delay_alu instid0(VALU_DEP_1)
	v_and_or_b32 v2, 0x80, v2, v3
	global_store_b8 v[4:5], v2, off
.LBB8_347:
	s_mov_b32 s19, 0
.LBB8_348:
	s_delay_alu instid0(SALU_CYCLE_1)
	s_and_not1_b32 vcc_lo, exec_lo, s19
	s_cbranch_vccnz .LBB8_358
; %bb.349:
	s_wait_xcnt 0x0
	s_delay_alu instid0(VALU_DEP_4) | instskip(SKIP_1) | instid1(VALU_DEP_1)
	v_cvt_f32_f64_e32 v2, v[0:1]
	s_mov_b32 s19, exec_lo
                                        ; implicit-def: $vgpr3
	v_and_b32_e32 v6, 0x7fffffff, v2
	s_delay_alu instid0(VALU_DEP_1)
	v_cmpx_gt_u32_e32 0x47800000, v6
	s_xor_b32 s19, exec_lo, s19
	s_cbranch_execz .LBB8_355
; %bb.350:
	s_mov_b32 s20, exec_lo
                                        ; implicit-def: $vgpr3
	v_cmpx_lt_u32_e32 0x387fffff, v6
	s_xor_b32 s20, exec_lo, s20
; %bb.351:
	v_bfe_u32 v3, v2, 21, 1
	s_delay_alu instid0(VALU_DEP_1) | instskip(NEXT) | instid1(VALU_DEP_1)
	v_add3_u32 v3, v2, v3, 0x80fffff
	v_lshrrev_b32_e32 v3, 21, v3
; %bb.352:
	s_and_not1_saveexec_b32 s20, s20
; %bb.353:
	v_add_f32_e64 v3, 0x43000000, |v2|
; %bb.354:
	s_or_b32 exec_lo, exec_lo, s20
                                        ; implicit-def: $vgpr6
.LBB8_355:
	s_and_not1_saveexec_b32 s19, s19
; %bb.356:
	v_mov_b32_e32 v3, 0x7f
	v_cmp_lt_u32_e32 vcc_lo, 0x7f800000, v6
	s_delay_alu instid0(VALU_DEP_2)
	v_cndmask_b32_e32 v3, 0x7c, v3, vcc_lo
; %bb.357:
	s_or_b32 exec_lo, exec_lo, s19
	v_lshrrev_b32_e32 v2, 24, v2
	s_delay_alu instid0(VALU_DEP_1)
	v_and_or_b32 v2, 0x80, v2, v3
	global_store_b8 v[4:5], v2, off
.LBB8_358:
	s_mov_b32 s20, 0
	s_mov_b32 s19, -1
.LBB8_359:
	s_and_not1_b32 vcc_lo, exec_lo, s20
	s_cbranch_vccnz .LBB8_367
; %bb.360:
	s_cmp_gt_i32 s18, 14
	s_mov_b32 s20, -1
	s_cbranch_scc0 .LBB8_364
; %bb.361:
	s_cmp_eq_u32 s18, 15
	s_mov_b32 s0, -1
	s_cbranch_scc0 .LBB8_363
; %bb.362:
	s_wait_xcnt 0x0
	s_delay_alu instid0(VALU_DEP_4) | instskip(SKIP_2) | instid1(VALU_DEP_1)
	v_cvt_f32_f64_e32 v2, v[0:1]
	s_mov_b32 s19, -1
	s_mov_b32 s0, 0
	v_bfe_u32 v3, v2, 16, 1
	v_cmp_o_f32_e32 vcc_lo, v2, v2
	s_delay_alu instid0(VALU_DEP_2) | instskip(NEXT) | instid1(VALU_DEP_1)
	v_add3_u32 v3, v2, v3, 0x7fff
	v_lshrrev_b32_e32 v3, 16, v3
	s_delay_alu instid0(VALU_DEP_1)
	v_cndmask_b32_e32 v2, 0x7fc0, v3, vcc_lo
	global_store_b16 v[4:5], v2, off
.LBB8_363:
	s_mov_b32 s20, 0
.LBB8_364:
	s_delay_alu instid0(SALU_CYCLE_1)
	s_and_b32 vcc_lo, exec_lo, s20
	s_cbranch_vccz .LBB8_367
; %bb.365:
	s_cmp_eq_u32 s18, 11
	s_mov_b32 s0, -1
	s_cbranch_scc0 .LBB8_367
; %bb.366:
	s_delay_alu instid0(VALU_DEP_4)
	v_cmp_neq_f64_e32 vcc_lo, 0, v[0:1]
	s_mov_b32 s19, -1
	s_mov_b32 s0, 0
	s_wait_xcnt 0x0
	v_cndmask_b32_e64 v2, 0, 1, vcc_lo
	global_store_b8 v[4:5], v2, off
.LBB8_367:
	s_mov_b32 s18, 0
.LBB8_368:
	s_delay_alu instid0(SALU_CYCLE_1)
	s_and_b32 vcc_lo, exec_lo, s18
	s_cbranch_vccz .LBB8_407
; %bb.369:
	s_and_b32 s16, 0xffff, s16
	s_mov_b32 s18, -1
	s_cmp_lt_i32 s16, 5
	s_cbranch_scc1 .LBB8_390
; %bb.370:
	s_cmp_lt_i32 s16, 8
	s_cbranch_scc1 .LBB8_380
; %bb.371:
	;; [unrolled: 3-line block ×3, first 2 shown]
	s_cmp_gt_i32 s16, 9
	s_cbranch_scc0 .LBB8_374
; %bb.373:
	s_wait_xcnt 0x0
	v_mov_b32_e32 v2, 0
	s_mov_b32 s18, 0
	s_delay_alu instid0(VALU_DEP_1)
	v_mov_b32_e32 v3, v2
	global_store_b128 v[4:5], v[0:3], off
.LBB8_374:
	s_and_not1_b32 vcc_lo, exec_lo, s18
	s_cbranch_vccnz .LBB8_376
; %bb.375:
	s_wait_xcnt 0x0
	s_delay_alu instid0(VALU_DEP_4)
	v_cvt_f32_f64_e32 v2, v[0:1]
	v_mov_b32_e32 v3, 0
	global_store_b64 v[4:5], v[2:3], off
.LBB8_376:
	s_mov_b32 s18, 0
.LBB8_377:
	s_delay_alu instid0(SALU_CYCLE_1)
	s_and_not1_b32 vcc_lo, exec_lo, s18
	s_cbranch_vccnz .LBB8_379
; %bb.378:
	s_wait_xcnt 0x0
	s_delay_alu instid0(VALU_DEP_4) | instskip(SKIP_2) | instid1(VALU_DEP_3)
	v_and_or_b32 v2, 0x1ff, v1, v0
	v_lshrrev_b32_e32 v3, 8, v1
	v_bfe_u32 v6, v1, 20, 11
	v_cmp_ne_u32_e32 vcc_lo, 0, v2
	s_delay_alu instid0(VALU_DEP_2) | instskip(SKIP_1) | instid1(VALU_DEP_1)
	v_sub_nc_u32_e32 v7, 0x3f1, v6
	v_cndmask_b32_e64 v2, 0, 1, vcc_lo
	v_and_or_b32 v2, 0xffe, v3, v2
	s_delay_alu instid0(VALU_DEP_3) | instskip(NEXT) | instid1(VALU_DEP_2)
	v_med3_i32 v3, v7, 0, 13
	v_or_b32_e32 v7, 0x1000, v2
	s_delay_alu instid0(VALU_DEP_1) | instskip(NEXT) | instid1(VALU_DEP_1)
	v_lshrrev_b32_e32 v8, v3, v7
	v_lshlrev_b32_e32 v3, v3, v8
	s_delay_alu instid0(VALU_DEP_1) | instskip(SKIP_1) | instid1(VALU_DEP_1)
	v_cmp_ne_u32_e32 vcc_lo, v3, v7
	v_cndmask_b32_e64 v3, 0, 1, vcc_lo
	v_or_b32_e32 v3, v8, v3
	v_add_nc_u32_e32 v6, 0xfffffc10, v6
	s_delay_alu instid0(VALU_DEP_1) | instskip(SKIP_1) | instid1(VALU_DEP_2)
	v_lshl_or_b32 v7, v6, 12, v2
	v_cmp_gt_i32_e32 vcc_lo, 1, v6
	v_cndmask_b32_e32 v3, v7, v3, vcc_lo
	s_delay_alu instid0(VALU_DEP_1) | instskip(NEXT) | instid1(VALU_DEP_1)
	v_dual_lshrrev_b32 v3, 2, v3 :: v_dual_bitop2_b32 v7, 7, v3 bitop3:0x40
	v_cmp_lt_i32_e32 vcc_lo, 5, v7
	v_cndmask_b32_e64 v8, 0, 1, vcc_lo
	v_cmp_eq_u32_e32 vcc_lo, 3, v7
	v_cndmask_b32_e64 v7, 0, 1, vcc_lo
	v_cmp_ne_u32_e32 vcc_lo, 0, v2
	s_delay_alu instid0(VALU_DEP_2) | instskip(NEXT) | instid1(VALU_DEP_1)
	v_or_b32_e32 v7, v7, v8
	v_dual_mov_b32 v8, 0x7e00 :: v_dual_add_nc_u32 v3, v3, v7
	s_delay_alu instid0(VALU_DEP_1) | instskip(SKIP_2) | instid1(VALU_DEP_4)
	v_cndmask_b32_e32 v2, 0x7c00, v8, vcc_lo
	v_cmp_gt_i32_e32 vcc_lo, 31, v6
	v_lshrrev_b32_e32 v7, 16, v1
	v_cndmask_b32_e32 v3, 0x7c00, v3, vcc_lo
	v_cmp_eq_u32_e32 vcc_lo, 0x40f, v6
	s_delay_alu instid0(VALU_DEP_2) | instskip(NEXT) | instid1(VALU_DEP_4)
	v_cndmask_b32_e32 v2, v3, v2, vcc_lo
	v_and_b32_e32 v3, 0x8000, v7
	s_delay_alu instid0(VALU_DEP_1)
	v_bitop3_b32 v2, v3, 0xffff, v2 bitop3:0xc8
	global_store_b32 v[4:5], v2, off
.LBB8_379:
	s_mov_b32 s18, 0
.LBB8_380:
	s_delay_alu instid0(SALU_CYCLE_1)
	s_and_not1_b32 vcc_lo, exec_lo, s18
	s_cbranch_vccnz .LBB8_389
; %bb.381:
	s_cmp_lt_i32 s16, 6
	s_mov_b32 s18, -1
	s_cbranch_scc1 .LBB8_387
; %bb.382:
	s_cmp_gt_i32 s16, 6
	s_cbranch_scc0 .LBB8_384
; %bb.383:
	s_mov_b32 s18, 0
	global_store_b64 v[4:5], v[0:1], off
.LBB8_384:
	s_and_not1_b32 vcc_lo, exec_lo, s18
	s_cbranch_vccnz .LBB8_386
; %bb.385:
	s_wait_xcnt 0x0
	s_delay_alu instid0(VALU_DEP_4)
	v_cvt_f32_f64_e32 v2, v[0:1]
	global_store_b32 v[4:5], v2, off
.LBB8_386:
	s_mov_b32 s18, 0
.LBB8_387:
	s_delay_alu instid0(SALU_CYCLE_1)
	s_and_not1_b32 vcc_lo, exec_lo, s18
	s_cbranch_vccnz .LBB8_389
; %bb.388:
	s_wait_xcnt 0x0
	s_delay_alu instid0(VALU_DEP_4) | instskip(SKIP_2) | instid1(VALU_DEP_3)
	v_and_or_b32 v2, 0x1ff, v1, v0
	v_lshrrev_b32_e32 v3, 8, v1
	v_bfe_u32 v6, v1, 20, 11
	v_cmp_ne_u32_e32 vcc_lo, 0, v2
	s_delay_alu instid0(VALU_DEP_2) | instskip(SKIP_1) | instid1(VALU_DEP_1)
	v_sub_nc_u32_e32 v7, 0x3f1, v6
	v_cndmask_b32_e64 v2, 0, 1, vcc_lo
	v_and_or_b32 v2, 0xffe, v3, v2
	s_delay_alu instid0(VALU_DEP_3) | instskip(NEXT) | instid1(VALU_DEP_2)
	v_med3_i32 v3, v7, 0, 13
	v_or_b32_e32 v7, 0x1000, v2
	s_delay_alu instid0(VALU_DEP_1) | instskip(NEXT) | instid1(VALU_DEP_1)
	v_lshrrev_b32_e32 v8, v3, v7
	v_lshlrev_b32_e32 v3, v3, v8
	s_delay_alu instid0(VALU_DEP_1) | instskip(SKIP_1) | instid1(VALU_DEP_1)
	v_cmp_ne_u32_e32 vcc_lo, v3, v7
	v_cndmask_b32_e64 v3, 0, 1, vcc_lo
	v_or_b32_e32 v3, v8, v3
	v_add_nc_u32_e32 v6, 0xfffffc10, v6
	s_delay_alu instid0(VALU_DEP_1) | instskip(SKIP_1) | instid1(VALU_DEP_2)
	v_lshl_or_b32 v7, v6, 12, v2
	v_cmp_gt_i32_e32 vcc_lo, 1, v6
	v_cndmask_b32_e32 v3, v7, v3, vcc_lo
	s_delay_alu instid0(VALU_DEP_1) | instskip(NEXT) | instid1(VALU_DEP_1)
	v_dual_lshrrev_b32 v3, 2, v3 :: v_dual_bitop2_b32 v7, 7, v3 bitop3:0x40
	v_cmp_lt_i32_e32 vcc_lo, 5, v7
	v_cndmask_b32_e64 v8, 0, 1, vcc_lo
	v_cmp_eq_u32_e32 vcc_lo, 3, v7
	v_cndmask_b32_e64 v7, 0, 1, vcc_lo
	v_cmp_ne_u32_e32 vcc_lo, 0, v2
	s_delay_alu instid0(VALU_DEP_2) | instskip(NEXT) | instid1(VALU_DEP_1)
	v_or_b32_e32 v7, v7, v8
	v_dual_mov_b32 v8, 0x7e00 :: v_dual_add_nc_u32 v3, v3, v7
	s_delay_alu instid0(VALU_DEP_1) | instskip(SKIP_1) | instid1(VALU_DEP_3)
	v_cndmask_b32_e32 v2, 0x7c00, v8, vcc_lo
	v_cmp_gt_i32_e32 vcc_lo, 31, v6
	v_cndmask_b32_e32 v3, 0x7c00, v3, vcc_lo
	v_cmp_eq_u32_e32 vcc_lo, 0x40f, v6
	s_delay_alu instid0(VALU_DEP_2) | instskip(NEXT) | instid1(VALU_DEP_1)
	v_dual_cndmask_b32 v2, v3, v2 :: v_dual_lshrrev_b32 v3, 16, v1
	v_and_or_b32 v2, 0x8000, v3, v2
	global_store_b16 v[4:5], v2, off
.LBB8_389:
	s_mov_b32 s18, 0
.LBB8_390:
	s_delay_alu instid0(SALU_CYCLE_1)
	s_and_not1_b32 vcc_lo, exec_lo, s18
	s_cbranch_vccnz .LBB8_406
; %bb.391:
	s_cmp_lt_i32 s16, 2
	s_mov_b32 s18, -1
	s_cbranch_scc1 .LBB8_401
; %bb.392:
	s_cmp_lt_i32 s16, 3
	s_cbranch_scc1 .LBB8_398
; %bb.393:
	s_cmp_gt_i32 s16, 3
	s_cbranch_scc0 .LBB8_395
; %bb.394:
	s_wait_xcnt 0x0
	s_delay_alu instid0(VALU_DEP_4) | instskip(SKIP_1) | instid1(VALU_DEP_1)
	v_trunc_f64_e32 v[2:3], v[0:1]
	s_mov_b32 s18, 0
	v_ldexp_f64 v[6:7], v[2:3], 0xffffffe0
	s_delay_alu instid0(VALU_DEP_1) | instskip(NEXT) | instid1(VALU_DEP_1)
	v_floor_f64_e32 v[6:7], v[6:7]
	v_fmamk_f64 v[2:3], v[6:7], 0xc1f00000, v[2:3]
	v_cvt_i32_f64_e32 v7, v[6:7]
	s_delay_alu instid0(VALU_DEP_2)
	v_cvt_u32_f64_e32 v6, v[2:3]
	global_store_b64 v[4:5], v[6:7], off
.LBB8_395:
	s_and_not1_b32 vcc_lo, exec_lo, s18
	s_cbranch_vccnz .LBB8_397
; %bb.396:
	s_wait_xcnt 0x0
	s_delay_alu instid0(VALU_DEP_4)
	v_cvt_i32_f64_e32 v2, v[0:1]
	global_store_b32 v[4:5], v2, off
.LBB8_397:
	s_mov_b32 s18, 0
.LBB8_398:
	s_delay_alu instid0(SALU_CYCLE_1)
	s_and_not1_b32 vcc_lo, exec_lo, s18
	s_cbranch_vccnz .LBB8_400
; %bb.399:
	s_wait_xcnt 0x0
	s_delay_alu instid0(VALU_DEP_4)
	v_cvt_i32_f64_e32 v2, v[0:1]
	global_store_b16 v[4:5], v2, off
.LBB8_400:
	s_mov_b32 s18, 0
.LBB8_401:
	s_delay_alu instid0(SALU_CYCLE_1)
	s_and_not1_b32 vcc_lo, exec_lo, s18
	s_cbranch_vccnz .LBB8_406
; %bb.402:
	s_cmp_gt_i32 s16, 0
	s_mov_b32 s16, -1
	s_cbranch_scc0 .LBB8_404
; %bb.403:
	s_wait_xcnt 0x0
	s_delay_alu instid0(VALU_DEP_4)
	v_cvt_i32_f64_e32 v2, v[0:1]
	s_mov_b32 s16, 0
	global_store_b8 v[4:5], v2, off
.LBB8_404:
	s_and_not1_b32 vcc_lo, exec_lo, s16
	s_cbranch_vccnz .LBB8_406
; %bb.405:
	s_wait_xcnt 0x0
	s_delay_alu instid0(VALU_DEP_4) | instskip(NEXT) | instid1(VALU_DEP_1)
	v_trunc_f64_e32 v[0:1], v[0:1]
	v_ldexp_f64 v[2:3], v[0:1], 0xffffffe0
	s_delay_alu instid0(VALU_DEP_1) | instskip(NEXT) | instid1(VALU_DEP_1)
	v_floor_f64_e32 v[2:3], v[2:3]
	v_fmamk_f64 v[0:1], v[2:3], 0xc1f00000, v[0:1]
	s_delay_alu instid0(VALU_DEP_1)
	v_cvt_u32_f64_e32 v0, v[0:1]
	global_store_b8 v[4:5], v0, off
.LBB8_406:
	s_mov_b32 s19, -1
.LBB8_407:
	s_delay_alu instid0(SALU_CYCLE_1)
	s_and_not1_b32 vcc_lo, exec_lo, s19
	s_cbranch_vccnz .LBB8_409
; %bb.408:
	v_add_nc_u32_e32 v14, 0x80, v14
	s_mov_b32 s18, -1
	s_branch .LBB8_522
.LBB8_409:
	s_mov_b32 s18, 0
	s_branch .LBB8_521
.LBB8_410:
	s_mov_b32 s15, -1
                                        ; implicit-def: $vgpr2_vgpr3
.LBB8_411:
	s_mov_b32 s18, 0
.LBB8_412:
	s_delay_alu instid0(SALU_CYCLE_1)
	s_and_b32 vcc_lo, exec_lo, s18
	s_cbranch_vccz .LBB8_416
; %bb.413:
	s_cmp_eq_u32 s0, 29
	s_cbranch_scc0 .LBB8_415
; %bb.414:
	s_wait_loadcnt 0x0
	global_load_b64 v[2:3], v[0:1], off
	s_mov_b32 s16, -1
	s_mov_b32 s15, 0
	s_mov_b32 s18, 0
	s_wait_loadcnt 0x0
	v_cvt_f64_u32_e32 v[4:5], v3
	v_cvt_f64_u32_e32 v[2:3], v2
	s_delay_alu instid0(VALU_DEP_2) | instskip(NEXT) | instid1(VALU_DEP_1)
	v_ldexp_f64 v[4:5], v[4:5], 32
	v_add_f64_e32 v[2:3], v[4:5], v[2:3]
	s_branch .LBB8_417
.LBB8_415:
	s_mov_b32 s15, -1
                                        ; implicit-def: $vgpr2_vgpr3
.LBB8_416:
	s_mov_b32 s18, 0
.LBB8_417:
	s_delay_alu instid0(SALU_CYCLE_1)
	s_and_b32 vcc_lo, exec_lo, s18
	s_cbranch_vccz .LBB8_435
; %bb.418:
	s_cmp_lt_i32 s0, 27
	s_cbranch_scc1 .LBB8_421
; %bb.419:
	s_cmp_gt_i32 s0, 27
	s_cbranch_scc0 .LBB8_422
; %bb.420:
	s_wait_loadcnt 0x0
	global_load_b32 v2, v[0:1], off
	s_mov_b32 s16, 0
	s_wait_loadcnt 0x0
	v_cvt_f64_u32_e32 v[2:3], v2
	s_branch .LBB8_423
.LBB8_421:
	s_mov_b32 s16, -1
                                        ; implicit-def: $vgpr2_vgpr3
	s_branch .LBB8_426
.LBB8_422:
	s_mov_b32 s16, -1
                                        ; implicit-def: $vgpr2_vgpr3
.LBB8_423:
	s_delay_alu instid0(SALU_CYCLE_1)
	s_and_not1_b32 vcc_lo, exec_lo, s16
	s_cbranch_vccnz .LBB8_425
; %bb.424:
	s_wait_loadcnt 0x0
	global_load_u16 v2, v[0:1], off
	s_wait_loadcnt 0x0
	v_cvt_f64_u32_e32 v[2:3], v2
.LBB8_425:
	s_mov_b32 s16, 0
.LBB8_426:
	s_delay_alu instid0(SALU_CYCLE_1)
	s_and_not1_b32 vcc_lo, exec_lo, s16
	s_cbranch_vccnz .LBB8_434
; %bb.427:
	global_load_u8 v4, v[0:1], off
	s_mov_b32 s16, 0
	s_mov_b32 s18, exec_lo
	s_wait_loadcnt 0x0
	v_cmpx_lt_i16_e32 0x7f, v4
	s_xor_b32 s18, exec_lo, s18
	s_cbranch_execz .LBB8_448
; %bb.428:
	s_mov_b32 s16, -1
	s_mov_b32 s19, exec_lo
	v_cmpx_eq_u16_e32 0x80, v4
; %bb.429:
	s_xor_b32 s16, exec_lo, -1
; %bb.430:
	s_or_b32 exec_lo, exec_lo, s19
	s_delay_alu instid0(SALU_CYCLE_1)
	s_and_b32 s16, s16, exec_lo
	s_or_saveexec_b32 s18, s18
	v_mov_b64_e32 v[2:3], 0x7ff8000020000000
	s_xor_b32 exec_lo, exec_lo, s18
	s_cbranch_execnz .LBB8_449
.LBB8_431:
	s_or_b32 exec_lo, exec_lo, s18
	s_and_saveexec_b32 s18, s16
	s_cbranch_execz .LBB8_433
.LBB8_432:
	v_and_b32_e32 v2, 0xffff, v4
	s_delay_alu instid0(VALU_DEP_1) | instskip(SKIP_1) | instid1(VALU_DEP_2)
	v_and_b32_e32 v3, 7, v2
	v_bfe_u32 v7, v2, 3, 4
	v_clz_i32_u32_e32 v5, v3
	s_delay_alu instid0(VALU_DEP_2) | instskip(NEXT) | instid1(VALU_DEP_2)
	v_cmp_eq_u32_e32 vcc_lo, 0, v7
	v_min_u32_e32 v5, 32, v5
	s_delay_alu instid0(VALU_DEP_1) | instskip(NEXT) | instid1(VALU_DEP_1)
	v_subrev_nc_u32_e32 v6, 28, v5
	v_dual_lshlrev_b32 v2, v6, v2 :: v_dual_sub_nc_u32 v5, 29, v5
	s_delay_alu instid0(VALU_DEP_1) | instskip(NEXT) | instid1(VALU_DEP_2)
	v_dual_lshlrev_b32 v4, 24, v4 :: v_dual_bitop2_b32 v2, 7, v2 bitop3:0x40
	v_cndmask_b32_e32 v5, v7, v5, vcc_lo
	s_delay_alu instid0(VALU_DEP_2) | instskip(NEXT) | instid1(VALU_DEP_3)
	v_cndmask_b32_e32 v2, v3, v2, vcc_lo
	v_and_b32_e32 v3, 0x80000000, v4
	s_delay_alu instid0(VALU_DEP_3) | instskip(NEXT) | instid1(VALU_DEP_3)
	v_lshl_add_u32 v4, v5, 23, 0x3b800000
	v_lshlrev_b32_e32 v2, 20, v2
	s_delay_alu instid0(VALU_DEP_1) | instskip(NEXT) | instid1(VALU_DEP_1)
	v_or3_b32 v2, v3, v4, v2
	v_cvt_f64_f32_e32 v[2:3], v2
.LBB8_433:
	s_or_b32 exec_lo, exec_lo, s18
.LBB8_434:
	s_mov_b32 s16, -1
.LBB8_435:
	s_mov_b32 s18, 0
.LBB8_436:
	s_delay_alu instid0(SALU_CYCLE_1)
	s_and_b32 vcc_lo, exec_lo, s18
	s_cbranch_vccz .LBB8_471
; %bb.437:
	s_cmp_gt_i32 s0, 22
	s_cbranch_scc0 .LBB8_447
; %bb.438:
	s_cmp_lt_i32 s0, 24
	s_cbranch_scc1 .LBB8_450
; %bb.439:
	s_cmp_gt_i32 s0, 24
	s_cbranch_scc0 .LBB8_451
; %bb.440:
	global_load_u8 v4, v[0:1], off
	s_mov_b32 s16, 0
	s_mov_b32 s18, exec_lo
	s_wait_loadcnt 0x0
	v_cmpx_lt_i16_e32 0x7f, v4
	s_xor_b32 s18, exec_lo, s18
	s_cbranch_execz .LBB8_463
; %bb.441:
	s_mov_b32 s16, -1
	s_mov_b32 s19, exec_lo
	v_cmpx_eq_u16_e32 0x80, v4
; %bb.442:
	s_xor_b32 s16, exec_lo, -1
; %bb.443:
	s_or_b32 exec_lo, exec_lo, s19
	s_delay_alu instid0(SALU_CYCLE_1)
	s_and_b32 s16, s16, exec_lo
	s_or_saveexec_b32 s18, s18
	v_mov_b64_e32 v[2:3], 0x7ff8000020000000
	s_xor_b32 exec_lo, exec_lo, s18
	s_cbranch_execnz .LBB8_464
.LBB8_444:
	s_or_b32 exec_lo, exec_lo, s18
	s_and_saveexec_b32 s18, s16
	s_cbranch_execz .LBB8_446
.LBB8_445:
	v_and_b32_e32 v2, 0xffff, v4
	s_delay_alu instid0(VALU_DEP_1) | instskip(SKIP_1) | instid1(VALU_DEP_2)
	v_and_b32_e32 v3, 3, v2
	v_bfe_u32 v7, v2, 2, 5
	v_clz_i32_u32_e32 v5, v3
	s_delay_alu instid0(VALU_DEP_2) | instskip(NEXT) | instid1(VALU_DEP_2)
	v_cmp_eq_u32_e32 vcc_lo, 0, v7
	v_min_u32_e32 v5, 32, v5
	s_delay_alu instid0(VALU_DEP_1) | instskip(NEXT) | instid1(VALU_DEP_1)
	v_subrev_nc_u32_e32 v6, 29, v5
	v_dual_lshlrev_b32 v2, v6, v2 :: v_dual_sub_nc_u32 v5, 30, v5
	s_delay_alu instid0(VALU_DEP_1) | instskip(NEXT) | instid1(VALU_DEP_2)
	v_dual_lshlrev_b32 v4, 24, v4 :: v_dual_bitop2_b32 v2, 3, v2 bitop3:0x40
	v_cndmask_b32_e32 v5, v7, v5, vcc_lo
	s_delay_alu instid0(VALU_DEP_2) | instskip(NEXT) | instid1(VALU_DEP_3)
	v_cndmask_b32_e32 v2, v3, v2, vcc_lo
	v_and_b32_e32 v3, 0x80000000, v4
	s_delay_alu instid0(VALU_DEP_3) | instskip(NEXT) | instid1(VALU_DEP_3)
	v_lshl_add_u32 v4, v5, 23, 0x37800000
	v_lshlrev_b32_e32 v2, 21, v2
	s_delay_alu instid0(VALU_DEP_1) | instskip(NEXT) | instid1(VALU_DEP_1)
	v_or3_b32 v2, v3, v4, v2
	v_cvt_f64_f32_e32 v[2:3], v2
.LBB8_446:
	s_or_b32 exec_lo, exec_lo, s18
	s_mov_b32 s16, 0
	s_branch .LBB8_452
.LBB8_447:
	s_mov_b32 s18, -1
                                        ; implicit-def: $vgpr2_vgpr3
	s_branch .LBB8_458
.LBB8_448:
	s_or_saveexec_b32 s18, s18
	v_mov_b64_e32 v[2:3], 0x7ff8000020000000
	s_xor_b32 exec_lo, exec_lo, s18
	s_cbranch_execz .LBB8_431
.LBB8_449:
	v_cmp_ne_u16_e32 vcc_lo, 0, v4
	v_mov_b64_e32 v[2:3], 0
	s_and_not1_b32 s16, s16, exec_lo
	s_and_b32 s19, vcc_lo, exec_lo
	s_delay_alu instid0(SALU_CYCLE_1)
	s_or_b32 s16, s16, s19
	s_or_b32 exec_lo, exec_lo, s18
	s_and_saveexec_b32 s18, s16
	s_cbranch_execnz .LBB8_432
	s_branch .LBB8_433
.LBB8_450:
	s_mov_b32 s16, -1
                                        ; implicit-def: $vgpr2_vgpr3
	s_branch .LBB8_455
.LBB8_451:
	s_mov_b32 s16, -1
                                        ; implicit-def: $vgpr2_vgpr3
.LBB8_452:
	s_delay_alu instid0(SALU_CYCLE_1)
	s_and_b32 vcc_lo, exec_lo, s16
	s_cbranch_vccz .LBB8_454
; %bb.453:
	s_wait_loadcnt 0x0
	global_load_u8 v2, v[0:1], off
	s_wait_loadcnt 0x0
	v_lshlrev_b32_e32 v2, 24, v2
	s_delay_alu instid0(VALU_DEP_1) | instskip(NEXT) | instid1(VALU_DEP_1)
	v_and_b32_e32 v3, 0x7f000000, v2
	v_clz_i32_u32_e32 v4, v3
	v_cmp_ne_u32_e32 vcc_lo, 0, v3
	v_add_nc_u32_e32 v6, 0x1000000, v3
	s_delay_alu instid0(VALU_DEP_3) | instskip(NEXT) | instid1(VALU_DEP_1)
	v_min_u32_e32 v4, 32, v4
	v_sub_nc_u32_e64 v4, v4, 4 clamp
	s_delay_alu instid0(VALU_DEP_1) | instskip(NEXT) | instid1(VALU_DEP_1)
	v_dual_lshlrev_b32 v5, v4, v3 :: v_dual_lshlrev_b32 v4, 23, v4
	v_lshrrev_b32_e32 v5, 4, v5
	s_delay_alu instid0(VALU_DEP_1) | instskip(NEXT) | instid1(VALU_DEP_1)
	v_dual_sub_nc_u32 v4, v5, v4 :: v_dual_ashrrev_i32 v5, 8, v6
	v_add_nc_u32_e32 v4, 0x3c000000, v4
	s_delay_alu instid0(VALU_DEP_1) | instskip(NEXT) | instid1(VALU_DEP_1)
	v_and_or_b32 v4, 0x7f800000, v5, v4
	v_cndmask_b32_e32 v3, 0, v4, vcc_lo
	s_delay_alu instid0(VALU_DEP_1) | instskip(NEXT) | instid1(VALU_DEP_1)
	v_and_or_b32 v2, 0x80000000, v2, v3
	v_cvt_f64_f32_e32 v[2:3], v2
.LBB8_454:
	s_mov_b32 s16, 0
.LBB8_455:
	s_delay_alu instid0(SALU_CYCLE_1)
	s_and_not1_b32 vcc_lo, exec_lo, s16
	s_cbranch_vccnz .LBB8_457
; %bb.456:
	s_wait_loadcnt 0x0
	global_load_u8 v2, v[0:1], off
	s_wait_loadcnt 0x0
	v_lshlrev_b32_e32 v3, 25, v2
	v_lshlrev_b16 v2, 8, v2
	s_delay_alu instid0(VALU_DEP_1) | instskip(SKIP_1) | instid1(VALU_DEP_2)
	v_and_or_b32 v5, 0x7f00, v2, 0.5
	v_bfe_i32 v2, v2, 0, 16
	v_dual_add_f32 v5, -0.5, v5 :: v_dual_lshrrev_b32 v4, 4, v3
	v_cmp_gt_u32_e32 vcc_lo, 0x8000000, v3
	s_delay_alu instid0(VALU_DEP_2) | instskip(NEXT) | instid1(VALU_DEP_1)
	v_or_b32_e32 v4, 0x70000000, v4
	v_mul_f32_e32 v4, 0x7800000, v4
	s_delay_alu instid0(VALU_DEP_1) | instskip(NEXT) | instid1(VALU_DEP_1)
	v_cndmask_b32_e32 v3, v4, v5, vcc_lo
	v_and_or_b32 v2, 0x80000000, v2, v3
	s_delay_alu instid0(VALU_DEP_1)
	v_cvt_f64_f32_e32 v[2:3], v2
.LBB8_457:
	s_mov_b32 s18, 0
	s_mov_b32 s16, -1
.LBB8_458:
	s_and_not1_b32 vcc_lo, exec_lo, s18
	s_cbranch_vccnz .LBB8_471
; %bb.459:
	s_cmp_gt_i32 s0, 14
	s_cbranch_scc0 .LBB8_462
; %bb.460:
	s_cmp_eq_u32 s0, 15
	s_cbranch_scc0 .LBB8_465
; %bb.461:
	s_wait_loadcnt 0x0
	global_load_u16 v2, v[0:1], off
	s_mov_b32 s16, -1
	s_mov_b32 s15, 0
	s_wait_loadcnt 0x0
	v_lshlrev_b32_e32 v2, 16, v2
	s_delay_alu instid0(VALU_DEP_1)
	v_cvt_f64_f32_e32 v[2:3], v2
	s_branch .LBB8_466
.LBB8_462:
	s_mov_b32 s18, -1
                                        ; implicit-def: $vgpr2_vgpr3
	s_branch .LBB8_467
.LBB8_463:
	s_or_saveexec_b32 s18, s18
	v_mov_b64_e32 v[2:3], 0x7ff8000020000000
	s_xor_b32 exec_lo, exec_lo, s18
	s_cbranch_execz .LBB8_444
.LBB8_464:
	v_cmp_ne_u16_e32 vcc_lo, 0, v4
	v_mov_b64_e32 v[2:3], 0
	s_and_not1_b32 s16, s16, exec_lo
	s_and_b32 s19, vcc_lo, exec_lo
	s_delay_alu instid0(SALU_CYCLE_1)
	s_or_b32 s16, s16, s19
	s_or_b32 exec_lo, exec_lo, s18
	s_and_saveexec_b32 s18, s16
	s_cbranch_execnz .LBB8_445
	s_branch .LBB8_446
.LBB8_465:
	s_mov_b32 s15, -1
                                        ; implicit-def: $vgpr2_vgpr3
.LBB8_466:
	s_mov_b32 s18, 0
.LBB8_467:
	s_delay_alu instid0(SALU_CYCLE_1)
	s_and_b32 vcc_lo, exec_lo, s18
	s_cbranch_vccz .LBB8_471
; %bb.468:
	s_cmp_eq_u32 s0, 11
	s_cbranch_scc0 .LBB8_470
; %bb.469:
	s_wait_loadcnt 0x0
	global_load_u8 v2, v[0:1], off
	s_mov_b32 s15, 0
	s_mov_b32 s16, -1
	s_wait_loadcnt 0x0
	v_cmp_ne_u16_e32 vcc_lo, 0, v2
	v_mov_b32_e32 v2, 0
	v_cndmask_b32_e64 v3, 0, 0x3ff00000, vcc_lo
	s_branch .LBB8_471
.LBB8_470:
	s_mov_b32 s15, -1
                                        ; implicit-def: $vgpr2_vgpr3
.LBB8_471:
	s_branch .LBB8_269
.LBB8_472:
	s_cmp_lt_i32 s0, 5
	s_cbranch_scc1 .LBB8_477
; %bb.473:
	s_cmp_lt_i32 s0, 8
	s_cbranch_scc1 .LBB8_478
; %bb.474:
	;; [unrolled: 3-line block ×3, first 2 shown]
	s_cmp_gt_i32 s0, 9
	s_cbranch_scc0 .LBB8_480
; %bb.476:
	s_wait_loadcnt 0x0
	global_load_b64 v[2:3], v[0:1], off
	s_mov_b32 s16, 0
	s_branch .LBB8_481
.LBB8_477:
	s_mov_b32 s16, -1
                                        ; implicit-def: $vgpr2_vgpr3
	s_branch .LBB8_499
.LBB8_478:
	s_mov_b32 s16, -1
                                        ; implicit-def: $vgpr2_vgpr3
	s_branch .LBB8_487
.LBB8_479:
	s_mov_b32 s16, -1
                                        ; implicit-def: $vgpr2_vgpr3
	s_branch .LBB8_484
.LBB8_480:
	s_mov_b32 s16, -1
                                        ; implicit-def: $vgpr2_vgpr3
.LBB8_481:
	s_delay_alu instid0(SALU_CYCLE_1)
	s_and_not1_b32 vcc_lo, exec_lo, s16
	s_cbranch_vccnz .LBB8_483
; %bb.482:
	s_wait_loadcnt 0x0
	global_load_b32 v2, v[0:1], off
	s_wait_loadcnt 0x0
	v_cvt_f64_f32_e32 v[2:3], v2
.LBB8_483:
	s_mov_b32 s16, 0
.LBB8_484:
	s_delay_alu instid0(SALU_CYCLE_1)
	s_and_not1_b32 vcc_lo, exec_lo, s16
	s_cbranch_vccnz .LBB8_486
; %bb.485:
	s_wait_loadcnt 0x0
	global_load_b32 v2, v[0:1], off
	s_wait_loadcnt 0x0
	v_cvt_f32_f16_e32 v2, v2
	s_delay_alu instid0(VALU_DEP_1)
	v_cvt_f64_f32_e32 v[2:3], v2
.LBB8_486:
	s_mov_b32 s16, 0
.LBB8_487:
	s_delay_alu instid0(SALU_CYCLE_1)
	s_and_not1_b32 vcc_lo, exec_lo, s16
	s_cbranch_vccnz .LBB8_498
; %bb.488:
	s_cmp_lt_i32 s0, 6
	s_cbranch_scc1 .LBB8_491
; %bb.489:
	s_cmp_gt_i32 s0, 6
	s_cbranch_scc0 .LBB8_492
; %bb.490:
	s_wait_loadcnt 0x0
	global_load_b64 v[2:3], v[0:1], off
	s_mov_b32 s16, 0
	s_branch .LBB8_493
.LBB8_491:
	s_mov_b32 s16, -1
                                        ; implicit-def: $vgpr2_vgpr3
	s_branch .LBB8_496
.LBB8_492:
	s_mov_b32 s16, -1
                                        ; implicit-def: $vgpr2_vgpr3
.LBB8_493:
	s_delay_alu instid0(SALU_CYCLE_1)
	s_and_not1_b32 vcc_lo, exec_lo, s16
	s_cbranch_vccnz .LBB8_495
; %bb.494:
	s_wait_loadcnt 0x0
	global_load_b32 v2, v[0:1], off
	s_wait_loadcnt 0x0
	v_cvt_f64_f32_e32 v[2:3], v2
.LBB8_495:
	s_mov_b32 s16, 0
.LBB8_496:
	s_delay_alu instid0(SALU_CYCLE_1)
	s_and_not1_b32 vcc_lo, exec_lo, s16
	s_cbranch_vccnz .LBB8_498
; %bb.497:
	s_wait_loadcnt 0x0
	global_load_u16 v2, v[0:1], off
	s_wait_loadcnt 0x0
	v_cvt_f32_f16_e32 v2, v2
	s_delay_alu instid0(VALU_DEP_1)
	v_cvt_f64_f32_e32 v[2:3], v2
.LBB8_498:
	s_mov_b32 s16, 0
.LBB8_499:
	s_delay_alu instid0(SALU_CYCLE_1)
	s_and_not1_b32 vcc_lo, exec_lo, s16
	s_cbranch_vccnz .LBB8_519
; %bb.500:
	s_cmp_lt_i32 s0, 2
	s_cbranch_scc1 .LBB8_504
; %bb.501:
	s_cmp_lt_i32 s0, 3
	s_cbranch_scc1 .LBB8_505
; %bb.502:
	s_cmp_gt_i32 s0, 3
	s_cbranch_scc0 .LBB8_506
; %bb.503:
	s_wait_loadcnt 0x0
	global_load_b64 v[2:3], v[0:1], off
	s_mov_b32 s16, 0
	s_wait_loadcnt 0x0
	v_cvt_f64_i32_e32 v[4:5], v3
	v_cvt_f64_u32_e32 v[2:3], v2
	s_delay_alu instid0(VALU_DEP_2) | instskip(NEXT) | instid1(VALU_DEP_1)
	v_ldexp_f64 v[4:5], v[4:5], 32
	v_add_f64_e32 v[2:3], v[4:5], v[2:3]
	s_branch .LBB8_507
.LBB8_504:
	s_mov_b32 s16, -1
                                        ; implicit-def: $vgpr2_vgpr3
	s_branch .LBB8_513
.LBB8_505:
	s_mov_b32 s16, -1
                                        ; implicit-def: $vgpr2_vgpr3
	s_branch .LBB8_510
.LBB8_506:
	s_mov_b32 s16, -1
                                        ; implicit-def: $vgpr2_vgpr3
.LBB8_507:
	s_delay_alu instid0(SALU_CYCLE_1)
	s_and_not1_b32 vcc_lo, exec_lo, s16
	s_cbranch_vccnz .LBB8_509
; %bb.508:
	s_wait_loadcnt 0x0
	global_load_b32 v2, v[0:1], off
	s_wait_loadcnt 0x0
	v_cvt_f64_i32_e32 v[2:3], v2
.LBB8_509:
	s_mov_b32 s16, 0
.LBB8_510:
	s_delay_alu instid0(SALU_CYCLE_1)
	s_and_not1_b32 vcc_lo, exec_lo, s16
	s_cbranch_vccnz .LBB8_512
; %bb.511:
	s_wait_loadcnt 0x0
	global_load_i16 v2, v[0:1], off
	s_wait_loadcnt 0x0
	v_cvt_f64_i32_e32 v[2:3], v2
.LBB8_512:
	s_mov_b32 s16, 0
.LBB8_513:
	s_delay_alu instid0(SALU_CYCLE_1)
	s_and_not1_b32 vcc_lo, exec_lo, s16
	s_cbranch_vccnz .LBB8_519
; %bb.514:
	s_cmp_gt_i32 s0, 0
	s_mov_b32 s0, 0
	s_cbranch_scc0 .LBB8_516
; %bb.515:
	s_wait_loadcnt 0x0
	global_load_i8 v2, v[0:1], off
	s_wait_loadcnt 0x0
	v_cvt_f64_i32_e32 v[2:3], v2
	s_branch .LBB8_517
.LBB8_516:
	s_mov_b32 s0, -1
                                        ; implicit-def: $vgpr2_vgpr3
.LBB8_517:
	s_delay_alu instid0(SALU_CYCLE_1)
	s_and_not1_b32 vcc_lo, exec_lo, s0
	s_cbranch_vccnz .LBB8_519
; %bb.518:
	global_load_u8 v0, v[0:1], off
	s_wait_loadcnt 0x0
	v_cvt_f64_u32_e32 v[2:3], v0
.LBB8_519:
	s_branch .LBB8_270
.LBB8_520:
	s_mov_b32 s18, 0
	s_mov_b32 s0, s11
.LBB8_521:
                                        ; implicit-def: $vgpr14
.LBB8_522:
	s_and_not1_b32 s16, s11, exec_lo
	s_and_b32 s0, s0, exec_lo
	s_and_not1_b32 s19, s13, exec_lo
	s_and_b32 s15, s15, exec_lo
	s_or_b32 s16, s16, s0
	s_or_b32 s15, s19, s15
	s_or_not1_b32 s0, s18, exec_lo
.LBB8_523:
	s_wait_xcnt 0x0
	s_or_b32 exec_lo, exec_lo, s17
	s_mov_b32 s18, 0
	s_mov_b32 s19, 0
	;; [unrolled: 1-line block ×3, first 2 shown]
                                        ; implicit-def: $vgpr0_vgpr1
                                        ; implicit-def: $vgpr2_vgpr3
	s_and_saveexec_b32 s17, s0
	s_cbranch_execz .LBB8_874
; %bb.524:
	s_mov_b32 s20, -1
	s_mov_b32 s0, s15
	s_mov_b32 s19, s16
	s_mov_b32 s18, exec_lo
	v_cmpx_gt_i32_e64 s12, v14
	s_cbranch_execz .LBB8_788
; %bb.525:
	v_mul_lo_u32 v0, v14, s3
	s_and_b32 s0, 0xffff, s9
	s_delay_alu instid0(SALU_CYCLE_1) | instskip(NEXT) | instid1(VALU_DEP_1)
	s_cmp_lt_i32 s0, 11
	v_ashrrev_i32_e32 v1, 31, v0
	s_delay_alu instid0(VALU_DEP_1)
	v_add_nc_u64_e32 v[0:1], s[6:7], v[0:1]
	s_cbranch_scc1 .LBB8_532
; %bb.526:
	s_cmp_gt_i32 s0, 25
	s_cbranch_scc0 .LBB8_533
; %bb.527:
	s_cmp_gt_i32 s0, 28
	s_cbranch_scc0 .LBB8_534
	;; [unrolled: 3-line block ×4, first 2 shown]
; %bb.530:
	s_cmp_eq_u32 s0, 46
	s_mov_b32 s21, 0
	s_cbranch_scc0 .LBB8_541
; %bb.531:
	s_wait_loadcnt 0x0
	global_load_b32 v2, v[0:1], off
	s_mov_b32 s19, 0
	s_wait_loadcnt 0x0
	v_lshlrev_b32_e32 v2, 16, v2
	s_delay_alu instid0(VALU_DEP_1)
	v_cvt_f64_f32_e32 v[2:3], v2
	s_branch .LBB8_543
.LBB8_532:
	s_mov_b32 s21, -1
	s_mov_b32 s20, 0
	s_mov_b32 s19, s15
                                        ; implicit-def: $vgpr2_vgpr3
	s_branch .LBB8_608
.LBB8_533:
	s_mov_b32 s21, -1
	s_mov_b32 s20, 0
	s_mov_b32 s19, s15
                                        ; implicit-def: $vgpr2_vgpr3
	s_branch .LBB8_572
.LBB8_534:
	s_mov_b32 s21, -1
	s_mov_b32 s20, 0
	s_mov_b32 s19, s15
                                        ; implicit-def: $vgpr2_vgpr3
	s_branch .LBB8_553
.LBB8_535:
	s_mov_b32 s21, -1
	s_mov_b32 s20, 0
	s_mov_b32 s19, s15
                                        ; implicit-def: $vgpr2_vgpr3
	s_branch .LBB8_548
.LBB8_536:
	s_and_not1_saveexec_b32 s21, s21
	s_cbranch_execz .LBB8_320
.LBB8_537:
	v_add_f32_e64 v3, 0x46000000, |v2|
	s_and_not1_b32 s20, s20, exec_lo
	s_delay_alu instid0(VALU_DEP_1) | instskip(NEXT) | instid1(VALU_DEP_1)
	v_and_b32_e32 v3, 0xff, v3
	v_cmp_ne_u32_e32 vcc_lo, 0, v3
	s_and_b32 s22, vcc_lo, exec_lo
	s_delay_alu instid0(SALU_CYCLE_1)
	s_or_b32 s20, s20, s22
	s_or_b32 exec_lo, exec_lo, s21
	v_mov_b32_e32 v6, 0
	s_and_saveexec_b32 s21, s20
	s_cbranch_execnz .LBB8_321
	s_branch .LBB8_322
.LBB8_538:
	s_mov_b32 s21, -1
	s_mov_b32 s20, 0
	s_mov_b32 s19, s15
	s_branch .LBB8_542
.LBB8_539:
	s_and_not1_saveexec_b32 s21, s21
	s_cbranch_execz .LBB8_333
.LBB8_540:
	v_add_f32_e64 v3, 0x42800000, |v2|
	s_and_not1_b32 s20, s20, exec_lo
	s_delay_alu instid0(VALU_DEP_1) | instskip(NEXT) | instid1(VALU_DEP_1)
	v_and_b32_e32 v3, 0xff, v3
	v_cmp_ne_u32_e32 vcc_lo, 0, v3
	s_and_b32 s22, vcc_lo, exec_lo
	s_delay_alu instid0(SALU_CYCLE_1)
	s_or_b32 s20, s20, s22
	s_or_b32 exec_lo, exec_lo, s21
	v_mov_b32_e32 v6, 0
	s_and_saveexec_b32 s21, s20
	s_cbranch_execnz .LBB8_334
	s_branch .LBB8_335
.LBB8_541:
	s_mov_b32 s19, -1
	s_mov_b32 s20, 0
.LBB8_542:
                                        ; implicit-def: $vgpr2_vgpr3
.LBB8_543:
	s_and_b32 vcc_lo, exec_lo, s21
	s_cbranch_vccz .LBB8_547
; %bb.544:
	s_cmp_eq_u32 s0, 44
	s_cbranch_scc0 .LBB8_546
; %bb.545:
	global_load_u8 v4, v[0:1], off
	s_mov_b32 s19, 0
	s_mov_b32 s20, -1
	s_wait_loadcnt 0x0
	v_cmp_ne_u32_e32 vcc_lo, 0xff, v4
	v_lshlrev_b32_e32 v2, 23, v4
	s_delay_alu instid0(VALU_DEP_1) | instskip(NEXT) | instid1(VALU_DEP_1)
	v_cvt_f64_f32_e32 v[2:3], v2
	v_cndmask_b32_e32 v2, 0x20000000, v2, vcc_lo
	s_delay_alu instid0(VALU_DEP_2) | instskip(SKIP_1) | instid1(VALU_DEP_2)
	v_cndmask_b32_e32 v3, 0x7ff80000, v3, vcc_lo
	v_cmp_ne_u32_e32 vcc_lo, 0, v4
	v_cndmask_b32_e32 v3, 0x38000000, v3, vcc_lo
	s_delay_alu instid0(VALU_DEP_4)
	v_cndmask_b32_e32 v2, 0, v2, vcc_lo
	s_branch .LBB8_547
.LBB8_546:
	s_mov_b32 s19, -1
                                        ; implicit-def: $vgpr2_vgpr3
.LBB8_547:
	s_mov_b32 s21, 0
.LBB8_548:
	s_delay_alu instid0(SALU_CYCLE_1)
	s_and_b32 vcc_lo, exec_lo, s21
	s_cbranch_vccz .LBB8_552
; %bb.549:
	s_cmp_eq_u32 s0, 29
	s_cbranch_scc0 .LBB8_551
; %bb.550:
	s_wait_loadcnt 0x0
	global_load_b64 v[2:3], v[0:1], off
	s_mov_b32 s20, -1
	s_mov_b32 s19, 0
	s_mov_b32 s21, 0
	s_wait_loadcnt 0x0
	v_cvt_f64_u32_e32 v[4:5], v3
	v_cvt_f64_u32_e32 v[2:3], v2
	s_delay_alu instid0(VALU_DEP_2) | instskip(NEXT) | instid1(VALU_DEP_1)
	v_ldexp_f64 v[4:5], v[4:5], 32
	v_add_f64_e32 v[2:3], v[4:5], v[2:3]
	s_branch .LBB8_553
.LBB8_551:
	s_mov_b32 s19, -1
                                        ; implicit-def: $vgpr2_vgpr3
.LBB8_552:
	s_mov_b32 s21, 0
.LBB8_553:
	s_delay_alu instid0(SALU_CYCLE_1)
	s_and_b32 vcc_lo, exec_lo, s21
	s_cbranch_vccz .LBB8_571
; %bb.554:
	s_cmp_lt_i32 s0, 27
	s_cbranch_scc1 .LBB8_557
; %bb.555:
	s_cmp_gt_i32 s0, 27
	s_cbranch_scc0 .LBB8_558
; %bb.556:
	s_wait_loadcnt 0x0
	global_load_b32 v2, v[0:1], off
	s_mov_b32 s20, 0
	s_wait_loadcnt 0x0
	v_cvt_f64_u32_e32 v[2:3], v2
	s_branch .LBB8_559
.LBB8_557:
	s_mov_b32 s20, -1
                                        ; implicit-def: $vgpr2_vgpr3
	s_branch .LBB8_562
.LBB8_558:
	s_mov_b32 s20, -1
                                        ; implicit-def: $vgpr2_vgpr3
.LBB8_559:
	s_delay_alu instid0(SALU_CYCLE_1)
	s_and_not1_b32 vcc_lo, exec_lo, s20
	s_cbranch_vccnz .LBB8_561
; %bb.560:
	s_wait_loadcnt 0x0
	global_load_u16 v2, v[0:1], off
	s_wait_loadcnt 0x0
	v_cvt_f64_u32_e32 v[2:3], v2
.LBB8_561:
	s_mov_b32 s20, 0
.LBB8_562:
	s_delay_alu instid0(SALU_CYCLE_1)
	s_and_not1_b32 vcc_lo, exec_lo, s20
	s_cbranch_vccnz .LBB8_570
; %bb.563:
	global_load_u8 v4, v[0:1], off
	s_mov_b32 s20, 0
	s_mov_b32 s21, exec_lo
	s_wait_loadcnt 0x0
	v_cmpx_lt_i16_e32 0x7f, v4
	s_xor_b32 s21, exec_lo, s21
	s_cbranch_execz .LBB8_584
; %bb.564:
	s_mov_b32 s20, -1
	s_mov_b32 s22, exec_lo
	v_cmpx_eq_u16_e32 0x80, v4
; %bb.565:
	s_xor_b32 s20, exec_lo, -1
; %bb.566:
	s_or_b32 exec_lo, exec_lo, s22
	s_delay_alu instid0(SALU_CYCLE_1)
	s_and_b32 s20, s20, exec_lo
	s_or_saveexec_b32 s21, s21
	v_mov_b64_e32 v[2:3], 0x7ff8000020000000
	s_xor_b32 exec_lo, exec_lo, s21
	s_cbranch_execnz .LBB8_585
.LBB8_567:
	s_or_b32 exec_lo, exec_lo, s21
	s_and_saveexec_b32 s21, s20
	s_cbranch_execz .LBB8_569
.LBB8_568:
	v_and_b32_e32 v2, 0xffff, v4
	s_delay_alu instid0(VALU_DEP_1) | instskip(SKIP_1) | instid1(VALU_DEP_2)
	v_and_b32_e32 v3, 7, v2
	v_bfe_u32 v7, v2, 3, 4
	v_clz_i32_u32_e32 v5, v3
	s_delay_alu instid0(VALU_DEP_2) | instskip(NEXT) | instid1(VALU_DEP_2)
	v_cmp_eq_u32_e32 vcc_lo, 0, v7
	v_min_u32_e32 v5, 32, v5
	s_delay_alu instid0(VALU_DEP_1) | instskip(NEXT) | instid1(VALU_DEP_1)
	v_subrev_nc_u32_e32 v6, 28, v5
	v_dual_lshlrev_b32 v2, v6, v2 :: v_dual_sub_nc_u32 v5, 29, v5
	s_delay_alu instid0(VALU_DEP_1) | instskip(NEXT) | instid1(VALU_DEP_2)
	v_dual_lshlrev_b32 v4, 24, v4 :: v_dual_bitop2_b32 v2, 7, v2 bitop3:0x40
	v_cndmask_b32_e32 v5, v7, v5, vcc_lo
	s_delay_alu instid0(VALU_DEP_2) | instskip(NEXT) | instid1(VALU_DEP_3)
	v_cndmask_b32_e32 v2, v3, v2, vcc_lo
	v_and_b32_e32 v3, 0x80000000, v4
	s_delay_alu instid0(VALU_DEP_3) | instskip(NEXT) | instid1(VALU_DEP_3)
	v_lshl_add_u32 v4, v5, 23, 0x3b800000
	v_lshlrev_b32_e32 v2, 20, v2
	s_delay_alu instid0(VALU_DEP_1) | instskip(NEXT) | instid1(VALU_DEP_1)
	v_or3_b32 v2, v3, v4, v2
	v_cvt_f64_f32_e32 v[2:3], v2
.LBB8_569:
	s_or_b32 exec_lo, exec_lo, s21
.LBB8_570:
	s_mov_b32 s20, -1
.LBB8_571:
	s_mov_b32 s21, 0
.LBB8_572:
	s_delay_alu instid0(SALU_CYCLE_1)
	s_and_b32 vcc_lo, exec_lo, s21
	s_cbranch_vccz .LBB8_607
; %bb.573:
	s_cmp_gt_i32 s0, 22
	s_cbranch_scc0 .LBB8_583
; %bb.574:
	s_cmp_lt_i32 s0, 24
	s_cbranch_scc1 .LBB8_586
; %bb.575:
	s_cmp_gt_i32 s0, 24
	s_cbranch_scc0 .LBB8_587
; %bb.576:
	global_load_u8 v4, v[0:1], off
	s_mov_b32 s20, 0
	s_mov_b32 s21, exec_lo
	s_wait_loadcnt 0x0
	v_cmpx_lt_i16_e32 0x7f, v4
	s_xor_b32 s21, exec_lo, s21
	s_cbranch_execz .LBB8_599
; %bb.577:
	s_mov_b32 s20, -1
	s_mov_b32 s22, exec_lo
	v_cmpx_eq_u16_e32 0x80, v4
; %bb.578:
	s_xor_b32 s20, exec_lo, -1
; %bb.579:
	s_or_b32 exec_lo, exec_lo, s22
	s_delay_alu instid0(SALU_CYCLE_1)
	s_and_b32 s20, s20, exec_lo
	s_or_saveexec_b32 s21, s21
	v_mov_b64_e32 v[2:3], 0x7ff8000020000000
	s_xor_b32 exec_lo, exec_lo, s21
	s_cbranch_execnz .LBB8_600
.LBB8_580:
	s_or_b32 exec_lo, exec_lo, s21
	s_and_saveexec_b32 s21, s20
	s_cbranch_execz .LBB8_582
.LBB8_581:
	v_and_b32_e32 v2, 0xffff, v4
	s_delay_alu instid0(VALU_DEP_1) | instskip(SKIP_1) | instid1(VALU_DEP_2)
	v_and_b32_e32 v3, 3, v2
	v_bfe_u32 v7, v2, 2, 5
	v_clz_i32_u32_e32 v5, v3
	s_delay_alu instid0(VALU_DEP_2) | instskip(NEXT) | instid1(VALU_DEP_2)
	v_cmp_eq_u32_e32 vcc_lo, 0, v7
	v_min_u32_e32 v5, 32, v5
	s_delay_alu instid0(VALU_DEP_1) | instskip(NEXT) | instid1(VALU_DEP_1)
	v_subrev_nc_u32_e32 v6, 29, v5
	v_dual_lshlrev_b32 v2, v6, v2 :: v_dual_sub_nc_u32 v5, 30, v5
	s_delay_alu instid0(VALU_DEP_1) | instskip(NEXT) | instid1(VALU_DEP_2)
	v_dual_lshlrev_b32 v4, 24, v4 :: v_dual_bitop2_b32 v2, 3, v2 bitop3:0x40
	v_cndmask_b32_e32 v5, v7, v5, vcc_lo
	s_delay_alu instid0(VALU_DEP_2) | instskip(NEXT) | instid1(VALU_DEP_3)
	v_cndmask_b32_e32 v2, v3, v2, vcc_lo
	v_and_b32_e32 v3, 0x80000000, v4
	s_delay_alu instid0(VALU_DEP_3) | instskip(NEXT) | instid1(VALU_DEP_3)
	v_lshl_add_u32 v4, v5, 23, 0x37800000
	v_lshlrev_b32_e32 v2, 21, v2
	s_delay_alu instid0(VALU_DEP_1) | instskip(NEXT) | instid1(VALU_DEP_1)
	v_or3_b32 v2, v3, v4, v2
	v_cvt_f64_f32_e32 v[2:3], v2
.LBB8_582:
	s_or_b32 exec_lo, exec_lo, s21
	s_mov_b32 s20, 0
	s_branch .LBB8_588
.LBB8_583:
	s_mov_b32 s21, -1
                                        ; implicit-def: $vgpr2_vgpr3
	s_branch .LBB8_594
.LBB8_584:
	s_or_saveexec_b32 s21, s21
	v_mov_b64_e32 v[2:3], 0x7ff8000020000000
	s_xor_b32 exec_lo, exec_lo, s21
	s_cbranch_execz .LBB8_567
.LBB8_585:
	v_cmp_ne_u16_e32 vcc_lo, 0, v4
	v_mov_b64_e32 v[2:3], 0
	s_and_not1_b32 s20, s20, exec_lo
	s_and_b32 s22, vcc_lo, exec_lo
	s_delay_alu instid0(SALU_CYCLE_1)
	s_or_b32 s20, s20, s22
	s_or_b32 exec_lo, exec_lo, s21
	s_and_saveexec_b32 s21, s20
	s_cbranch_execnz .LBB8_568
	s_branch .LBB8_569
.LBB8_586:
	s_mov_b32 s20, -1
                                        ; implicit-def: $vgpr2_vgpr3
	s_branch .LBB8_591
.LBB8_587:
	s_mov_b32 s20, -1
                                        ; implicit-def: $vgpr2_vgpr3
.LBB8_588:
	s_delay_alu instid0(SALU_CYCLE_1)
	s_and_b32 vcc_lo, exec_lo, s20
	s_cbranch_vccz .LBB8_590
; %bb.589:
	s_wait_loadcnt 0x0
	global_load_u8 v2, v[0:1], off
	s_wait_loadcnt 0x0
	v_lshlrev_b32_e32 v2, 24, v2
	s_delay_alu instid0(VALU_DEP_1) | instskip(NEXT) | instid1(VALU_DEP_1)
	v_and_b32_e32 v3, 0x7f000000, v2
	v_clz_i32_u32_e32 v4, v3
	v_cmp_ne_u32_e32 vcc_lo, 0, v3
	v_add_nc_u32_e32 v6, 0x1000000, v3
	s_delay_alu instid0(VALU_DEP_3) | instskip(NEXT) | instid1(VALU_DEP_1)
	v_min_u32_e32 v4, 32, v4
	v_sub_nc_u32_e64 v4, v4, 4 clamp
	s_delay_alu instid0(VALU_DEP_1) | instskip(NEXT) | instid1(VALU_DEP_1)
	v_dual_lshlrev_b32 v5, v4, v3 :: v_dual_lshlrev_b32 v4, 23, v4
	v_lshrrev_b32_e32 v5, 4, v5
	s_delay_alu instid0(VALU_DEP_1) | instskip(NEXT) | instid1(VALU_DEP_1)
	v_dual_sub_nc_u32 v4, v5, v4 :: v_dual_ashrrev_i32 v5, 8, v6
	v_add_nc_u32_e32 v4, 0x3c000000, v4
	s_delay_alu instid0(VALU_DEP_1) | instskip(NEXT) | instid1(VALU_DEP_1)
	v_and_or_b32 v4, 0x7f800000, v5, v4
	v_cndmask_b32_e32 v3, 0, v4, vcc_lo
	s_delay_alu instid0(VALU_DEP_1) | instskip(NEXT) | instid1(VALU_DEP_1)
	v_and_or_b32 v2, 0x80000000, v2, v3
	v_cvt_f64_f32_e32 v[2:3], v2
.LBB8_590:
	s_mov_b32 s20, 0
.LBB8_591:
	s_delay_alu instid0(SALU_CYCLE_1)
	s_and_not1_b32 vcc_lo, exec_lo, s20
	s_cbranch_vccnz .LBB8_593
; %bb.592:
	s_wait_loadcnt 0x0
	global_load_u8 v2, v[0:1], off
	s_wait_loadcnt 0x0
	v_lshlrev_b32_e32 v3, 25, v2
	v_lshlrev_b16 v2, 8, v2
	s_delay_alu instid0(VALU_DEP_1) | instskip(SKIP_1) | instid1(VALU_DEP_2)
	v_and_or_b32 v5, 0x7f00, v2, 0.5
	v_bfe_i32 v2, v2, 0, 16
	v_dual_add_f32 v5, -0.5, v5 :: v_dual_lshrrev_b32 v4, 4, v3
	v_cmp_gt_u32_e32 vcc_lo, 0x8000000, v3
	s_delay_alu instid0(VALU_DEP_2) | instskip(NEXT) | instid1(VALU_DEP_1)
	v_or_b32_e32 v4, 0x70000000, v4
	v_mul_f32_e32 v4, 0x7800000, v4
	s_delay_alu instid0(VALU_DEP_1) | instskip(NEXT) | instid1(VALU_DEP_1)
	v_cndmask_b32_e32 v3, v4, v5, vcc_lo
	v_and_or_b32 v2, 0x80000000, v2, v3
	s_delay_alu instid0(VALU_DEP_1)
	v_cvt_f64_f32_e32 v[2:3], v2
.LBB8_593:
	s_mov_b32 s21, 0
	s_mov_b32 s20, -1
.LBB8_594:
	s_and_not1_b32 vcc_lo, exec_lo, s21
	s_cbranch_vccnz .LBB8_607
; %bb.595:
	s_cmp_gt_i32 s0, 14
	s_cbranch_scc0 .LBB8_598
; %bb.596:
	s_cmp_eq_u32 s0, 15
	s_cbranch_scc0 .LBB8_601
; %bb.597:
	s_wait_loadcnt 0x0
	global_load_u16 v2, v[0:1], off
	s_mov_b32 s20, -1
	s_mov_b32 s19, 0
	s_wait_loadcnt 0x0
	v_lshlrev_b32_e32 v2, 16, v2
	s_delay_alu instid0(VALU_DEP_1)
	v_cvt_f64_f32_e32 v[2:3], v2
	s_branch .LBB8_602
.LBB8_598:
	s_mov_b32 s21, -1
                                        ; implicit-def: $vgpr2_vgpr3
	s_branch .LBB8_603
.LBB8_599:
	s_or_saveexec_b32 s21, s21
	v_mov_b64_e32 v[2:3], 0x7ff8000020000000
	s_xor_b32 exec_lo, exec_lo, s21
	s_cbranch_execz .LBB8_580
.LBB8_600:
	v_cmp_ne_u16_e32 vcc_lo, 0, v4
	v_mov_b64_e32 v[2:3], 0
	s_and_not1_b32 s20, s20, exec_lo
	s_and_b32 s22, vcc_lo, exec_lo
	s_delay_alu instid0(SALU_CYCLE_1)
	s_or_b32 s20, s20, s22
	s_or_b32 exec_lo, exec_lo, s21
	s_and_saveexec_b32 s21, s20
	s_cbranch_execnz .LBB8_581
	s_branch .LBB8_582
.LBB8_601:
	s_mov_b32 s19, -1
                                        ; implicit-def: $vgpr2_vgpr3
.LBB8_602:
	s_mov_b32 s21, 0
.LBB8_603:
	s_delay_alu instid0(SALU_CYCLE_1)
	s_and_b32 vcc_lo, exec_lo, s21
	s_cbranch_vccz .LBB8_607
; %bb.604:
	s_cmp_eq_u32 s0, 11
	s_cbranch_scc0 .LBB8_606
; %bb.605:
	s_wait_loadcnt 0x0
	global_load_u8 v2, v[0:1], off
	s_mov_b32 s19, 0
	s_mov_b32 s20, -1
	s_wait_loadcnt 0x0
	v_cmp_ne_u16_e32 vcc_lo, 0, v2
	v_mov_b32_e32 v2, 0
	v_cndmask_b32_e64 v3, 0, 0x3ff00000, vcc_lo
	s_branch .LBB8_607
.LBB8_606:
	s_mov_b32 s19, -1
                                        ; implicit-def: $vgpr2_vgpr3
.LBB8_607:
	s_mov_b32 s21, 0
.LBB8_608:
	s_delay_alu instid0(SALU_CYCLE_1)
	s_and_b32 vcc_lo, exec_lo, s21
	s_cbranch_vccz .LBB8_657
; %bb.609:
	s_cmp_lt_i32 s0, 5
	s_cbranch_scc1 .LBB8_614
; %bb.610:
	s_cmp_lt_i32 s0, 8
	s_cbranch_scc1 .LBB8_615
; %bb.611:
	s_cmp_lt_i32 s0, 9
	s_cbranch_scc1 .LBB8_616
; %bb.612:
	s_cmp_gt_i32 s0, 9
	s_cbranch_scc0 .LBB8_617
; %bb.613:
	s_wait_loadcnt 0x0
	global_load_b64 v[2:3], v[0:1], off
	s_mov_b32 s20, 0
	s_branch .LBB8_618
.LBB8_614:
	s_mov_b32 s20, -1
                                        ; implicit-def: $vgpr2_vgpr3
	s_branch .LBB8_636
.LBB8_615:
	s_mov_b32 s20, -1
                                        ; implicit-def: $vgpr2_vgpr3
	s_branch .LBB8_624
.LBB8_616:
	s_mov_b32 s20, -1
                                        ; implicit-def: $vgpr2_vgpr3
	s_branch .LBB8_621
.LBB8_617:
	s_mov_b32 s20, -1
                                        ; implicit-def: $vgpr2_vgpr3
.LBB8_618:
	s_delay_alu instid0(SALU_CYCLE_1)
	s_and_not1_b32 vcc_lo, exec_lo, s20
	s_cbranch_vccnz .LBB8_620
; %bb.619:
	s_wait_loadcnt 0x0
	global_load_b32 v2, v[0:1], off
	s_wait_loadcnt 0x0
	v_cvt_f64_f32_e32 v[2:3], v2
.LBB8_620:
	s_mov_b32 s20, 0
.LBB8_621:
	s_delay_alu instid0(SALU_CYCLE_1)
	s_and_not1_b32 vcc_lo, exec_lo, s20
	s_cbranch_vccnz .LBB8_623
; %bb.622:
	s_wait_loadcnt 0x0
	global_load_b32 v2, v[0:1], off
	s_wait_loadcnt 0x0
	v_cvt_f32_f16_e32 v2, v2
	s_delay_alu instid0(VALU_DEP_1)
	v_cvt_f64_f32_e32 v[2:3], v2
.LBB8_623:
	s_mov_b32 s20, 0
.LBB8_624:
	s_delay_alu instid0(SALU_CYCLE_1)
	s_and_not1_b32 vcc_lo, exec_lo, s20
	s_cbranch_vccnz .LBB8_635
; %bb.625:
	s_cmp_lt_i32 s0, 6
	s_cbranch_scc1 .LBB8_628
; %bb.626:
	s_cmp_gt_i32 s0, 6
	s_cbranch_scc0 .LBB8_629
; %bb.627:
	s_wait_loadcnt 0x0
	global_load_b64 v[2:3], v[0:1], off
	s_mov_b32 s20, 0
	s_branch .LBB8_630
.LBB8_628:
	s_mov_b32 s20, -1
                                        ; implicit-def: $vgpr2_vgpr3
	s_branch .LBB8_633
.LBB8_629:
	s_mov_b32 s20, -1
                                        ; implicit-def: $vgpr2_vgpr3
.LBB8_630:
	s_delay_alu instid0(SALU_CYCLE_1)
	s_and_not1_b32 vcc_lo, exec_lo, s20
	s_cbranch_vccnz .LBB8_632
; %bb.631:
	s_wait_loadcnt 0x0
	global_load_b32 v2, v[0:1], off
	s_wait_loadcnt 0x0
	v_cvt_f64_f32_e32 v[2:3], v2
.LBB8_632:
	s_mov_b32 s20, 0
.LBB8_633:
	s_delay_alu instid0(SALU_CYCLE_1)
	s_and_not1_b32 vcc_lo, exec_lo, s20
	s_cbranch_vccnz .LBB8_635
; %bb.634:
	s_wait_loadcnt 0x0
	global_load_u16 v2, v[0:1], off
	s_wait_loadcnt 0x0
	v_cvt_f32_f16_e32 v2, v2
	s_delay_alu instid0(VALU_DEP_1)
	v_cvt_f64_f32_e32 v[2:3], v2
.LBB8_635:
	s_mov_b32 s20, 0
.LBB8_636:
	s_delay_alu instid0(SALU_CYCLE_1)
	s_and_not1_b32 vcc_lo, exec_lo, s20
	s_cbranch_vccnz .LBB8_656
; %bb.637:
	s_cmp_lt_i32 s0, 2
	s_cbranch_scc1 .LBB8_641
; %bb.638:
	s_cmp_lt_i32 s0, 3
	s_cbranch_scc1 .LBB8_642
; %bb.639:
	s_cmp_gt_i32 s0, 3
	s_cbranch_scc0 .LBB8_643
; %bb.640:
	s_wait_loadcnt 0x0
	global_load_b64 v[2:3], v[0:1], off
	s_mov_b32 s20, 0
	s_wait_loadcnt 0x0
	v_cvt_f64_i32_e32 v[4:5], v3
	v_cvt_f64_u32_e32 v[2:3], v2
	s_delay_alu instid0(VALU_DEP_2) | instskip(NEXT) | instid1(VALU_DEP_1)
	v_ldexp_f64 v[4:5], v[4:5], 32
	v_add_f64_e32 v[2:3], v[4:5], v[2:3]
	s_branch .LBB8_644
.LBB8_641:
	s_mov_b32 s20, -1
                                        ; implicit-def: $vgpr2_vgpr3
	s_branch .LBB8_650
.LBB8_642:
	s_mov_b32 s20, -1
                                        ; implicit-def: $vgpr2_vgpr3
	s_branch .LBB8_647
.LBB8_643:
	s_mov_b32 s20, -1
                                        ; implicit-def: $vgpr2_vgpr3
.LBB8_644:
	s_delay_alu instid0(SALU_CYCLE_1)
	s_and_not1_b32 vcc_lo, exec_lo, s20
	s_cbranch_vccnz .LBB8_646
; %bb.645:
	s_wait_loadcnt 0x0
	global_load_b32 v2, v[0:1], off
	s_wait_loadcnt 0x0
	v_cvt_f64_i32_e32 v[2:3], v2
.LBB8_646:
	s_mov_b32 s20, 0
.LBB8_647:
	s_delay_alu instid0(SALU_CYCLE_1)
	s_and_not1_b32 vcc_lo, exec_lo, s20
	s_cbranch_vccnz .LBB8_649
; %bb.648:
	s_wait_loadcnt 0x0
	global_load_i16 v2, v[0:1], off
	s_wait_loadcnt 0x0
	v_cvt_f64_i32_e32 v[2:3], v2
.LBB8_649:
	s_mov_b32 s20, 0
.LBB8_650:
	s_delay_alu instid0(SALU_CYCLE_1)
	s_and_not1_b32 vcc_lo, exec_lo, s20
	s_cbranch_vccnz .LBB8_656
; %bb.651:
	s_cmp_gt_i32 s0, 0
	s_mov_b32 s0, 0
	s_cbranch_scc0 .LBB8_653
; %bb.652:
	s_wait_loadcnt 0x0
	global_load_i8 v2, v[0:1], off
	s_wait_loadcnt 0x0
	v_cvt_f64_i32_e32 v[2:3], v2
	s_branch .LBB8_654
.LBB8_653:
	s_mov_b32 s0, -1
                                        ; implicit-def: $vgpr2_vgpr3
.LBB8_654:
	s_delay_alu instid0(SALU_CYCLE_1)
	s_and_not1_b32 vcc_lo, exec_lo, s0
	s_cbranch_vccnz .LBB8_656
; %bb.655:
	global_load_u8 v0, v[0:1], off
	s_wait_loadcnt 0x0
	v_cvt_f64_u32_e32 v[2:3], v0
.LBB8_656:
	s_mov_b32 s20, -1
.LBB8_657:
	s_delay_alu instid0(SALU_CYCLE_1)
	s_and_not1_b32 vcc_lo, exec_lo, s20
	s_cbranch_vccnz .LBB8_669
; %bb.658:
	s_wait_loadcnt 0x0
	s_delay_alu instid0(VALU_DEP_1) | instskip(SKIP_2) | instid1(SALU_CYCLE_1)
	v_cmp_ge_f64_e64 s0, 0x40200000, |v[2:3]|
                                        ; implicit-def: $vgpr0_vgpr1
	s_wait_xcnt 0x0
	s_and_saveexec_b32 s20, s0
	s_xor_b32 s0, exec_lo, s20
	s_cbranch_execz .LBB8_660
; %bb.659:
	v_fma_f64 v[0:1], |v[2:3]|, 0.5, -2.0
	s_mov_b64 s[20:21], 0xbc545cb72134d0ef
	s_delay_alu instid0(VALU_DEP_1) | instid1(SALU_CYCLE_1)
	v_fmaak_f64 v[4:5], s[20:21], v[0:1], 0x3c833362977da589
	s_mov_b64 s[20:21], 0x3ff71547652b82fe
	s_delay_alu instid0(SALU_CYCLE_1) | instskip(SKIP_1) | instid1(VALU_DEP_2)
	v_mul_f64_e64 v[8:9], |v[2:3]|, s[20:21]
	s_mov_b64 s[20:21], 0xbfe62e42fefa39ef
	v_fmaak_f64 v[6:7], v[0:1], v[4:5], 0x3c545cb72134d0ef
	s_delay_alu instid0(VALU_DEP_1) | instskip(NEXT) | instid1(VALU_DEP_3)
	v_add_f64_e32 v[6:7], 0xbcb184eb721ebbb4, v[6:7]
	v_rndne_f64_e32 v[8:9], v[8:9]
	s_delay_alu instid0(VALU_DEP_2) | instskip(NEXT) | instid1(VALU_DEP_2)
	v_fma_f64 v[4:5], v[0:1], v[6:7], -v[4:5]
	v_fma_f64 v[2:3], v[8:9], s[20:21], |v[2:3]|
	s_mov_b64 s[20:21], 0x3e5ade156a5dcb37
	s_delay_alu instid0(VALU_DEP_2) | instskip(NEXT) | instid1(VALU_DEP_2)
	v_add_f64_e32 v[4:5], 0x3cdee6d893f65eba, v[4:5]
	v_fmamk_f64 v[2:3], v[8:9], 0xbc7abc9e3b39803f, v[2:3]
	s_delay_alu instid0(VALU_DEP_1) | instskip(NEXT) | instid1(VALU_DEP_3)
	v_fmaak_f64 v[10:11], s[20:21], v[2:3], 0x3e928af3fca7ab0c
	v_fma_f64 v[6:7], v[0:1], v[4:5], -v[6:7]
	s_delay_alu instid0(VALU_DEP_2) | instskip(NEXT) | instid1(VALU_DEP_1)
	v_fmaak_f64 v[10:11], v[2:3], v[10:11], 0x3ec71dee623fde64
	v_fmaak_f64 v[10:11], v[2:3], v[10:11], 0x3efa01997c89e6b0
	s_delay_alu instid0(VALU_DEP_1) | instskip(NEXT) | instid1(VALU_DEP_1)
	v_fmaak_f64 v[10:11], v[2:3], v[10:11], 0x3f2a01a014761f6e
	v_fmaak_f64 v[10:11], v[2:3], v[10:11], 0x3f56c16c1852b7b0
	v_add_f64_e32 v[6:7], 0xbd0a5022c297fbeb, v[6:7]
	s_delay_alu instid0(VALU_DEP_1) | instskip(NEXT) | instid1(VALU_DEP_1)
	v_fma_f64 v[4:5], v[0:1], v[6:7], -v[4:5]
	v_add_f64_e32 v[4:5], 0x3d359b464b262627, v[4:5]
	s_delay_alu instid0(VALU_DEP_1) | instskip(NEXT) | instid1(VALU_DEP_1)
	v_fma_f64 v[6:7], v[0:1], v[4:5], -v[6:7]
	;; [unrolled: 3-line block ×24, first 2 shown]
	v_add_f64_e32 v[6:7], 0xbfd37febc057cd8d, v[6:7]
	s_delay_alu instid0(VALU_DEP_1) | instskip(SKIP_1) | instid1(VALU_DEP_1)
	v_fma_f64 v[0:1], v[0:1], v[6:7], -v[4:5]
	v_fmaak_f64 v[6:7], v[2:3], v[10:11], 0x3f81111111122322
	v_fmaak_f64 v[6:7], v[2:3], v[6:7], 0x3fa55555555502a1
	s_delay_alu instid0(VALU_DEP_1) | instskip(NEXT) | instid1(VALU_DEP_1)
	v_fmaak_f64 v[6:7], v[2:3], v[6:7], 0x3fc5555555555511
	v_fmaak_f64 v[6:7], v[2:3], v[6:7], 0x3fe000000000000b
	s_delay_alu instid0(VALU_DEP_1) | instskip(SKIP_1) | instid1(VALU_DEP_2)
	v_fma_f64 v[6:7], v[2:3], v[6:7], 1.0
	v_add_f64_e32 v[0:1], 0x3fe5a84e9035a22a, v[0:1]
	v_fma_f64 v[2:3], v[2:3], v[6:7], 1.0
	v_cvt_i32_f64_e32 v6, v[8:9]
	s_delay_alu instid0(VALU_DEP_3) | instskip(NEXT) | instid1(VALU_DEP_2)
	v_add_f64_e64 v[0:1], v[0:1], -v[4:5]
	v_ldexp_f64 v[2:3], v[2:3], v6
	s_delay_alu instid0(VALU_DEP_2) | instskip(NEXT) | instid1(VALU_DEP_1)
	v_mul_f64_e32 v[0:1], 0.5, v[0:1]
	v_mul_f64_e32 v[0:1], v[2:3], v[0:1]
                                        ; implicit-def: $vgpr2_vgpr3
.LBB8_660:
	s_and_not1_saveexec_b32 s0, s0
	s_cbranch_execz .LBB8_662
; %bb.661:
	v_and_b32_e32 v1, 0x7fffffff, v3
	v_mov_b32_e32 v0, v2
	s_mov_b64 s[20:21], 0xbc60adb754ca8b19
	v_cmp_gt_f64_e64 s22, 0x10000000, |v[2:3]|
	s_delay_alu instid0(VALU_DEP_2) | instskip(SKIP_1) | instid1(VALU_DEP_2)
	v_div_scale_f64 v[4:5], null, v[0:1], v[0:1], 0x40400000
	v_div_scale_f64 v[0:1], vcc_lo, 0x40400000, v[0:1], 0x40400000
	v_rcp_f64_e32 v[6:7], v[4:5]
	v_nop
	s_delay_alu instid0(TRANS32_DEP_1) | instskip(NEXT) | instid1(VALU_DEP_1)
	v_fma_f64 v[8:9], -v[4:5], v[6:7], 1.0
	v_fmac_f64_e32 v[6:7], v[6:7], v[8:9]
	s_delay_alu instid0(VALU_DEP_1) | instskip(NEXT) | instid1(VALU_DEP_1)
	v_fma_f64 v[8:9], -v[4:5], v[6:7], 1.0
	v_fmac_f64_e32 v[6:7], v[6:7], v[8:9]
	s_delay_alu instid0(VALU_DEP_1) | instskip(NEXT) | instid1(VALU_DEP_1)
	v_mul_f64_e32 v[8:9], v[0:1], v[6:7]
	v_fma_f64 v[0:1], -v[4:5], v[8:9], v[0:1]
	s_delay_alu instid0(VALU_DEP_1) | instskip(SKIP_2) | instid1(VALU_DEP_2)
	v_div_fmas_f64 v[0:1], v[0:1], v[6:7], v[8:9]
	v_cndmask_b32_e64 v8, 0, 0x100, s22
	v_cmp_nlt_f64_e64 vcc_lo, 0x40900000, |v[2:3]|
	v_ldexp_f64 v[8:9], |v[2:3]|, v8
	s_delay_alu instid0(VALU_DEP_4) | instskip(NEXT) | instid1(VALU_DEP_2)
	v_div_fixup_f64 v[0:1], v[0:1], |v[2:3]|, 0x40400000
	v_rsq_f64_e32 v[12:13], v[8:9]
	s_delay_alu instid0(VALU_DEP_1) | instskip(NEXT) | instid1(TRANS32_DEP_1)
	v_add_f64_e32 v[0:1], -2.0, v[0:1]
	v_mul_f64_e32 v[16:17], v[8:9], v[12:13]
	v_mul_f64_e32 v[12:13], 0.5, v[12:13]
	s_delay_alu instid0(VALU_DEP_3) | instskip(SKIP_1) | instid1(SALU_CYCLE_1)
	v_fmaak_f64 v[4:5], s[20:21], v[0:1], 0xbc5646da66119130
	s_mov_b64 s[20:21], 0x3ff71547652b82fe
	v_mul_f64_e64 v[10:11], |v[2:3]|, s[20:21]
	s_mov_b64 s[20:21], 0xbfe62e42fefa39ef
	s_delay_alu instid0(VALU_DEP_2) | instskip(NEXT) | instid1(VALU_DEP_4)
	v_fmaak_f64 v[6:7], v[0:1], v[4:5], 0x3c60adb754ca8b19
	v_fma_f64 v[20:21], -v[12:13], v[16:17], 0.5
	s_delay_alu instid0(VALU_DEP_2) | instskip(NEXT) | instid1(VALU_DEP_4)
	v_add_f64_e32 v[6:7], 0x3c89be1812d98421, v[6:7]
	v_rndne_f64_e32 v[10:11], v[10:11]
	s_delay_alu instid0(VALU_DEP_3) | instskip(NEXT) | instid1(VALU_DEP_3)
	v_fmac_f64_e32 v[16:17], v[16:17], v[20:21]
	v_fma_f64 v[4:5], v[0:1], v[6:7], -v[4:5]
	v_fmac_f64_e32 v[12:13], v[12:13], v[20:21]
	s_delay_alu instid0(VALU_DEP_4) | instskip(SKIP_4) | instid1(VALU_DEP_4)
	v_fma_f64 v[18:19], v[10:11], s[20:21], |v[2:3]|
	s_mov_b64 s[20:21], 0x3e5ade156a5dcb37
	v_cvt_i32_f64_e32 v15, v[10:11]
	v_fma_f64 v[20:21], -v[16:17], v[16:17], v[8:9]
	v_add_f64_e32 v[4:5], 0x3c83f3dd076041cd, v[4:5]
	v_fmamk_f64 v[18:19], v[10:11], 0xbc7abc9e3b39803f, v[18:19]
	s_delay_alu instid0(VALU_DEP_1) | instskip(NEXT) | instid1(VALU_DEP_4)
	v_fmaak_f64 v[22:23], s[20:21], v[18:19], 0x3e928af3fca7ab0c
	v_fmac_f64_e32 v[16:17], v[20:21], v[12:13]
	s_delay_alu instid0(VALU_DEP_4) | instskip(NEXT) | instid1(VALU_DEP_3)
	v_fma_f64 v[6:7], v[0:1], v[4:5], -v[6:7]
	v_fmaak_f64 v[22:23], v[18:19], v[22:23], 0x3ec71dee623fde64
	s_delay_alu instid0(VALU_DEP_1) | instskip(NEXT) | instid1(VALU_DEP_1)
	v_fmaak_f64 v[22:23], v[18:19], v[22:23], 0x3efa01997c89e6b0
	v_fmaak_f64 v[22:23], v[18:19], v[22:23], 0x3f2a01a014761f6e
	s_delay_alu instid0(VALU_DEP_1) | instskip(SKIP_2) | instid1(VALU_DEP_3)
	v_fmaak_f64 v[22:23], v[18:19], v[22:23], 0x3f56c16c1852b7b0
	v_fma_f64 v[10:11], -v[16:17], v[16:17], v[8:9]
	v_add_f64_e32 v[6:7], 0xbcb4600babd21fe4, v[6:7]
	v_fmaak_f64 v[22:23], v[18:19], v[22:23], 0x3f81111111122322
	s_delay_alu instid0(VALU_DEP_3) | instskip(NEXT) | instid1(VALU_DEP_3)
	v_fmac_f64_e32 v[16:17], v[10:11], v[12:13]
	v_fma_f64 v[4:5], v[0:1], v[6:7], -v[4:5]
	s_delay_alu instid0(VALU_DEP_1) | instskip(NEXT) | instid1(VALU_DEP_1)
	v_add_f64_e32 v[4:5], 0xbcb8aee7d908de38, v[4:5]
	v_fma_f64 v[6:7], v[0:1], v[4:5], -v[6:7]
	s_delay_alu instid0(VALU_DEP_1) | instskip(NEXT) | instid1(VALU_DEP_1)
	v_add_f64_e32 v[6:7], 0x3cdfee7da3eafb1f, v[6:7]
	;; [unrolled: 3-line block ×19, first 2 shown]
	v_fma_f64 v[0:1], v[0:1], v[4:5], -v[6:7]
	v_fmaak_f64 v[4:5], v[18:19], v[22:23], 0x3fa55555555502a1
	s_delay_alu instid0(VALU_DEP_1) | instskip(NEXT) | instid1(VALU_DEP_1)
	v_fmaak_f64 v[4:5], v[18:19], v[4:5], 0x3fc5555555555511
	v_fmaak_f64 v[4:5], v[18:19], v[4:5], 0x3fe000000000000b
	s_delay_alu instid0(VALU_DEP_1) | instskip(SKIP_1) | instid1(VALU_DEP_2)
	v_fma_f64 v[4:5], v[18:19], v[4:5], 1.0
	v_add_f64_e32 v[0:1], 0x3fe9be62aca809cb, v[0:1]
	v_fma_f64 v[4:5], v[18:19], v[4:5], 1.0
	s_delay_alu instid0(VALU_DEP_2) | instskip(SKIP_1) | instid1(VALU_DEP_3)
	v_add_f64_e64 v[0:1], v[0:1], -v[6:7]
	v_cndmask_b32_e64 v6, 0, 0xffffff80, s22
	v_ldexp_f64 v[4:5], v[4:5], v15
	s_delay_alu instid0(VALU_DEP_3) | instskip(NEXT) | instid1(VALU_DEP_2)
	v_mul_f64_e32 v[0:1], 0.5, v[0:1]
	v_cndmask_b32_e32 v3, 0x7ff00000, v5, vcc_lo
	s_delay_alu instid0(VALU_DEP_3) | instskip(SKIP_2) | instid1(VALU_DEP_3)
	v_cndmask_b32_e32 v2, 0, v4, vcc_lo
	v_ldexp_f64 v[4:5], v[16:17], v6
	v_cmp_class_f64_e64 vcc_lo, v[8:9], 0x260
	v_mul_f64_e32 v[0:1], v[2:3], v[0:1]
	s_delay_alu instid0(VALU_DEP_3) | instskip(NEXT) | instid1(VALU_DEP_1)
	v_dual_cndmask_b32 v3, v5, v9 :: v_dual_cndmask_b32 v2, v4, v8
	v_div_scale_f64 v[4:5], null, v[2:3], v[2:3], v[0:1]
	s_delay_alu instid0(VALU_DEP_1) | instskip(SKIP_1) | instid1(TRANS32_DEP_1)
	v_rcp_f64_e32 v[6:7], v[4:5]
	v_nop
	v_fma_f64 v[8:9], -v[4:5], v[6:7], 1.0
	s_delay_alu instid0(VALU_DEP_1) | instskip(NEXT) | instid1(VALU_DEP_1)
	v_fmac_f64_e32 v[6:7], v[6:7], v[8:9]
	v_fma_f64 v[8:9], -v[4:5], v[6:7], 1.0
	s_delay_alu instid0(VALU_DEP_1) | instskip(SKIP_1) | instid1(VALU_DEP_1)
	v_fmac_f64_e32 v[6:7], v[6:7], v[8:9]
	v_div_scale_f64 v[8:9], vcc_lo, v[0:1], v[2:3], v[0:1]
	v_mul_f64_e32 v[10:11], v[8:9], v[6:7]
	s_delay_alu instid0(VALU_DEP_1) | instskip(NEXT) | instid1(VALU_DEP_1)
	v_fma_f64 v[4:5], -v[4:5], v[10:11], v[8:9]
	v_div_fmas_f64 v[4:5], v[4:5], v[6:7], v[10:11]
	s_delay_alu instid0(VALU_DEP_1)
	v_div_fixup_f64 v[0:1], v[4:5], v[2:3], v[0:1]
.LBB8_662:
	s_or_b32 exec_lo, exec_lo, s0
	v_mul_lo_u32 v2, v14, s2
	s_and_b32 s20, s8, 0xff
	s_delay_alu instid0(SALU_CYCLE_1) | instskip(NEXT) | instid1(VALU_DEP_1)
	s_cmp_lt_i32 s20, 11
	v_ashrrev_i32_e32 v3, 31, v2
	s_delay_alu instid0(VALU_DEP_1)
	v_add_nc_u64_e32 v[4:5], s[4:5], v[2:3]
	s_cbranch_scc1 .LBB8_670
; %bb.663:
	s_and_b32 s21, 0xffff, s20
	s_delay_alu instid0(SALU_CYCLE_1)
	s_cmp_gt_i32 s21, 25
	s_cbranch_scc0 .LBB8_671
; %bb.664:
	s_cmp_gt_i32 s21, 28
	s_cbranch_scc0 .LBB8_672
; %bb.665:
	;; [unrolled: 3-line block ×4, first 2 shown]
	s_mov_b32 s23, 0
	s_mov_b32 s0, -1
	s_cmp_eq_u32 s21, 46
	s_mov_b32 s22, 0
	s_cbranch_scc0 .LBB8_675
; %bb.668:
	s_delay_alu instid0(VALU_DEP_4) | instskip(SKIP_2) | instid1(VALU_DEP_1)
	v_cvt_f32_f64_e32 v2, v[0:1]
	s_mov_b32 s22, -1
	s_mov_b32 s0, 0
	v_bfe_u32 v3, v2, 16, 1
	v_cmp_o_f32_e32 vcc_lo, v2, v2
	s_delay_alu instid0(VALU_DEP_2) | instskip(NEXT) | instid1(VALU_DEP_1)
	v_add3_u32 v3, v2, v3, 0x7fff
	v_lshrrev_b32_e32 v3, 16, v3
	s_delay_alu instid0(VALU_DEP_1)
	v_cndmask_b32_e32 v2, 0x7fc0, v3, vcc_lo
	global_store_b32 v[4:5], v2, off
	s_branch .LBB8_675
.LBB8_669:
	s_mov_b32 s20, 0
	s_mov_b32 s0, s16
	s_branch .LBB8_786
.LBB8_670:
	s_mov_b32 s21, -1
	s_mov_b32 s22, 0
	s_mov_b32 s0, s16
	s_branch .LBB8_744
.LBB8_671:
	s_mov_b32 s23, -1
	s_mov_b32 s22, 0
	s_mov_b32 s0, s16
	s_branch .LBB8_702
.LBB8_672:
	s_mov_b32 s23, -1
	s_mov_b32 s22, 0
	s_mov_b32 s0, s16
	s_branch .LBB8_685
.LBB8_673:
	s_mov_b32 s23, -1
	s_mov_b32 s22, 0
	s_mov_b32 s0, s16
	s_branch .LBB8_681
.LBB8_674:
	s_mov_b32 s23, -1
	s_mov_b32 s22, 0
	s_mov_b32 s0, s16
.LBB8_675:
	s_and_b32 vcc_lo, exec_lo, s23
	s_cbranch_vccz .LBB8_680
; %bb.676:
	s_cmp_eq_u32 s21, 44
	s_mov_b32 s0, -1
	s_cbranch_scc0 .LBB8_680
; %bb.677:
	s_wait_xcnt 0x0
	s_delay_alu instid0(VALU_DEP_4) | instskip(SKIP_2) | instid1(VALU_DEP_2)
	v_cvt_f32_f64_e32 v2, v[0:1]
	v_mov_b32_e32 v3, 0xff
	s_mov_b32 s22, exec_lo
	v_bfe_u32 v6, v2, 23, 8
	s_delay_alu instid0(VALU_DEP_1)
	v_cmpx_ne_u32_e32 0xff, v6
	s_cbranch_execz .LBB8_679
; %bb.678:
	v_and_b32_e32 v3, 0x400000, v2
	v_and_or_b32 v6, 0x3fffff, v2, v6
	v_lshrrev_b32_e32 v2, 23, v2
	s_delay_alu instid0(VALU_DEP_3) | instskip(NEXT) | instid1(VALU_DEP_3)
	v_cmp_ne_u32_e32 vcc_lo, 0, v3
	v_cmp_ne_u32_e64 s0, 0, v6
	s_and_b32 s0, vcc_lo, s0
	s_delay_alu instid0(SALU_CYCLE_1) | instskip(NEXT) | instid1(VALU_DEP_1)
	v_cndmask_b32_e64 v3, 0, 1, s0
	v_add_nc_u32_e32 v3, v2, v3
.LBB8_679:
	s_or_b32 exec_lo, exec_lo, s22
	s_mov_b32 s22, -1
	s_mov_b32 s0, 0
	global_store_b8 v[4:5], v3, off
.LBB8_680:
	s_mov_b32 s23, 0
.LBB8_681:
	s_delay_alu instid0(SALU_CYCLE_1)
	s_and_b32 vcc_lo, exec_lo, s23
	s_cbranch_vccz .LBB8_684
; %bb.682:
	s_cmp_eq_u32 s21, 29
	s_mov_b32 s0, -1
	s_cbranch_scc0 .LBB8_684
; %bb.683:
	s_wait_xcnt 0x0
	s_delay_alu instid0(VALU_DEP_4) | instskip(SKIP_3) | instid1(VALU_DEP_1)
	v_trunc_f64_e32 v[2:3], v[0:1]
	s_mov_b32 s22, -1
	s_mov_b32 s0, 0
	s_mov_b32 s23, 0
	v_ldexp_f64 v[6:7], v[2:3], 0xffffffe0
	s_delay_alu instid0(VALU_DEP_1) | instskip(NEXT) | instid1(VALU_DEP_1)
	v_floor_f64_e32 v[6:7], v[6:7]
	v_fmamk_f64 v[2:3], v[6:7], 0xc1f00000, v[2:3]
	v_cvt_u32_f64_e32 v7, v[6:7]
	s_delay_alu instid0(VALU_DEP_2)
	v_cvt_u32_f64_e32 v6, v[2:3]
	global_store_b64 v[4:5], v[6:7], off
	s_branch .LBB8_685
.LBB8_684:
	s_mov_b32 s23, 0
.LBB8_685:
	s_delay_alu instid0(SALU_CYCLE_1)
	s_and_b32 vcc_lo, exec_lo, s23
	s_cbranch_vccz .LBB8_701
; %bb.686:
	s_cmp_lt_i32 s21, 27
	s_mov_b32 s22, -1
	s_cbranch_scc1 .LBB8_692
; %bb.687:
	s_wait_xcnt 0x0
	s_delay_alu instid0(VALU_DEP_4)
	v_cvt_u32_f64_e32 v2, v[0:1]
	s_cmp_gt_i32 s21, 27
	s_cbranch_scc0 .LBB8_689
; %bb.688:
	s_mov_b32 s22, 0
	global_store_b32 v[4:5], v2, off
.LBB8_689:
	s_and_not1_b32 vcc_lo, exec_lo, s22
	s_cbranch_vccnz .LBB8_691
; %bb.690:
	global_store_b16 v[4:5], v2, off
.LBB8_691:
	s_mov_b32 s22, 0
.LBB8_692:
	s_delay_alu instid0(SALU_CYCLE_1)
	s_and_not1_b32 vcc_lo, exec_lo, s22
	s_cbranch_vccnz .LBB8_700
; %bb.693:
	s_wait_xcnt 0x0
	s_delay_alu instid0(VALU_DEP_4) | instskip(SKIP_2) | instid1(VALU_DEP_2)
	v_cvt_f32_f64_e32 v2, v[0:1]
	v_mov_b32_e32 v6, 0x80
	s_mov_b32 s22, exec_lo
	v_and_b32_e32 v3, 0x7fffffff, v2
	s_delay_alu instid0(VALU_DEP_1)
	v_cmpx_gt_u32_e32 0x43800000, v3
	s_cbranch_execz .LBB8_699
; %bb.694:
	v_cmp_lt_u32_e32 vcc_lo, 0x3bffffff, v3
	s_mov_b32 s23, 0
                                        ; implicit-def: $vgpr3
	s_and_saveexec_b32 s24, vcc_lo
	s_delay_alu instid0(SALU_CYCLE_1)
	s_xor_b32 s24, exec_lo, s24
	s_cbranch_execz .LBB8_801
; %bb.695:
	v_bfe_u32 v3, v2, 20, 1
	s_mov_b32 s23, exec_lo
	s_delay_alu instid0(VALU_DEP_1) | instskip(NEXT) | instid1(VALU_DEP_1)
	v_add3_u32 v3, v2, v3, 0x487ffff
	v_lshrrev_b32_e32 v3, 20, v3
	s_and_not1_saveexec_b32 s24, s24
	s_cbranch_execnz .LBB8_802
.LBB8_696:
	s_or_b32 exec_lo, exec_lo, s24
	v_mov_b32_e32 v6, 0
	s_and_saveexec_b32 s24, s23
.LBB8_697:
	v_lshrrev_b32_e32 v2, 24, v2
	s_delay_alu instid0(VALU_DEP_1)
	v_and_or_b32 v6, 0x80, v2, v3
.LBB8_698:
	s_or_b32 exec_lo, exec_lo, s24
.LBB8_699:
	s_delay_alu instid0(SALU_CYCLE_1)
	s_or_b32 exec_lo, exec_lo, s22
	global_store_b8 v[4:5], v6, off
.LBB8_700:
	s_mov_b32 s22, -1
.LBB8_701:
	s_mov_b32 s23, 0
.LBB8_702:
	s_delay_alu instid0(SALU_CYCLE_1)
	s_and_b32 vcc_lo, exec_lo, s23
	s_cbranch_vccz .LBB8_743
; %bb.703:
	s_cmp_gt_i32 s21, 22
	s_mov_b32 s23, -1
	s_cbranch_scc0 .LBB8_735
; %bb.704:
	s_cmp_lt_i32 s21, 24
	s_mov_b32 s22, -1
	s_cbranch_scc1 .LBB8_724
; %bb.705:
	s_cmp_gt_i32 s21, 24
	s_cbranch_scc0 .LBB8_713
; %bb.706:
	s_wait_xcnt 0x0
	s_delay_alu instid0(VALU_DEP_4) | instskip(SKIP_2) | instid1(VALU_DEP_2)
	v_cvt_f32_f64_e32 v2, v[0:1]
	v_mov_b32_e32 v6, 0x80
	s_mov_b32 s22, exec_lo
	v_and_b32_e32 v3, 0x7fffffff, v2
	s_delay_alu instid0(VALU_DEP_1)
	v_cmpx_gt_u32_e32 0x47800000, v3
	s_cbranch_execz .LBB8_712
; %bb.707:
	v_cmp_lt_u32_e32 vcc_lo, 0x37ffffff, v3
	s_mov_b32 s23, 0
                                        ; implicit-def: $vgpr3
	s_and_saveexec_b32 s24, vcc_lo
	s_delay_alu instid0(SALU_CYCLE_1)
	s_xor_b32 s24, exec_lo, s24
	s_cbranch_execz .LBB8_804
; %bb.708:
	v_bfe_u32 v3, v2, 21, 1
	s_mov_b32 s23, exec_lo
	s_delay_alu instid0(VALU_DEP_1) | instskip(NEXT) | instid1(VALU_DEP_1)
	v_add3_u32 v3, v2, v3, 0x88fffff
	v_lshrrev_b32_e32 v3, 21, v3
	s_and_not1_saveexec_b32 s24, s24
	s_cbranch_execnz .LBB8_805
.LBB8_709:
	s_or_b32 exec_lo, exec_lo, s24
	v_mov_b32_e32 v6, 0
	s_and_saveexec_b32 s24, s23
.LBB8_710:
	v_lshrrev_b32_e32 v2, 24, v2
	s_delay_alu instid0(VALU_DEP_1)
	v_and_or_b32 v6, 0x80, v2, v3
.LBB8_711:
	s_or_b32 exec_lo, exec_lo, s24
.LBB8_712:
	s_delay_alu instid0(SALU_CYCLE_1)
	s_or_b32 exec_lo, exec_lo, s22
	s_mov_b32 s22, 0
	global_store_b8 v[4:5], v6, off
.LBB8_713:
	s_and_b32 vcc_lo, exec_lo, s22
	s_cbranch_vccz .LBB8_723
; %bb.714:
	s_wait_xcnt 0x0
	s_delay_alu instid0(VALU_DEP_4) | instskip(SKIP_1) | instid1(VALU_DEP_1)
	v_cvt_f32_f64_e32 v2, v[0:1]
	s_mov_b32 s22, exec_lo
                                        ; implicit-def: $vgpr3
	v_and_b32_e32 v6, 0x7fffffff, v2
	s_delay_alu instid0(VALU_DEP_1)
	v_cmpx_gt_u32_e32 0x43f00000, v6
	s_xor_b32 s22, exec_lo, s22
	s_cbranch_execz .LBB8_720
; %bb.715:
	s_mov_b32 s23, exec_lo
                                        ; implicit-def: $vgpr3
	v_cmpx_lt_u32_e32 0x3c7fffff, v6
	s_xor_b32 s23, exec_lo, s23
; %bb.716:
	v_bfe_u32 v3, v2, 20, 1
	s_delay_alu instid0(VALU_DEP_1) | instskip(NEXT) | instid1(VALU_DEP_1)
	v_add3_u32 v3, v2, v3, 0x407ffff
	v_and_b32_e32 v6, 0xff00000, v3
	v_lshrrev_b32_e32 v3, 20, v3
	s_delay_alu instid0(VALU_DEP_2) | instskip(NEXT) | instid1(VALU_DEP_2)
	v_cmp_ne_u32_e32 vcc_lo, 0x7f00000, v6
	v_cndmask_b32_e32 v3, 0x7e, v3, vcc_lo
; %bb.717:
	s_and_not1_saveexec_b32 s23, s23
; %bb.718:
	v_add_f32_e64 v3, 0x46800000, |v2|
; %bb.719:
	s_or_b32 exec_lo, exec_lo, s23
                                        ; implicit-def: $vgpr6
.LBB8_720:
	s_and_not1_saveexec_b32 s22, s22
; %bb.721:
	v_mov_b32_e32 v3, 0x7f
	v_cmp_lt_u32_e32 vcc_lo, 0x7f800000, v6
	s_delay_alu instid0(VALU_DEP_2)
	v_cndmask_b32_e32 v3, 0x7e, v3, vcc_lo
; %bb.722:
	s_or_b32 exec_lo, exec_lo, s22
	v_lshrrev_b32_e32 v2, 24, v2
	s_delay_alu instid0(VALU_DEP_1)
	v_and_or_b32 v2, 0x80, v2, v3
	global_store_b8 v[4:5], v2, off
.LBB8_723:
	s_mov_b32 s22, 0
.LBB8_724:
	s_delay_alu instid0(SALU_CYCLE_1)
	s_and_not1_b32 vcc_lo, exec_lo, s22
	s_cbranch_vccnz .LBB8_734
; %bb.725:
	s_wait_xcnt 0x0
	s_delay_alu instid0(VALU_DEP_4) | instskip(SKIP_1) | instid1(VALU_DEP_1)
	v_cvt_f32_f64_e32 v2, v[0:1]
	s_mov_b32 s22, exec_lo
                                        ; implicit-def: $vgpr3
	v_and_b32_e32 v6, 0x7fffffff, v2
	s_delay_alu instid0(VALU_DEP_1)
	v_cmpx_gt_u32_e32 0x47800000, v6
	s_xor_b32 s22, exec_lo, s22
	s_cbranch_execz .LBB8_731
; %bb.726:
	s_mov_b32 s23, exec_lo
                                        ; implicit-def: $vgpr3
	v_cmpx_lt_u32_e32 0x387fffff, v6
	s_xor_b32 s23, exec_lo, s23
; %bb.727:
	v_bfe_u32 v3, v2, 21, 1
	s_delay_alu instid0(VALU_DEP_1) | instskip(NEXT) | instid1(VALU_DEP_1)
	v_add3_u32 v3, v2, v3, 0x80fffff
	v_lshrrev_b32_e32 v3, 21, v3
; %bb.728:
	s_and_not1_saveexec_b32 s23, s23
; %bb.729:
	v_add_f32_e64 v3, 0x43000000, |v2|
; %bb.730:
	s_or_b32 exec_lo, exec_lo, s23
                                        ; implicit-def: $vgpr6
.LBB8_731:
	s_and_not1_saveexec_b32 s22, s22
; %bb.732:
	v_mov_b32_e32 v3, 0x7f
	v_cmp_lt_u32_e32 vcc_lo, 0x7f800000, v6
	s_delay_alu instid0(VALU_DEP_2)
	v_cndmask_b32_e32 v3, 0x7c, v3, vcc_lo
; %bb.733:
	s_or_b32 exec_lo, exec_lo, s22
	v_lshrrev_b32_e32 v2, 24, v2
	s_delay_alu instid0(VALU_DEP_1)
	v_and_or_b32 v2, 0x80, v2, v3
	global_store_b8 v[4:5], v2, off
.LBB8_734:
	s_mov_b32 s23, 0
	s_mov_b32 s22, -1
.LBB8_735:
	s_and_not1_b32 vcc_lo, exec_lo, s23
	s_cbranch_vccnz .LBB8_743
; %bb.736:
	s_cmp_gt_i32 s21, 14
	s_mov_b32 s23, -1
	s_cbranch_scc0 .LBB8_740
; %bb.737:
	s_cmp_eq_u32 s21, 15
	s_mov_b32 s0, -1
	s_cbranch_scc0 .LBB8_739
; %bb.738:
	s_wait_xcnt 0x0
	s_delay_alu instid0(VALU_DEP_4) | instskip(SKIP_2) | instid1(VALU_DEP_1)
	v_cvt_f32_f64_e32 v2, v[0:1]
	s_mov_b32 s22, -1
	s_mov_b32 s0, 0
	v_bfe_u32 v3, v2, 16, 1
	v_cmp_o_f32_e32 vcc_lo, v2, v2
	s_delay_alu instid0(VALU_DEP_2) | instskip(NEXT) | instid1(VALU_DEP_1)
	v_add3_u32 v3, v2, v3, 0x7fff
	v_lshrrev_b32_e32 v3, 16, v3
	s_delay_alu instid0(VALU_DEP_1)
	v_cndmask_b32_e32 v2, 0x7fc0, v3, vcc_lo
	global_store_b16 v[4:5], v2, off
.LBB8_739:
	s_mov_b32 s23, 0
.LBB8_740:
	s_delay_alu instid0(SALU_CYCLE_1)
	s_and_b32 vcc_lo, exec_lo, s23
	s_cbranch_vccz .LBB8_743
; %bb.741:
	s_cmp_eq_u32 s21, 11
	s_mov_b32 s0, -1
	s_cbranch_scc0 .LBB8_743
; %bb.742:
	s_delay_alu instid0(VALU_DEP_4)
	v_cmp_neq_f64_e32 vcc_lo, 0, v[0:1]
	s_mov_b32 s22, -1
	s_mov_b32 s0, 0
	s_wait_xcnt 0x0
	v_cndmask_b32_e64 v2, 0, 1, vcc_lo
	global_store_b8 v[4:5], v2, off
.LBB8_743:
	s_mov_b32 s21, 0
.LBB8_744:
	s_delay_alu instid0(SALU_CYCLE_1)
	s_and_b32 vcc_lo, exec_lo, s21
	s_cbranch_vccz .LBB8_783
; %bb.745:
	s_and_b32 s20, 0xffff, s20
	s_mov_b32 s21, -1
	s_cmp_lt_i32 s20, 5
	s_cbranch_scc1 .LBB8_766
; %bb.746:
	s_cmp_lt_i32 s20, 8
	s_cbranch_scc1 .LBB8_756
; %bb.747:
	;; [unrolled: 3-line block ×3, first 2 shown]
	s_cmp_gt_i32 s20, 9
	s_cbranch_scc0 .LBB8_750
; %bb.749:
	s_wait_xcnt 0x0
	v_mov_b32_e32 v2, 0
	s_mov_b32 s21, 0
	s_delay_alu instid0(VALU_DEP_1)
	v_mov_b32_e32 v3, v2
	global_store_b128 v[4:5], v[0:3], off
.LBB8_750:
	s_and_not1_b32 vcc_lo, exec_lo, s21
	s_cbranch_vccnz .LBB8_752
; %bb.751:
	s_wait_xcnt 0x0
	s_delay_alu instid0(VALU_DEP_4)
	v_cvt_f32_f64_e32 v2, v[0:1]
	v_mov_b32_e32 v3, 0
	global_store_b64 v[4:5], v[2:3], off
.LBB8_752:
	s_mov_b32 s21, 0
.LBB8_753:
	s_delay_alu instid0(SALU_CYCLE_1)
	s_and_not1_b32 vcc_lo, exec_lo, s21
	s_cbranch_vccnz .LBB8_755
; %bb.754:
	s_wait_xcnt 0x0
	s_delay_alu instid0(VALU_DEP_4) | instskip(SKIP_2) | instid1(VALU_DEP_3)
	v_and_or_b32 v2, 0x1ff, v1, v0
	v_lshrrev_b32_e32 v3, 8, v1
	v_bfe_u32 v6, v1, 20, 11
	v_cmp_ne_u32_e32 vcc_lo, 0, v2
	s_delay_alu instid0(VALU_DEP_2) | instskip(SKIP_1) | instid1(VALU_DEP_1)
	v_sub_nc_u32_e32 v7, 0x3f1, v6
	v_cndmask_b32_e64 v2, 0, 1, vcc_lo
	v_and_or_b32 v2, 0xffe, v3, v2
	s_delay_alu instid0(VALU_DEP_3) | instskip(NEXT) | instid1(VALU_DEP_2)
	v_med3_i32 v3, v7, 0, 13
	v_or_b32_e32 v7, 0x1000, v2
	s_delay_alu instid0(VALU_DEP_1) | instskip(NEXT) | instid1(VALU_DEP_1)
	v_lshrrev_b32_e32 v8, v3, v7
	v_lshlrev_b32_e32 v3, v3, v8
	s_delay_alu instid0(VALU_DEP_1) | instskip(SKIP_1) | instid1(VALU_DEP_1)
	v_cmp_ne_u32_e32 vcc_lo, v3, v7
	v_cndmask_b32_e64 v3, 0, 1, vcc_lo
	v_or_b32_e32 v3, v8, v3
	v_add_nc_u32_e32 v6, 0xfffffc10, v6
	s_delay_alu instid0(VALU_DEP_1) | instskip(SKIP_1) | instid1(VALU_DEP_2)
	v_lshl_or_b32 v7, v6, 12, v2
	v_cmp_gt_i32_e32 vcc_lo, 1, v6
	v_cndmask_b32_e32 v3, v7, v3, vcc_lo
	s_delay_alu instid0(VALU_DEP_1) | instskip(NEXT) | instid1(VALU_DEP_1)
	v_dual_lshrrev_b32 v3, 2, v3 :: v_dual_bitop2_b32 v7, 7, v3 bitop3:0x40
	v_cmp_lt_i32_e32 vcc_lo, 5, v7
	v_cndmask_b32_e64 v8, 0, 1, vcc_lo
	v_cmp_eq_u32_e32 vcc_lo, 3, v7
	v_cndmask_b32_e64 v7, 0, 1, vcc_lo
	v_cmp_ne_u32_e32 vcc_lo, 0, v2
	s_delay_alu instid0(VALU_DEP_2) | instskip(NEXT) | instid1(VALU_DEP_1)
	v_or_b32_e32 v7, v7, v8
	v_dual_mov_b32 v8, 0x7e00 :: v_dual_add_nc_u32 v3, v3, v7
	s_delay_alu instid0(VALU_DEP_1) | instskip(SKIP_2) | instid1(VALU_DEP_4)
	v_cndmask_b32_e32 v2, 0x7c00, v8, vcc_lo
	v_cmp_gt_i32_e32 vcc_lo, 31, v6
	v_lshrrev_b32_e32 v7, 16, v1
	v_cndmask_b32_e32 v3, 0x7c00, v3, vcc_lo
	v_cmp_eq_u32_e32 vcc_lo, 0x40f, v6
	s_delay_alu instid0(VALU_DEP_2) | instskip(NEXT) | instid1(VALU_DEP_4)
	v_cndmask_b32_e32 v2, v3, v2, vcc_lo
	v_and_b32_e32 v3, 0x8000, v7
	s_delay_alu instid0(VALU_DEP_1)
	v_bitop3_b32 v2, v3, 0xffff, v2 bitop3:0xc8
	global_store_b32 v[4:5], v2, off
.LBB8_755:
	s_mov_b32 s21, 0
.LBB8_756:
	s_delay_alu instid0(SALU_CYCLE_1)
	s_and_not1_b32 vcc_lo, exec_lo, s21
	s_cbranch_vccnz .LBB8_765
; %bb.757:
	s_cmp_lt_i32 s20, 6
	s_mov_b32 s21, -1
	s_cbranch_scc1 .LBB8_763
; %bb.758:
	s_cmp_gt_i32 s20, 6
	s_cbranch_scc0 .LBB8_760
; %bb.759:
	s_mov_b32 s21, 0
	global_store_b64 v[4:5], v[0:1], off
.LBB8_760:
	s_and_not1_b32 vcc_lo, exec_lo, s21
	s_cbranch_vccnz .LBB8_762
; %bb.761:
	s_wait_xcnt 0x0
	s_delay_alu instid0(VALU_DEP_4)
	v_cvt_f32_f64_e32 v2, v[0:1]
	global_store_b32 v[4:5], v2, off
.LBB8_762:
	s_mov_b32 s21, 0
.LBB8_763:
	s_delay_alu instid0(SALU_CYCLE_1)
	s_and_not1_b32 vcc_lo, exec_lo, s21
	s_cbranch_vccnz .LBB8_765
; %bb.764:
	s_wait_xcnt 0x0
	s_delay_alu instid0(VALU_DEP_4) | instskip(SKIP_2) | instid1(VALU_DEP_3)
	v_and_or_b32 v2, 0x1ff, v1, v0
	v_lshrrev_b32_e32 v3, 8, v1
	v_bfe_u32 v6, v1, 20, 11
	v_cmp_ne_u32_e32 vcc_lo, 0, v2
	s_delay_alu instid0(VALU_DEP_2) | instskip(SKIP_1) | instid1(VALU_DEP_1)
	v_sub_nc_u32_e32 v7, 0x3f1, v6
	v_cndmask_b32_e64 v2, 0, 1, vcc_lo
	v_and_or_b32 v2, 0xffe, v3, v2
	s_delay_alu instid0(VALU_DEP_3) | instskip(NEXT) | instid1(VALU_DEP_2)
	v_med3_i32 v3, v7, 0, 13
	v_or_b32_e32 v7, 0x1000, v2
	s_delay_alu instid0(VALU_DEP_1) | instskip(NEXT) | instid1(VALU_DEP_1)
	v_lshrrev_b32_e32 v8, v3, v7
	v_lshlrev_b32_e32 v3, v3, v8
	s_delay_alu instid0(VALU_DEP_1) | instskip(SKIP_1) | instid1(VALU_DEP_1)
	v_cmp_ne_u32_e32 vcc_lo, v3, v7
	v_cndmask_b32_e64 v3, 0, 1, vcc_lo
	v_or_b32_e32 v3, v8, v3
	v_add_nc_u32_e32 v6, 0xfffffc10, v6
	s_delay_alu instid0(VALU_DEP_1) | instskip(SKIP_1) | instid1(VALU_DEP_2)
	v_lshl_or_b32 v7, v6, 12, v2
	v_cmp_gt_i32_e32 vcc_lo, 1, v6
	v_cndmask_b32_e32 v3, v7, v3, vcc_lo
	s_delay_alu instid0(VALU_DEP_1) | instskip(NEXT) | instid1(VALU_DEP_1)
	v_dual_lshrrev_b32 v3, 2, v3 :: v_dual_bitop2_b32 v7, 7, v3 bitop3:0x40
	v_cmp_lt_i32_e32 vcc_lo, 5, v7
	v_cndmask_b32_e64 v8, 0, 1, vcc_lo
	v_cmp_eq_u32_e32 vcc_lo, 3, v7
	v_cndmask_b32_e64 v7, 0, 1, vcc_lo
	v_cmp_ne_u32_e32 vcc_lo, 0, v2
	s_delay_alu instid0(VALU_DEP_2) | instskip(NEXT) | instid1(VALU_DEP_1)
	v_or_b32_e32 v7, v7, v8
	v_dual_mov_b32 v8, 0x7e00 :: v_dual_add_nc_u32 v3, v3, v7
	s_delay_alu instid0(VALU_DEP_1) | instskip(SKIP_1) | instid1(VALU_DEP_3)
	v_cndmask_b32_e32 v2, 0x7c00, v8, vcc_lo
	v_cmp_gt_i32_e32 vcc_lo, 31, v6
	v_cndmask_b32_e32 v3, 0x7c00, v3, vcc_lo
	v_cmp_eq_u32_e32 vcc_lo, 0x40f, v6
	s_delay_alu instid0(VALU_DEP_2) | instskip(NEXT) | instid1(VALU_DEP_1)
	v_dual_cndmask_b32 v2, v3, v2 :: v_dual_lshrrev_b32 v3, 16, v1
	v_and_or_b32 v2, 0x8000, v3, v2
	global_store_b16 v[4:5], v2, off
.LBB8_765:
	s_mov_b32 s21, 0
.LBB8_766:
	s_delay_alu instid0(SALU_CYCLE_1)
	s_and_not1_b32 vcc_lo, exec_lo, s21
	s_cbranch_vccnz .LBB8_782
; %bb.767:
	s_cmp_lt_i32 s20, 2
	s_mov_b32 s21, -1
	s_cbranch_scc1 .LBB8_777
; %bb.768:
	s_cmp_lt_i32 s20, 3
	s_cbranch_scc1 .LBB8_774
; %bb.769:
	s_cmp_gt_i32 s20, 3
	s_cbranch_scc0 .LBB8_771
; %bb.770:
	s_wait_xcnt 0x0
	s_delay_alu instid0(VALU_DEP_4) | instskip(SKIP_1) | instid1(VALU_DEP_1)
	v_trunc_f64_e32 v[2:3], v[0:1]
	s_mov_b32 s21, 0
	v_ldexp_f64 v[6:7], v[2:3], 0xffffffe0
	s_delay_alu instid0(VALU_DEP_1) | instskip(NEXT) | instid1(VALU_DEP_1)
	v_floor_f64_e32 v[6:7], v[6:7]
	v_fmamk_f64 v[2:3], v[6:7], 0xc1f00000, v[2:3]
	v_cvt_i32_f64_e32 v7, v[6:7]
	s_delay_alu instid0(VALU_DEP_2)
	v_cvt_u32_f64_e32 v6, v[2:3]
	global_store_b64 v[4:5], v[6:7], off
.LBB8_771:
	s_and_not1_b32 vcc_lo, exec_lo, s21
	s_cbranch_vccnz .LBB8_773
; %bb.772:
	s_wait_xcnt 0x0
	s_delay_alu instid0(VALU_DEP_4)
	v_cvt_i32_f64_e32 v2, v[0:1]
	global_store_b32 v[4:5], v2, off
.LBB8_773:
	s_mov_b32 s21, 0
.LBB8_774:
	s_delay_alu instid0(SALU_CYCLE_1)
	s_and_not1_b32 vcc_lo, exec_lo, s21
	s_cbranch_vccnz .LBB8_776
; %bb.775:
	s_wait_xcnt 0x0
	s_delay_alu instid0(VALU_DEP_4)
	v_cvt_i32_f64_e32 v2, v[0:1]
	global_store_b16 v[4:5], v2, off
.LBB8_776:
	s_mov_b32 s21, 0
.LBB8_777:
	s_delay_alu instid0(SALU_CYCLE_1)
	s_and_not1_b32 vcc_lo, exec_lo, s21
	s_cbranch_vccnz .LBB8_782
; %bb.778:
	s_cmp_gt_i32 s20, 0
	s_mov_b32 s20, -1
	s_cbranch_scc0 .LBB8_780
; %bb.779:
	s_wait_xcnt 0x0
	s_delay_alu instid0(VALU_DEP_4)
	v_cvt_i32_f64_e32 v2, v[0:1]
	s_mov_b32 s20, 0
	global_store_b8 v[4:5], v2, off
.LBB8_780:
	s_and_not1_b32 vcc_lo, exec_lo, s20
	s_cbranch_vccnz .LBB8_782
; %bb.781:
	s_wait_xcnt 0x0
	s_delay_alu instid0(VALU_DEP_4) | instskip(NEXT) | instid1(VALU_DEP_1)
	v_trunc_f64_e32 v[0:1], v[0:1]
	v_ldexp_f64 v[2:3], v[0:1], 0xffffffe0
	s_delay_alu instid0(VALU_DEP_1) | instskip(NEXT) | instid1(VALU_DEP_1)
	v_floor_f64_e32 v[2:3], v[2:3]
	v_fmamk_f64 v[0:1], v[2:3], 0xc1f00000, v[0:1]
	s_delay_alu instid0(VALU_DEP_1)
	v_cvt_u32_f64_e32 v0, v[0:1]
	global_store_b8 v[4:5], v0, off
.LBB8_782:
	s_mov_b32 s22, -1
.LBB8_783:
	s_delay_alu instid0(SALU_CYCLE_1)
	s_and_not1_b32 vcc_lo, exec_lo, s22
	s_cbranch_vccnz .LBB8_785
; %bb.784:
	v_add_nc_u32_e32 v14, 0x80, v14
	s_mov_b32 s20, -1
	s_branch .LBB8_787
.LBB8_785:
	s_mov_b32 s20, 0
.LBB8_786:
                                        ; implicit-def: $vgpr14
.LBB8_787:
	s_and_not1_b32 s21, s16, exec_lo
	s_and_b32 s0, s0, exec_lo
	s_and_not1_b32 s22, s15, exec_lo
	s_and_b32 s23, s19, exec_lo
	s_or_b32 s19, s21, s0
	s_or_b32 s0, s22, s23
	s_or_not1_b32 s20, s20, exec_lo
.LBB8_788:
	s_wait_xcnt 0x0
	s_or_b32 exec_lo, exec_lo, s18
	s_mov_b32 s21, 0
	s_mov_b32 s22, 0
	;; [unrolled: 1-line block ×3, first 2 shown]
                                        ; implicit-def: $vgpr0_vgpr1
                                        ; implicit-def: $vgpr2_vgpr3
	s_and_saveexec_b32 s18, s20
	s_cbranch_execz .LBB8_873
; %bb.789:
	v_cmp_gt_i32_e32 vcc_lo, s12, v14
	s_mov_b32 s20, 0
	s_mov_b32 s21, s0
	;; [unrolled: 1-line block ×3, first 2 shown]
                                        ; implicit-def: $vgpr0_vgpr1
                                        ; implicit-def: $vgpr2_vgpr3
	s_and_saveexec_b32 s12, vcc_lo
	s_cbranch_execz .LBB8_872
; %bb.790:
	v_mul_lo_u32 v0, v14, s3
	s_and_b32 s20, 0xffff, s9
	s_delay_alu instid0(SALU_CYCLE_1) | instskip(NEXT) | instid1(VALU_DEP_1)
	s_cmp_lt_i32 s20, 11
	v_ashrrev_i32_e32 v1, 31, v0
	s_delay_alu instid0(VALU_DEP_1)
	v_add_nc_u64_e32 v[0:1], s[6:7], v[0:1]
	s_cbranch_scc1 .LBB8_797
; %bb.791:
	s_cmp_gt_i32 s20, 25
	s_cbranch_scc0 .LBB8_798
; %bb.792:
	s_cmp_gt_i32 s20, 28
	s_cbranch_scc0 .LBB8_799
	;; [unrolled: 3-line block ×4, first 2 shown]
; %bb.795:
	s_cmp_eq_u32 s20, 46
	s_cbranch_scc0 .LBB8_806
; %bb.796:
	s_wait_loadcnt 0x0
	global_load_b32 v2, v[0:1], off
	s_mov_b32 s21, 0
	s_mov_b32 s23, -1
	s_wait_loadcnt 0x0
	v_lshlrev_b32_e32 v2, 16, v2
	s_delay_alu instid0(VALU_DEP_1)
	v_cvt_f64_f32_e32 v[2:3], v2
	s_branch .LBB8_808
.LBB8_797:
	s_mov_b32 s20, -1
	s_mov_b32 s21, s0
                                        ; implicit-def: $vgpr2_vgpr3
	s_branch .LBB8_871
.LBB8_798:
	s_mov_b32 s24, -1
	s_mov_b32 s21, s0
                                        ; implicit-def: $vgpr2_vgpr3
	s_branch .LBB8_837
.LBB8_799:
	s_mov_b32 s24, -1
	s_mov_b32 s21, s0
                                        ; implicit-def: $vgpr2_vgpr3
	s_branch .LBB8_818
.LBB8_800:
	s_mov_b32 s24, -1
	s_mov_b32 s21, s0
                                        ; implicit-def: $vgpr2_vgpr3
	s_branch .LBB8_813
.LBB8_801:
	s_and_not1_saveexec_b32 s24, s24
	s_cbranch_execz .LBB8_696
.LBB8_802:
	v_add_f32_e64 v3, 0x46000000, |v2|
	s_and_not1_b32 s23, s23, exec_lo
	s_delay_alu instid0(VALU_DEP_1) | instskip(NEXT) | instid1(VALU_DEP_1)
	v_and_b32_e32 v3, 0xff, v3
	v_cmp_ne_u32_e32 vcc_lo, 0, v3
	s_and_b32 s25, vcc_lo, exec_lo
	s_delay_alu instid0(SALU_CYCLE_1)
	s_or_b32 s23, s23, s25
	s_or_b32 exec_lo, exec_lo, s24
	v_mov_b32_e32 v6, 0
	s_and_saveexec_b32 s24, s23
	s_cbranch_execnz .LBB8_697
	s_branch .LBB8_698
.LBB8_803:
	s_mov_b32 s24, -1
	s_mov_b32 s21, s0
	s_branch .LBB8_807
.LBB8_804:
	s_and_not1_saveexec_b32 s24, s24
	s_cbranch_execz .LBB8_709
.LBB8_805:
	v_add_f32_e64 v3, 0x42800000, |v2|
	s_and_not1_b32 s23, s23, exec_lo
	s_delay_alu instid0(VALU_DEP_1) | instskip(NEXT) | instid1(VALU_DEP_1)
	v_and_b32_e32 v3, 0xff, v3
	v_cmp_ne_u32_e32 vcc_lo, 0, v3
	s_and_b32 s25, vcc_lo, exec_lo
	s_delay_alu instid0(SALU_CYCLE_1)
	s_or_b32 s23, s23, s25
	s_or_b32 exec_lo, exec_lo, s24
	v_mov_b32_e32 v6, 0
	s_and_saveexec_b32 s24, s23
	s_cbranch_execnz .LBB8_710
	s_branch .LBB8_711
.LBB8_806:
	s_mov_b32 s21, -1
.LBB8_807:
                                        ; implicit-def: $vgpr2_vgpr3
.LBB8_808:
	s_and_b32 vcc_lo, exec_lo, s24
	s_cbranch_vccz .LBB8_812
; %bb.809:
	s_cmp_eq_u32 s20, 44
	s_cbranch_scc0 .LBB8_811
; %bb.810:
	global_load_u8 v4, v[0:1], off
	s_mov_b32 s21, 0
	s_mov_b32 s23, -1
	s_wait_loadcnt 0x0
	v_cmp_ne_u32_e32 vcc_lo, 0xff, v4
	v_lshlrev_b32_e32 v2, 23, v4
	s_delay_alu instid0(VALU_DEP_1) | instskip(NEXT) | instid1(VALU_DEP_1)
	v_cvt_f64_f32_e32 v[2:3], v2
	v_cndmask_b32_e32 v2, 0x20000000, v2, vcc_lo
	s_delay_alu instid0(VALU_DEP_2) | instskip(SKIP_1) | instid1(VALU_DEP_2)
	v_cndmask_b32_e32 v3, 0x7ff80000, v3, vcc_lo
	v_cmp_ne_u32_e32 vcc_lo, 0, v4
	v_cndmask_b32_e32 v3, 0x38000000, v3, vcc_lo
	s_delay_alu instid0(VALU_DEP_4)
	v_cndmask_b32_e32 v2, 0, v2, vcc_lo
	s_branch .LBB8_812
.LBB8_811:
	s_mov_b32 s21, -1
                                        ; implicit-def: $vgpr2_vgpr3
.LBB8_812:
	s_mov_b32 s24, 0
.LBB8_813:
	s_delay_alu instid0(SALU_CYCLE_1)
	s_and_b32 vcc_lo, exec_lo, s24
	s_cbranch_vccz .LBB8_817
; %bb.814:
	s_cmp_eq_u32 s20, 29
	s_cbranch_scc0 .LBB8_816
; %bb.815:
	s_wait_loadcnt 0x0
	global_load_b64 v[2:3], v[0:1], off
	s_mov_b32 s21, 0
	s_mov_b32 s23, -1
	s_mov_b32 s24, 0
	s_wait_loadcnt 0x0
	v_cvt_f64_u32_e32 v[4:5], v3
	v_cvt_f64_u32_e32 v[2:3], v2
	s_delay_alu instid0(VALU_DEP_2) | instskip(NEXT) | instid1(VALU_DEP_1)
	v_ldexp_f64 v[4:5], v[4:5], 32
	v_add_f64_e32 v[2:3], v[4:5], v[2:3]
	s_branch .LBB8_818
.LBB8_816:
	s_mov_b32 s21, -1
                                        ; implicit-def: $vgpr2_vgpr3
.LBB8_817:
	s_mov_b32 s24, 0
.LBB8_818:
	s_delay_alu instid0(SALU_CYCLE_1)
	s_and_b32 vcc_lo, exec_lo, s24
	s_cbranch_vccz .LBB8_836
; %bb.819:
	s_cmp_lt_i32 s20, 27
	s_cbranch_scc1 .LBB8_822
; %bb.820:
	s_cmp_gt_i32 s20, 27
	s_cbranch_scc0 .LBB8_823
; %bb.821:
	s_wait_loadcnt 0x0
	global_load_b32 v2, v[0:1], off
	s_mov_b32 s23, 0
	s_wait_loadcnt 0x0
	v_cvt_f64_u32_e32 v[2:3], v2
	s_branch .LBB8_824
.LBB8_822:
	s_mov_b32 s23, -1
                                        ; implicit-def: $vgpr2_vgpr3
	s_branch .LBB8_827
.LBB8_823:
	s_mov_b32 s23, -1
                                        ; implicit-def: $vgpr2_vgpr3
.LBB8_824:
	s_delay_alu instid0(SALU_CYCLE_1)
	s_and_not1_b32 vcc_lo, exec_lo, s23
	s_cbranch_vccnz .LBB8_826
; %bb.825:
	s_wait_loadcnt 0x0
	global_load_u16 v2, v[0:1], off
	s_wait_loadcnt 0x0
	v_cvt_f64_u32_e32 v[2:3], v2
.LBB8_826:
	s_mov_b32 s23, 0
.LBB8_827:
	s_delay_alu instid0(SALU_CYCLE_1)
	s_and_not1_b32 vcc_lo, exec_lo, s23
	s_cbranch_vccnz .LBB8_835
; %bb.828:
	global_load_u8 v4, v[0:1], off
	s_mov_b32 s23, 0
	s_mov_b32 s24, exec_lo
	s_wait_loadcnt 0x0
	v_cmpx_lt_i16_e32 0x7f, v4
	s_xor_b32 s24, exec_lo, s24
	s_cbranch_execz .LBB8_849
; %bb.829:
	s_mov_b32 s23, -1
	s_mov_b32 s25, exec_lo
	v_cmpx_eq_u16_e32 0x80, v4
; %bb.830:
	s_xor_b32 s23, exec_lo, -1
; %bb.831:
	s_or_b32 exec_lo, exec_lo, s25
	s_delay_alu instid0(SALU_CYCLE_1)
	s_and_b32 s23, s23, exec_lo
	s_or_saveexec_b32 s24, s24
	v_mov_b64_e32 v[2:3], 0x7ff8000020000000
	s_xor_b32 exec_lo, exec_lo, s24
	s_cbranch_execnz .LBB8_850
.LBB8_832:
	s_or_b32 exec_lo, exec_lo, s24
	s_and_saveexec_b32 s24, s23
	s_cbranch_execz .LBB8_834
.LBB8_833:
	v_and_b32_e32 v2, 0xffff, v4
	s_delay_alu instid0(VALU_DEP_1) | instskip(SKIP_1) | instid1(VALU_DEP_2)
	v_and_b32_e32 v3, 7, v2
	v_bfe_u32 v7, v2, 3, 4
	v_clz_i32_u32_e32 v5, v3
	s_delay_alu instid0(VALU_DEP_2) | instskip(NEXT) | instid1(VALU_DEP_2)
	v_cmp_eq_u32_e32 vcc_lo, 0, v7
	v_min_u32_e32 v5, 32, v5
	s_delay_alu instid0(VALU_DEP_1) | instskip(NEXT) | instid1(VALU_DEP_1)
	v_subrev_nc_u32_e32 v6, 28, v5
	v_dual_lshlrev_b32 v2, v6, v2 :: v_dual_sub_nc_u32 v5, 29, v5
	s_delay_alu instid0(VALU_DEP_1) | instskip(NEXT) | instid1(VALU_DEP_2)
	v_dual_lshlrev_b32 v4, 24, v4 :: v_dual_bitop2_b32 v2, 7, v2 bitop3:0x40
	v_cndmask_b32_e32 v5, v7, v5, vcc_lo
	s_delay_alu instid0(VALU_DEP_2) | instskip(NEXT) | instid1(VALU_DEP_3)
	v_cndmask_b32_e32 v2, v3, v2, vcc_lo
	v_and_b32_e32 v3, 0x80000000, v4
	s_delay_alu instid0(VALU_DEP_3) | instskip(NEXT) | instid1(VALU_DEP_3)
	v_lshl_add_u32 v4, v5, 23, 0x3b800000
	v_lshlrev_b32_e32 v2, 20, v2
	s_delay_alu instid0(VALU_DEP_1) | instskip(NEXT) | instid1(VALU_DEP_1)
	v_or3_b32 v2, v3, v4, v2
	v_cvt_f64_f32_e32 v[2:3], v2
.LBB8_834:
	s_or_b32 exec_lo, exec_lo, s24
.LBB8_835:
	s_mov_b32 s23, -1
.LBB8_836:
	s_mov_b32 s24, 0
.LBB8_837:
	s_delay_alu instid0(SALU_CYCLE_1)
	s_and_b32 vcc_lo, exec_lo, s24
	s_cbranch_vccz .LBB8_870
; %bb.838:
	s_cmp_gt_i32 s20, 22
	s_cbranch_scc0 .LBB8_848
; %bb.839:
	s_cmp_lt_i32 s20, 24
	s_cbranch_scc1 .LBB8_851
; %bb.840:
	s_cmp_gt_i32 s20, 24
	s_cbranch_scc0 .LBB8_852
; %bb.841:
	global_load_u8 v4, v[0:1], off
	s_mov_b32 s23, exec_lo
	s_wait_loadcnt 0x0
	v_cmpx_lt_i16_e32 0x7f, v4
	s_xor_b32 s23, exec_lo, s23
	s_cbranch_execz .LBB8_864
; %bb.842:
	s_mov_b32 s22, -1
	s_mov_b32 s24, exec_lo
	v_cmpx_eq_u16_e32 0x80, v4
; %bb.843:
	s_xor_b32 s22, exec_lo, -1
; %bb.844:
	s_or_b32 exec_lo, exec_lo, s24
	s_delay_alu instid0(SALU_CYCLE_1)
	s_and_b32 s22, s22, exec_lo
	s_or_saveexec_b32 s23, s23
	v_mov_b64_e32 v[2:3], 0x7ff8000020000000
	s_xor_b32 exec_lo, exec_lo, s23
	s_cbranch_execnz .LBB8_865
.LBB8_845:
	s_or_b32 exec_lo, exec_lo, s23
	s_and_saveexec_b32 s23, s22
	s_cbranch_execz .LBB8_847
.LBB8_846:
	v_and_b32_e32 v2, 0xffff, v4
	s_delay_alu instid0(VALU_DEP_1) | instskip(SKIP_1) | instid1(VALU_DEP_2)
	v_and_b32_e32 v3, 3, v2
	v_bfe_u32 v7, v2, 2, 5
	v_clz_i32_u32_e32 v5, v3
	s_delay_alu instid0(VALU_DEP_2) | instskip(NEXT) | instid1(VALU_DEP_2)
	v_cmp_eq_u32_e32 vcc_lo, 0, v7
	v_min_u32_e32 v5, 32, v5
	s_delay_alu instid0(VALU_DEP_1) | instskip(NEXT) | instid1(VALU_DEP_1)
	v_subrev_nc_u32_e32 v6, 29, v5
	v_dual_lshlrev_b32 v2, v6, v2 :: v_dual_sub_nc_u32 v5, 30, v5
	s_delay_alu instid0(VALU_DEP_1) | instskip(NEXT) | instid1(VALU_DEP_2)
	v_dual_lshlrev_b32 v4, 24, v4 :: v_dual_bitop2_b32 v2, 3, v2 bitop3:0x40
	v_cndmask_b32_e32 v5, v7, v5, vcc_lo
	s_delay_alu instid0(VALU_DEP_2) | instskip(NEXT) | instid1(VALU_DEP_3)
	v_cndmask_b32_e32 v2, v3, v2, vcc_lo
	v_and_b32_e32 v3, 0x80000000, v4
	s_delay_alu instid0(VALU_DEP_3) | instskip(NEXT) | instid1(VALU_DEP_3)
	v_lshl_add_u32 v4, v5, 23, 0x37800000
	v_lshlrev_b32_e32 v2, 21, v2
	s_delay_alu instid0(VALU_DEP_1) | instskip(NEXT) | instid1(VALU_DEP_1)
	v_or3_b32 v2, v3, v4, v2
	v_cvt_f64_f32_e32 v[2:3], v2
.LBB8_847:
	s_or_b32 exec_lo, exec_lo, s23
	s_mov_b32 s22, 0
	s_branch .LBB8_853
.LBB8_848:
	s_mov_b32 s22, -1
                                        ; implicit-def: $vgpr2_vgpr3
	s_branch .LBB8_859
.LBB8_849:
	s_or_saveexec_b32 s24, s24
	v_mov_b64_e32 v[2:3], 0x7ff8000020000000
	s_xor_b32 exec_lo, exec_lo, s24
	s_cbranch_execz .LBB8_832
.LBB8_850:
	v_cmp_ne_u16_e32 vcc_lo, 0, v4
	v_mov_b64_e32 v[2:3], 0
	s_and_not1_b32 s23, s23, exec_lo
	s_and_b32 s25, vcc_lo, exec_lo
	s_delay_alu instid0(SALU_CYCLE_1)
	s_or_b32 s23, s23, s25
	s_or_b32 exec_lo, exec_lo, s24
	s_and_saveexec_b32 s24, s23
	s_cbranch_execnz .LBB8_833
	s_branch .LBB8_834
.LBB8_851:
	s_mov_b32 s22, -1
                                        ; implicit-def: $vgpr2_vgpr3
	s_branch .LBB8_856
.LBB8_852:
	s_mov_b32 s22, -1
                                        ; implicit-def: $vgpr2_vgpr3
.LBB8_853:
	s_delay_alu instid0(SALU_CYCLE_1)
	s_and_b32 vcc_lo, exec_lo, s22
	s_cbranch_vccz .LBB8_855
; %bb.854:
	s_wait_loadcnt 0x0
	global_load_u8 v2, v[0:1], off
	s_wait_loadcnt 0x0
	v_lshlrev_b32_e32 v2, 24, v2
	s_delay_alu instid0(VALU_DEP_1) | instskip(NEXT) | instid1(VALU_DEP_1)
	v_and_b32_e32 v3, 0x7f000000, v2
	v_clz_i32_u32_e32 v4, v3
	v_cmp_ne_u32_e32 vcc_lo, 0, v3
	v_add_nc_u32_e32 v6, 0x1000000, v3
	s_delay_alu instid0(VALU_DEP_3) | instskip(NEXT) | instid1(VALU_DEP_1)
	v_min_u32_e32 v4, 32, v4
	v_sub_nc_u32_e64 v4, v4, 4 clamp
	s_delay_alu instid0(VALU_DEP_1) | instskip(NEXT) | instid1(VALU_DEP_1)
	v_dual_lshlrev_b32 v5, v4, v3 :: v_dual_lshlrev_b32 v4, 23, v4
	v_lshrrev_b32_e32 v5, 4, v5
	s_delay_alu instid0(VALU_DEP_1) | instskip(NEXT) | instid1(VALU_DEP_1)
	v_dual_sub_nc_u32 v4, v5, v4 :: v_dual_ashrrev_i32 v5, 8, v6
	v_add_nc_u32_e32 v4, 0x3c000000, v4
	s_delay_alu instid0(VALU_DEP_1) | instskip(NEXT) | instid1(VALU_DEP_1)
	v_and_or_b32 v4, 0x7f800000, v5, v4
	v_cndmask_b32_e32 v3, 0, v4, vcc_lo
	s_delay_alu instid0(VALU_DEP_1) | instskip(NEXT) | instid1(VALU_DEP_1)
	v_and_or_b32 v2, 0x80000000, v2, v3
	v_cvt_f64_f32_e32 v[2:3], v2
.LBB8_855:
	s_mov_b32 s22, 0
.LBB8_856:
	s_delay_alu instid0(SALU_CYCLE_1)
	s_and_not1_b32 vcc_lo, exec_lo, s22
	s_cbranch_vccnz .LBB8_858
; %bb.857:
	s_wait_loadcnt 0x0
	global_load_u8 v2, v[0:1], off
	s_wait_loadcnt 0x0
	v_lshlrev_b32_e32 v3, 25, v2
	v_lshlrev_b16 v2, 8, v2
	s_delay_alu instid0(VALU_DEP_1) | instskip(SKIP_1) | instid1(VALU_DEP_2)
	v_and_or_b32 v5, 0x7f00, v2, 0.5
	v_bfe_i32 v2, v2, 0, 16
	v_dual_add_f32 v5, -0.5, v5 :: v_dual_lshrrev_b32 v4, 4, v3
	v_cmp_gt_u32_e32 vcc_lo, 0x8000000, v3
	s_delay_alu instid0(VALU_DEP_2) | instskip(NEXT) | instid1(VALU_DEP_1)
	v_or_b32_e32 v4, 0x70000000, v4
	v_mul_f32_e32 v4, 0x7800000, v4
	s_delay_alu instid0(VALU_DEP_1) | instskip(NEXT) | instid1(VALU_DEP_1)
	v_cndmask_b32_e32 v3, v4, v5, vcc_lo
	v_and_or_b32 v2, 0x80000000, v2, v3
	s_delay_alu instid0(VALU_DEP_1)
	v_cvt_f64_f32_e32 v[2:3], v2
.LBB8_858:
	s_mov_b32 s22, 0
	s_mov_b32 s23, -1
.LBB8_859:
	s_and_not1_b32 vcc_lo, exec_lo, s22
	s_mov_b32 s22, 0
	s_cbranch_vccnz .LBB8_870
; %bb.860:
	s_cmp_gt_i32 s20, 14
	s_cbranch_scc0 .LBB8_863
; %bb.861:
	s_cmp_eq_u32 s20, 15
	s_cbranch_scc0 .LBB8_866
; %bb.862:
	s_wait_loadcnt 0x0
	global_load_u16 v2, v[0:1], off
	s_mov_b32 s21, 0
	s_mov_b32 s23, -1
	s_wait_loadcnt 0x0
	v_lshlrev_b32_e32 v2, 16, v2
	s_delay_alu instid0(VALU_DEP_1)
	v_cvt_f64_f32_e32 v[2:3], v2
	s_branch .LBB8_868
.LBB8_863:
	s_mov_b32 s22, -1
	s_branch .LBB8_867
.LBB8_864:
	s_or_saveexec_b32 s23, s23
	v_mov_b64_e32 v[2:3], 0x7ff8000020000000
	s_xor_b32 exec_lo, exec_lo, s23
	s_cbranch_execz .LBB8_845
.LBB8_865:
	v_cmp_ne_u16_e32 vcc_lo, 0, v4
	v_mov_b64_e32 v[2:3], 0
	s_and_not1_b32 s22, s22, exec_lo
	s_and_b32 s24, vcc_lo, exec_lo
	s_delay_alu instid0(SALU_CYCLE_1)
	s_or_b32 s22, s22, s24
	s_or_b32 exec_lo, exec_lo, s23
	s_and_saveexec_b32 s23, s22
	s_cbranch_execnz .LBB8_846
	s_branch .LBB8_847
.LBB8_866:
	s_mov_b32 s21, -1
.LBB8_867:
                                        ; implicit-def: $vgpr2_vgpr3
.LBB8_868:
	s_and_b32 vcc_lo, exec_lo, s22
	s_mov_b32 s22, 0
	s_cbranch_vccz .LBB8_870
; %bb.869:
	s_cmp_lg_u32 s20, 11
	s_mov_b32 s22, -1
	s_cselect_b32 s20, -1, 0
	s_and_not1_b32 s21, s21, exec_lo
	s_and_b32 s20, s20, exec_lo
	s_delay_alu instid0(SALU_CYCLE_1)
	s_or_b32 s21, s21, s20
.LBB8_870:
	s_mov_b32 s20, 0
.LBB8_871:
	s_and_not1_b32 s25, s0, exec_lo
	s_and_b32 s21, s21, exec_lo
	s_and_b32 s23, s23, exec_lo
	;; [unrolled: 1-line block ×4, first 2 shown]
	s_or_b32 s21, s25, s21
.LBB8_872:
	s_wait_xcnt 0x0
	s_or_b32 exec_lo, exec_lo, s12
	s_delay_alu instid0(SALU_CYCLE_1)
	s_and_not1_b32 s0, s0, exec_lo
	s_and_b32 s12, s21, exec_lo
	s_and_b32 s23, s23, exec_lo
	;; [unrolled: 1-line block ×4, first 2 shown]
	s_or_b32 s0, s0, s12
.LBB8_873:
	s_or_b32 exec_lo, exec_lo, s18
	s_delay_alu instid0(SALU_CYCLE_1)
	s_and_not1_b32 s12, s16, exec_lo
	s_and_b32 s16, s19, exec_lo
	s_and_b32 s0, s0, exec_lo
	s_or_b32 s16, s12, s16
	s_and_not1_b32 s12, s15, exec_lo
	s_and_b32 s20, s23, exec_lo
	s_and_b32 s19, s22, exec_lo
	s_and_b32 s18, s21, exec_lo
	s_or_b32 s15, s12, s0
.LBB8_874:
	s_or_b32 exec_lo, exec_lo, s17
	s_delay_alu instid0(SALU_CYCLE_1)
	s_and_not1_b32 s0, s11, exec_lo
	s_and_b32 s11, s16, exec_lo
	s_and_not1_b32 s12, s13, exec_lo
	s_and_b32 s13, s15, exec_lo
	s_or_b32 s11, s0, s11
	s_and_b32 s0, s20, exec_lo
	s_and_b32 s16, s19, exec_lo
	;; [unrolled: 1-line block ×3, first 2 shown]
	s_or_b32 s13, s12, s13
	s_or_b32 exec_lo, exec_lo, s14
	s_mov_b32 s12, 0
	s_and_saveexec_b32 s14, s13
	s_cbranch_execz .LBB8_266
.LBB8_875:
	s_mov_b32 s12, exec_lo
	s_and_not1_b32 s15, s15, exec_lo
	s_trap 2
	s_or_b32 exec_lo, exec_lo, s14
	s_and_saveexec_b32 s13, s15
	s_delay_alu instid0(SALU_CYCLE_1)
	s_xor_b32 s13, exec_lo, s13
	s_cbranch_execnz .LBB8_267
.LBB8_876:
	s_or_b32 exec_lo, exec_lo, s13
	s_and_saveexec_b32 s13, s16
	s_cbranch_execz .LBB8_922
.LBB8_877:
	s_sext_i32_i16 s14, s9
	s_delay_alu instid0(SALU_CYCLE_1)
	s_cmp_lt_i32 s14, 5
	s_cbranch_scc1 .LBB8_882
; %bb.878:
	s_cmp_lt_i32 s14, 8
	s_cbranch_scc1 .LBB8_883
; %bb.879:
	;; [unrolled: 3-line block ×3, first 2 shown]
	s_cmp_gt_i32 s14, 9
	s_cbranch_scc0 .LBB8_885
; %bb.881:
	s_wait_loadcnt 0x0
	global_load_b64 v[2:3], v[0:1], off
	s_mov_b32 s14, 0
	s_branch .LBB8_886
.LBB8_882:
                                        ; implicit-def: $vgpr2_vgpr3
	s_branch .LBB8_903
.LBB8_883:
                                        ; implicit-def: $vgpr2_vgpr3
	s_branch .LBB8_892
.LBB8_884:
	s_mov_b32 s14, -1
                                        ; implicit-def: $vgpr2_vgpr3
	s_branch .LBB8_889
.LBB8_885:
	s_mov_b32 s14, -1
                                        ; implicit-def: $vgpr2_vgpr3
.LBB8_886:
	s_delay_alu instid0(SALU_CYCLE_1)
	s_and_not1_b32 vcc_lo, exec_lo, s14
	s_cbranch_vccnz .LBB8_888
; %bb.887:
	s_wait_loadcnt 0x0
	global_load_b32 v2, v[0:1], off
	s_wait_loadcnt 0x0
	v_cvt_f64_f32_e32 v[2:3], v2
.LBB8_888:
	s_mov_b32 s14, 0
.LBB8_889:
	s_delay_alu instid0(SALU_CYCLE_1)
	s_and_not1_b32 vcc_lo, exec_lo, s14
	s_cbranch_vccnz .LBB8_891
; %bb.890:
	s_wait_loadcnt 0x0
	global_load_b32 v2, v[0:1], off
	s_wait_loadcnt 0x0
	v_cvt_f32_f16_e32 v2, v2
	s_delay_alu instid0(VALU_DEP_1)
	v_cvt_f64_f32_e32 v[2:3], v2
.LBB8_891:
	s_cbranch_execnz .LBB8_902
.LBB8_892:
	s_sext_i32_i16 s14, s9
	s_delay_alu instid0(SALU_CYCLE_1)
	s_cmp_lt_i32 s14, 6
	s_cbranch_scc1 .LBB8_895
; %bb.893:
	s_cmp_gt_i32 s14, 6
	s_cbranch_scc0 .LBB8_896
; %bb.894:
	s_wait_loadcnt 0x0
	global_load_b64 v[2:3], v[0:1], off
	s_mov_b32 s14, 0
	s_branch .LBB8_897
.LBB8_895:
	s_mov_b32 s14, -1
                                        ; implicit-def: $vgpr2_vgpr3
	s_branch .LBB8_900
.LBB8_896:
	s_mov_b32 s14, -1
                                        ; implicit-def: $vgpr2_vgpr3
.LBB8_897:
	s_delay_alu instid0(SALU_CYCLE_1)
	s_and_not1_b32 vcc_lo, exec_lo, s14
	s_cbranch_vccnz .LBB8_899
; %bb.898:
	s_wait_loadcnt 0x0
	global_load_b32 v2, v[0:1], off
	s_wait_loadcnt 0x0
	v_cvt_f64_f32_e32 v[2:3], v2
.LBB8_899:
	s_mov_b32 s14, 0
.LBB8_900:
	s_delay_alu instid0(SALU_CYCLE_1)
	s_and_not1_b32 vcc_lo, exec_lo, s14
	s_cbranch_vccnz .LBB8_902
; %bb.901:
	s_wait_loadcnt 0x0
	global_load_u16 v2, v[0:1], off
	s_wait_loadcnt 0x0
	v_cvt_f32_f16_e32 v2, v2
	s_delay_alu instid0(VALU_DEP_1)
	v_cvt_f64_f32_e32 v[2:3], v2
.LBB8_902:
	s_cbranch_execnz .LBB8_921
.LBB8_903:
	s_sext_i32_i16 s14, s9
	s_delay_alu instid0(SALU_CYCLE_1)
	s_cmp_lt_i32 s14, 2
	s_cbranch_scc1 .LBB8_907
; %bb.904:
	s_cmp_lt_i32 s14, 3
	s_cbranch_scc1 .LBB8_908
; %bb.905:
	s_cmp_gt_i32 s14, 3
	s_cbranch_scc0 .LBB8_909
; %bb.906:
	s_wait_loadcnt 0x0
	global_load_b64 v[2:3], v[0:1], off
	s_mov_b32 s14, 0
	s_wait_loadcnt 0x0
	v_cvt_f64_i32_e32 v[4:5], v3
	v_cvt_f64_u32_e32 v[2:3], v2
	s_delay_alu instid0(VALU_DEP_2) | instskip(NEXT) | instid1(VALU_DEP_1)
	v_ldexp_f64 v[4:5], v[4:5], 32
	v_add_f64_e32 v[2:3], v[4:5], v[2:3]
	s_branch .LBB8_910
.LBB8_907:
                                        ; implicit-def: $vgpr2_vgpr3
	s_branch .LBB8_916
.LBB8_908:
	s_mov_b32 s14, -1
                                        ; implicit-def: $vgpr2_vgpr3
	s_branch .LBB8_913
.LBB8_909:
	s_mov_b32 s14, -1
                                        ; implicit-def: $vgpr2_vgpr3
.LBB8_910:
	s_delay_alu instid0(SALU_CYCLE_1)
	s_and_not1_b32 vcc_lo, exec_lo, s14
	s_cbranch_vccnz .LBB8_912
; %bb.911:
	s_wait_loadcnt 0x0
	global_load_b32 v2, v[0:1], off
	s_wait_loadcnt 0x0
	v_cvt_f64_i32_e32 v[2:3], v2
.LBB8_912:
	s_mov_b32 s14, 0
.LBB8_913:
	s_delay_alu instid0(SALU_CYCLE_1)
	s_and_not1_b32 vcc_lo, exec_lo, s14
	s_cbranch_vccnz .LBB8_915
; %bb.914:
	s_wait_loadcnt 0x0
	global_load_i16 v2, v[0:1], off
	s_wait_loadcnt 0x0
	v_cvt_f64_i32_e32 v[2:3], v2
.LBB8_915:
	s_cbranch_execnz .LBB8_921
.LBB8_916:
	s_sext_i32_i16 s14, s9
	s_delay_alu instid0(SALU_CYCLE_1)
	s_cmp_gt_i32 s14, 0
	s_mov_b32 s14, 0
	s_cbranch_scc0 .LBB8_918
; %bb.917:
	s_wait_loadcnt 0x0
	global_load_i8 v2, v[0:1], off
	s_wait_loadcnt 0x0
	v_cvt_f64_i32_e32 v[2:3], v2
	s_branch .LBB8_919
.LBB8_918:
	s_mov_b32 s14, -1
                                        ; implicit-def: $vgpr2_vgpr3
.LBB8_919:
	s_delay_alu instid0(SALU_CYCLE_1)
	s_and_not1_b32 vcc_lo, exec_lo, s14
	s_cbranch_vccnz .LBB8_921
; %bb.920:
	global_load_u8 v0, v[0:1], off
	s_wait_loadcnt 0x0
	v_cvt_f64_u32_e32 v[2:3], v0
.LBB8_921:
	s_or_b32 s0, s0, exec_lo
.LBB8_922:
	s_wait_xcnt 0x0
	s_or_b32 exec_lo, exec_lo, s13
	s_mov_b32 s16, 0
	s_mov_b32 s15, 0
                                        ; implicit-def: $sgpr13
                                        ; implicit-def: $vgpr4_vgpr5
                                        ; implicit-def: $vgpr0_vgpr1
	s_and_saveexec_b32 s14, s0
	s_cbranch_execz .LBB8_934
; %bb.923:
	s_wait_loadcnt 0x0
	s_delay_alu instid0(VALU_DEP_1) | instskip(SKIP_1) | instid1(SALU_CYCLE_1)
	v_cmp_ge_f64_e64 s0, 0x40200000, |v[2:3]|
                                        ; implicit-def: $vgpr0_vgpr1
	s_and_saveexec_b32 s13, s0
	s_xor_b32 s0, exec_lo, s13
	s_cbranch_execz .LBB8_925
; %bb.924:
	v_fma_f64 v[0:1], |v[2:3]|, 0.5, -2.0
	s_mov_b64 s[16:17], 0xbc545cb72134d0ef
	s_delay_alu instid0(VALU_DEP_1) | instid1(SALU_CYCLE_1)
	v_fmaak_f64 v[4:5], s[16:17], v[0:1], 0x3c833362977da589
	s_mov_b64 s[16:17], 0x3ff71547652b82fe
	s_delay_alu instid0(SALU_CYCLE_1) | instskip(SKIP_1) | instid1(VALU_DEP_2)
	v_mul_f64_e64 v[8:9], |v[2:3]|, s[16:17]
	s_mov_b64 s[16:17], 0xbfe62e42fefa39ef
	v_fmaak_f64 v[6:7], v[0:1], v[4:5], 0x3c545cb72134d0ef
	s_delay_alu instid0(VALU_DEP_1) | instskip(NEXT) | instid1(VALU_DEP_3)
	v_add_f64_e32 v[6:7], 0xbcb184eb721ebbb4, v[6:7]
	v_rndne_f64_e32 v[8:9], v[8:9]
	s_delay_alu instid0(VALU_DEP_2) | instskip(NEXT) | instid1(VALU_DEP_2)
	v_fma_f64 v[4:5], v[0:1], v[6:7], -v[4:5]
	v_fma_f64 v[2:3], v[8:9], s[16:17], |v[2:3]|
	s_mov_b64 s[16:17], 0x3e5ade156a5dcb37
	s_delay_alu instid0(VALU_DEP_2) | instskip(NEXT) | instid1(VALU_DEP_2)
	v_add_f64_e32 v[4:5], 0x3cdee6d893f65eba, v[4:5]
	v_fmamk_f64 v[2:3], v[8:9], 0xbc7abc9e3b39803f, v[2:3]
	s_delay_alu instid0(VALU_DEP_1) | instskip(NEXT) | instid1(VALU_DEP_3)
	v_fmaak_f64 v[10:11], s[16:17], v[2:3], 0x3e928af3fca7ab0c
	v_fma_f64 v[6:7], v[0:1], v[4:5], -v[6:7]
	s_delay_alu instid0(VALU_DEP_2) | instskip(NEXT) | instid1(VALU_DEP_1)
	v_fmaak_f64 v[10:11], v[2:3], v[10:11], 0x3ec71dee623fde64
	v_fmaak_f64 v[10:11], v[2:3], v[10:11], 0x3efa01997c89e6b0
	s_delay_alu instid0(VALU_DEP_1) | instskip(NEXT) | instid1(VALU_DEP_1)
	v_fmaak_f64 v[10:11], v[2:3], v[10:11], 0x3f2a01a014761f6e
	v_fmaak_f64 v[10:11], v[2:3], v[10:11], 0x3f56c16c1852b7b0
	v_add_f64_e32 v[6:7], 0xbd0a5022c297fbeb, v[6:7]
	s_delay_alu instid0(VALU_DEP_1) | instskip(NEXT) | instid1(VALU_DEP_1)
	v_fma_f64 v[4:5], v[0:1], v[6:7], -v[4:5]
	v_add_f64_e32 v[4:5], 0x3d359b464b262627, v[4:5]
	s_delay_alu instid0(VALU_DEP_1) | instskip(NEXT) | instid1(VALU_DEP_1)
	v_fma_f64 v[6:7], v[0:1], v[4:5], -v[6:7]
	;; [unrolled: 3-line block ×24, first 2 shown]
	v_add_f64_e32 v[6:7], 0xbfd37febc057cd8d, v[6:7]
	s_delay_alu instid0(VALU_DEP_1) | instskip(SKIP_1) | instid1(VALU_DEP_1)
	v_fma_f64 v[0:1], v[0:1], v[6:7], -v[4:5]
	v_fmaak_f64 v[6:7], v[2:3], v[10:11], 0x3f81111111122322
	v_fmaak_f64 v[6:7], v[2:3], v[6:7], 0x3fa55555555502a1
	s_delay_alu instid0(VALU_DEP_1) | instskip(NEXT) | instid1(VALU_DEP_1)
	v_fmaak_f64 v[6:7], v[2:3], v[6:7], 0x3fc5555555555511
	v_fmaak_f64 v[6:7], v[2:3], v[6:7], 0x3fe000000000000b
	s_delay_alu instid0(VALU_DEP_1) | instskip(SKIP_1) | instid1(VALU_DEP_2)
	v_fma_f64 v[6:7], v[2:3], v[6:7], 1.0
	v_add_f64_e32 v[0:1], 0x3fe5a84e9035a22a, v[0:1]
	v_fma_f64 v[2:3], v[2:3], v[6:7], 1.0
	v_cvt_i32_f64_e32 v6, v[8:9]
	s_delay_alu instid0(VALU_DEP_3) | instskip(NEXT) | instid1(VALU_DEP_2)
	v_add_f64_e64 v[0:1], v[0:1], -v[4:5]
	v_ldexp_f64 v[2:3], v[2:3], v6
	s_delay_alu instid0(VALU_DEP_2) | instskip(NEXT) | instid1(VALU_DEP_1)
	v_mul_f64_e32 v[0:1], 0.5, v[0:1]
	v_mul_f64_e32 v[0:1], v[2:3], v[0:1]
                                        ; implicit-def: $vgpr2_vgpr3
.LBB8_925:
	s_and_not1_saveexec_b32 s0, s0
	s_cbranch_execz .LBB8_927
; %bb.926:
	v_and_b32_e32 v1, 0x7fffffff, v3
	v_mov_b32_e32 v0, v2
	s_mov_b64 s[16:17], 0xbc60adb754ca8b19
	v_cmp_gt_f64_e64 s13, 0x10000000, |v[2:3]|
	s_delay_alu instid0(VALU_DEP_2) | instskip(SKIP_1) | instid1(VALU_DEP_2)
	v_div_scale_f64 v[4:5], null, v[0:1], v[0:1], 0x40400000
	v_div_scale_f64 v[0:1], vcc_lo, 0x40400000, v[0:1], 0x40400000
	v_rcp_f64_e32 v[6:7], v[4:5]
	v_nop
	s_delay_alu instid0(TRANS32_DEP_1) | instskip(NEXT) | instid1(VALU_DEP_1)
	v_fma_f64 v[8:9], -v[4:5], v[6:7], 1.0
	v_fmac_f64_e32 v[6:7], v[6:7], v[8:9]
	s_delay_alu instid0(VALU_DEP_1) | instskip(NEXT) | instid1(VALU_DEP_1)
	v_fma_f64 v[8:9], -v[4:5], v[6:7], 1.0
	v_fmac_f64_e32 v[6:7], v[6:7], v[8:9]
	s_delay_alu instid0(VALU_DEP_1) | instskip(NEXT) | instid1(VALU_DEP_1)
	v_mul_f64_e32 v[8:9], v[0:1], v[6:7]
	v_fma_f64 v[0:1], -v[4:5], v[8:9], v[0:1]
	s_delay_alu instid0(VALU_DEP_1) | instskip(SKIP_2) | instid1(VALU_DEP_2)
	v_div_fmas_f64 v[0:1], v[0:1], v[6:7], v[8:9]
	v_cndmask_b32_e64 v8, 0, 0x100, s13
	v_cmp_nlt_f64_e64 vcc_lo, 0x40900000, |v[2:3]|
	v_ldexp_f64 v[8:9], |v[2:3]|, v8
	s_delay_alu instid0(VALU_DEP_4) | instskip(NEXT) | instid1(VALU_DEP_2)
	v_div_fixup_f64 v[0:1], v[0:1], |v[2:3]|, 0x40400000
	v_rsq_f64_e32 v[12:13], v[8:9]
	s_delay_alu instid0(VALU_DEP_1) | instskip(NEXT) | instid1(TRANS32_DEP_1)
	v_add_f64_e32 v[0:1], -2.0, v[0:1]
	v_mul_f64_e32 v[16:17], v[8:9], v[12:13]
	v_mul_f64_e32 v[12:13], 0.5, v[12:13]
	s_delay_alu instid0(VALU_DEP_3) | instskip(SKIP_1) | instid1(SALU_CYCLE_1)
	v_fmaak_f64 v[4:5], s[16:17], v[0:1], 0xbc5646da66119130
	s_mov_b64 s[16:17], 0x3ff71547652b82fe
	v_mul_f64_e64 v[10:11], |v[2:3]|, s[16:17]
	s_mov_b64 s[16:17], 0xbfe62e42fefa39ef
	s_delay_alu instid0(VALU_DEP_2) | instskip(NEXT) | instid1(VALU_DEP_4)
	v_fmaak_f64 v[6:7], v[0:1], v[4:5], 0x3c60adb754ca8b19
	v_fma_f64 v[20:21], -v[12:13], v[16:17], 0.5
	s_delay_alu instid0(VALU_DEP_2) | instskip(NEXT) | instid1(VALU_DEP_4)
	v_add_f64_e32 v[6:7], 0x3c89be1812d98421, v[6:7]
	v_rndne_f64_e32 v[10:11], v[10:11]
	s_delay_alu instid0(VALU_DEP_3) | instskip(NEXT) | instid1(VALU_DEP_3)
	v_fmac_f64_e32 v[16:17], v[16:17], v[20:21]
	v_fma_f64 v[4:5], v[0:1], v[6:7], -v[4:5]
	v_fmac_f64_e32 v[12:13], v[12:13], v[20:21]
	s_delay_alu instid0(VALU_DEP_4) | instskip(SKIP_4) | instid1(VALU_DEP_4)
	v_fma_f64 v[18:19], v[10:11], s[16:17], |v[2:3]|
	s_mov_b64 s[16:17], 0x3e5ade156a5dcb37
	v_cvt_i32_f64_e32 v15, v[10:11]
	v_fma_f64 v[20:21], -v[16:17], v[16:17], v[8:9]
	v_add_f64_e32 v[4:5], 0x3c83f3dd076041cd, v[4:5]
	v_fmamk_f64 v[18:19], v[10:11], 0xbc7abc9e3b39803f, v[18:19]
	s_delay_alu instid0(VALU_DEP_1) | instskip(NEXT) | instid1(VALU_DEP_4)
	v_fmaak_f64 v[22:23], s[16:17], v[18:19], 0x3e928af3fca7ab0c
	v_fmac_f64_e32 v[16:17], v[20:21], v[12:13]
	s_delay_alu instid0(VALU_DEP_4) | instskip(NEXT) | instid1(VALU_DEP_3)
	v_fma_f64 v[6:7], v[0:1], v[4:5], -v[6:7]
	v_fmaak_f64 v[22:23], v[18:19], v[22:23], 0x3ec71dee623fde64
	s_delay_alu instid0(VALU_DEP_1) | instskip(NEXT) | instid1(VALU_DEP_1)
	v_fmaak_f64 v[22:23], v[18:19], v[22:23], 0x3efa01997c89e6b0
	v_fmaak_f64 v[22:23], v[18:19], v[22:23], 0x3f2a01a014761f6e
	s_delay_alu instid0(VALU_DEP_1) | instskip(SKIP_2) | instid1(VALU_DEP_3)
	v_fmaak_f64 v[22:23], v[18:19], v[22:23], 0x3f56c16c1852b7b0
	v_fma_f64 v[10:11], -v[16:17], v[16:17], v[8:9]
	v_add_f64_e32 v[6:7], 0xbcb4600babd21fe4, v[6:7]
	v_fmaak_f64 v[22:23], v[18:19], v[22:23], 0x3f81111111122322
	s_delay_alu instid0(VALU_DEP_3) | instskip(NEXT) | instid1(VALU_DEP_3)
	v_fmac_f64_e32 v[16:17], v[10:11], v[12:13]
	v_fma_f64 v[4:5], v[0:1], v[6:7], -v[4:5]
	s_delay_alu instid0(VALU_DEP_1) | instskip(NEXT) | instid1(VALU_DEP_1)
	v_add_f64_e32 v[4:5], 0xbcb8aee7d908de38, v[4:5]
	v_fma_f64 v[6:7], v[0:1], v[4:5], -v[6:7]
	s_delay_alu instid0(VALU_DEP_1) | instskip(NEXT) | instid1(VALU_DEP_1)
	v_add_f64_e32 v[6:7], 0x3cdfee7da3eafb1f, v[6:7]
	;; [unrolled: 3-line block ×19, first 2 shown]
	v_fma_f64 v[0:1], v[0:1], v[4:5], -v[6:7]
	v_fmaak_f64 v[4:5], v[18:19], v[22:23], 0x3fa55555555502a1
	s_delay_alu instid0(VALU_DEP_1) | instskip(NEXT) | instid1(VALU_DEP_1)
	v_fmaak_f64 v[4:5], v[18:19], v[4:5], 0x3fc5555555555511
	v_fmaak_f64 v[4:5], v[18:19], v[4:5], 0x3fe000000000000b
	s_delay_alu instid0(VALU_DEP_1) | instskip(SKIP_1) | instid1(VALU_DEP_2)
	v_fma_f64 v[4:5], v[18:19], v[4:5], 1.0
	v_add_f64_e32 v[0:1], 0x3fe9be62aca809cb, v[0:1]
	v_fma_f64 v[4:5], v[18:19], v[4:5], 1.0
	s_delay_alu instid0(VALU_DEP_2) | instskip(SKIP_1) | instid1(VALU_DEP_3)
	v_add_f64_e64 v[0:1], v[0:1], -v[6:7]
	v_cndmask_b32_e64 v6, 0, 0xffffff80, s13
	v_ldexp_f64 v[4:5], v[4:5], v15
	s_delay_alu instid0(VALU_DEP_3) | instskip(NEXT) | instid1(VALU_DEP_2)
	v_mul_f64_e32 v[0:1], 0.5, v[0:1]
	v_cndmask_b32_e32 v3, 0x7ff00000, v5, vcc_lo
	s_delay_alu instid0(VALU_DEP_3) | instskip(SKIP_2) | instid1(VALU_DEP_3)
	v_cndmask_b32_e32 v2, 0, v4, vcc_lo
	v_ldexp_f64 v[4:5], v[16:17], v6
	v_cmp_class_f64_e64 vcc_lo, v[8:9], 0x260
	v_mul_f64_e32 v[0:1], v[2:3], v[0:1]
	s_delay_alu instid0(VALU_DEP_3) | instskip(NEXT) | instid1(VALU_DEP_1)
	v_dual_cndmask_b32 v3, v5, v9 :: v_dual_cndmask_b32 v2, v4, v8
	v_div_scale_f64 v[4:5], null, v[2:3], v[2:3], v[0:1]
	s_delay_alu instid0(VALU_DEP_1) | instskip(SKIP_1) | instid1(TRANS32_DEP_1)
	v_rcp_f64_e32 v[6:7], v[4:5]
	v_nop
	v_fma_f64 v[8:9], -v[4:5], v[6:7], 1.0
	s_delay_alu instid0(VALU_DEP_1) | instskip(NEXT) | instid1(VALU_DEP_1)
	v_fmac_f64_e32 v[6:7], v[6:7], v[8:9]
	v_fma_f64 v[8:9], -v[4:5], v[6:7], 1.0
	s_delay_alu instid0(VALU_DEP_1) | instskip(SKIP_1) | instid1(VALU_DEP_1)
	v_fmac_f64_e32 v[6:7], v[6:7], v[8:9]
	v_div_scale_f64 v[8:9], vcc_lo, v[0:1], v[2:3], v[0:1]
	v_mul_f64_e32 v[10:11], v[8:9], v[6:7]
	s_delay_alu instid0(VALU_DEP_1) | instskip(NEXT) | instid1(VALU_DEP_1)
	v_fma_f64 v[4:5], -v[4:5], v[10:11], v[8:9]
	v_div_fmas_f64 v[4:5], v[4:5], v[6:7], v[10:11]
	s_delay_alu instid0(VALU_DEP_1)
	v_div_fixup_f64 v[0:1], v[4:5], v[2:3], v[0:1]
.LBB8_927:
	s_or_b32 exec_lo, exec_lo, s0
	v_mul_lo_u32 v2, v14, s2
	s_and_b32 s13, s8, 0xff
	s_delay_alu instid0(SALU_CYCLE_1) | instskip(NEXT) | instid1(VALU_DEP_1)
	s_cmp_lt_i32 s13, 11
	v_ashrrev_i32_e32 v3, 31, v2
	s_delay_alu instid0(VALU_DEP_1)
	v_add_nc_u64_e32 v[4:5], s[4:5], v[2:3]
	s_cbranch_scc1 .LBB8_937
; %bb.928:
	s_and_b32 s15, 0xffff, s13
	s_mov_b32 s16, -1
	s_cmp_gt_i32 s15, 25
	s_mov_b32 s0, s11
	s_cbranch_scc0 .LBB8_965
; %bb.929:
	s_cmp_gt_i32 s15, 28
	s_mov_b32 s0, s11
	s_cbranch_scc0 .LBB8_949
; %bb.930:
	s_cmp_gt_i32 s15, 43
	s_mov_b32 s0, s11
	s_cbranch_scc0 .LBB8_945
; %bb.931:
	s_cmp_gt_i32 s15, 45
	s_mov_b32 s0, s11
	s_cbranch_scc0 .LBB8_939
; %bb.932:
	s_cmp_eq_u32 s15, 46
	s_mov_b32 s0, -1
	s_cbranch_scc0 .LBB8_938
; %bb.933:
	s_delay_alu instid0(VALU_DEP_4) | instskip(SKIP_2) | instid1(VALU_DEP_1)
	v_cvt_f32_f64_e32 v2, v[0:1]
	s_mov_b32 s0, 0
	s_mov_b32 s16, 0
	v_bfe_u32 v3, v2, 16, 1
	v_cmp_o_f32_e32 vcc_lo, v2, v2
	s_delay_alu instid0(VALU_DEP_2) | instskip(NEXT) | instid1(VALU_DEP_1)
	v_add3_u32 v3, v2, v3, 0x7fff
	v_lshrrev_b32_e32 v3, 16, v3
	s_delay_alu instid0(VALU_DEP_1)
	v_cndmask_b32_e32 v2, 0x7fc0, v3, vcc_lo
	global_store_b32 v[4:5], v2, off
	s_branch .LBB8_939
.LBB8_934:
	s_or_b32 exec_lo, exec_lo, s14
	s_and_saveexec_b32 s0, s11
	s_cbranch_execnz .LBB8_1007
.LBB8_935:
	s_or_b32 exec_lo, exec_lo, s0
	s_and_saveexec_b32 s0, s16
	s_delay_alu instid0(SALU_CYCLE_1)
	s_xor_b32 s0, exec_lo, s0
	s_cbranch_execz .LBB8_1008
.LBB8_936:
	s_delay_alu instid0(VALU_DEP_4)
	v_cmp_neq_f64_e32 vcc_lo, 0, v[0:1]
	s_wait_loadcnt 0x0
	v_cndmask_b32_e64 v2, 0, 1, vcc_lo
	global_store_b8 v[4:5], v2, off
	s_wait_xcnt 0x0
	s_or_b32 exec_lo, exec_lo, s0
	s_and_saveexec_b32 s0, s15
	s_delay_alu instid0(SALU_CYCLE_1)
	s_xor_b32 s0, exec_lo, s0
	s_cbranch_execz .LBB8_1046
	s_branch .LBB8_1009
.LBB8_937:
	s_mov_b32 s17, 0
	s_mov_b32 s16, -1
	s_mov_b32 s0, s11
	s_branch .LBB8_1006
.LBB8_938:
	s_mov_b32 s16, 0
.LBB8_939:
	s_delay_alu instid0(SALU_CYCLE_1)
	s_and_b32 vcc_lo, exec_lo, s16
	s_cbranch_vccz .LBB8_944
; %bb.940:
	s_cmp_eq_u32 s15, 44
	s_mov_b32 s0, -1
	s_cbranch_scc0 .LBB8_944
; %bb.941:
	s_wait_xcnt 0x0
	s_delay_alu instid0(VALU_DEP_4) | instskip(SKIP_2) | instid1(VALU_DEP_2)
	v_cvt_f32_f64_e32 v2, v[0:1]
	v_mov_b32_e32 v3, 0xff
	s_mov_b32 s16, exec_lo
	v_bfe_u32 v6, v2, 23, 8
	s_delay_alu instid0(VALU_DEP_1)
	v_cmpx_ne_u32_e32 0xff, v6
	s_cbranch_execz .LBB8_943
; %bb.942:
	v_and_b32_e32 v3, 0x400000, v2
	v_and_or_b32 v6, 0x3fffff, v2, v6
	v_lshrrev_b32_e32 v2, 23, v2
	s_delay_alu instid0(VALU_DEP_3) | instskip(NEXT) | instid1(VALU_DEP_3)
	v_cmp_ne_u32_e32 vcc_lo, 0, v3
	v_cmp_ne_u32_e64 s0, 0, v6
	s_and_b32 s0, vcc_lo, s0
	s_delay_alu instid0(SALU_CYCLE_1) | instskip(NEXT) | instid1(VALU_DEP_1)
	v_cndmask_b32_e64 v3, 0, 1, s0
	v_add_nc_u32_e32 v3, v2, v3
.LBB8_943:
	s_or_b32 exec_lo, exec_lo, s16
	s_mov_b32 s0, 0
	global_store_b8 v[4:5], v3, off
.LBB8_944:
	s_mov_b32 s16, 0
.LBB8_945:
	s_delay_alu instid0(SALU_CYCLE_1)
	s_and_b32 vcc_lo, exec_lo, s16
	s_cbranch_vccz .LBB8_948
; %bb.946:
	s_cmp_eq_u32 s15, 29
	s_mov_b32 s0, -1
	s_cbranch_scc0 .LBB8_948
; %bb.947:
	s_wait_xcnt 0x0
	s_delay_alu instid0(VALU_DEP_4) | instskip(SKIP_2) | instid1(VALU_DEP_1)
	v_trunc_f64_e32 v[2:3], v[0:1]
	s_mov_b32 s0, 0
	s_mov_b32 s16, 0
	v_ldexp_f64 v[6:7], v[2:3], 0xffffffe0
	s_delay_alu instid0(VALU_DEP_1) | instskip(NEXT) | instid1(VALU_DEP_1)
	v_floor_f64_e32 v[6:7], v[6:7]
	v_fmamk_f64 v[2:3], v[6:7], 0xc1f00000, v[2:3]
	v_cvt_u32_f64_e32 v7, v[6:7]
	s_delay_alu instid0(VALU_DEP_2)
	v_cvt_u32_f64_e32 v6, v[2:3]
	global_store_b64 v[4:5], v[6:7], off
	s_branch .LBB8_949
.LBB8_948:
	s_mov_b32 s16, 0
.LBB8_949:
	s_delay_alu instid0(SALU_CYCLE_1)
	s_and_b32 vcc_lo, exec_lo, s16
	s_cbranch_vccz .LBB8_964
; %bb.950:
	s_cmp_lt_i32 s15, 27
	s_mov_b32 s16, -1
	s_cbranch_scc1 .LBB8_956
; %bb.951:
	s_wait_xcnt 0x0
	s_delay_alu instid0(VALU_DEP_4)
	v_cvt_u32_f64_e32 v2, v[0:1]
	s_cmp_gt_i32 s15, 27
	s_cbranch_scc0 .LBB8_953
; %bb.952:
	s_mov_b32 s16, 0
	global_store_b32 v[4:5], v2, off
.LBB8_953:
	s_and_not1_b32 vcc_lo, exec_lo, s16
	s_cbranch_vccnz .LBB8_955
; %bb.954:
	global_store_b16 v[4:5], v2, off
.LBB8_955:
	s_mov_b32 s16, 0
.LBB8_956:
	s_delay_alu instid0(SALU_CYCLE_1)
	s_and_not1_b32 vcc_lo, exec_lo, s16
	s_cbranch_vccnz .LBB8_964
; %bb.957:
	s_wait_xcnt 0x0
	s_delay_alu instid0(VALU_DEP_4) | instskip(SKIP_2) | instid1(VALU_DEP_2)
	v_cvt_f32_f64_e32 v2, v[0:1]
	v_mov_b32_e32 v6, 0x80
	s_mov_b32 s16, exec_lo
	v_and_b32_e32 v3, 0x7fffffff, v2
	s_delay_alu instid0(VALU_DEP_1)
	v_cmpx_gt_u32_e32 0x43800000, v3
	s_cbranch_execz .LBB8_963
; %bb.958:
	v_cmp_lt_u32_e32 vcc_lo, 0x3bffffff, v3
	s_mov_b32 s17, 0
                                        ; implicit-def: $vgpr3
	s_and_saveexec_b32 s18, vcc_lo
	s_delay_alu instid0(SALU_CYCLE_1)
	s_xor_b32 s18, exec_lo, s18
	s_cbranch_execz .LBB8_1061
; %bb.959:
	v_bfe_u32 v3, v2, 20, 1
	s_mov_b32 s17, exec_lo
	s_delay_alu instid0(VALU_DEP_1) | instskip(NEXT) | instid1(VALU_DEP_1)
	v_add3_u32 v3, v2, v3, 0x487ffff
	v_lshrrev_b32_e32 v3, 20, v3
	s_and_not1_saveexec_b32 s18, s18
	s_cbranch_execnz .LBB8_1062
.LBB8_960:
	s_or_b32 exec_lo, exec_lo, s18
	v_mov_b32_e32 v6, 0
	s_and_saveexec_b32 s18, s17
.LBB8_961:
	v_lshrrev_b32_e32 v2, 24, v2
	s_delay_alu instid0(VALU_DEP_1)
	v_and_or_b32 v6, 0x80, v2, v3
.LBB8_962:
	s_or_b32 exec_lo, exec_lo, s18
.LBB8_963:
	s_delay_alu instid0(SALU_CYCLE_1)
	s_or_b32 exec_lo, exec_lo, s16
	global_store_b8 v[4:5], v6, off
.LBB8_964:
	s_mov_b32 s16, 0
.LBB8_965:
	s_delay_alu instid0(SALU_CYCLE_1)
	s_and_b32 vcc_lo, exec_lo, s16
	s_mov_b32 s16, 0
	s_cbranch_vccz .LBB8_1005
; %bb.966:
	s_cmp_gt_i32 s15, 22
	s_mov_b32 s17, -1
	s_cbranch_scc0 .LBB8_998
; %bb.967:
	s_cmp_lt_i32 s15, 24
	s_cbranch_scc1 .LBB8_987
; %bb.968:
	s_cmp_gt_i32 s15, 24
	s_cbranch_scc0 .LBB8_976
; %bb.969:
	s_wait_xcnt 0x0
	s_delay_alu instid0(VALU_DEP_4) | instskip(SKIP_2) | instid1(VALU_DEP_2)
	v_cvt_f32_f64_e32 v2, v[0:1]
	v_mov_b32_e32 v6, 0x80
	s_mov_b32 s17, exec_lo
	v_and_b32_e32 v3, 0x7fffffff, v2
	s_delay_alu instid0(VALU_DEP_1)
	v_cmpx_gt_u32_e32 0x47800000, v3
	s_cbranch_execz .LBB8_975
; %bb.970:
	v_cmp_lt_u32_e32 vcc_lo, 0x37ffffff, v3
	s_mov_b32 s18, 0
                                        ; implicit-def: $vgpr3
	s_and_saveexec_b32 s19, vcc_lo
	s_delay_alu instid0(SALU_CYCLE_1)
	s_xor_b32 s19, exec_lo, s19
	s_cbranch_execz .LBB8_1191
; %bb.971:
	v_bfe_u32 v3, v2, 21, 1
	s_mov_b32 s18, exec_lo
	s_delay_alu instid0(VALU_DEP_1) | instskip(NEXT) | instid1(VALU_DEP_1)
	v_add3_u32 v3, v2, v3, 0x88fffff
	v_lshrrev_b32_e32 v3, 21, v3
	s_and_not1_saveexec_b32 s19, s19
	s_cbranch_execnz .LBB8_1192
.LBB8_972:
	s_or_b32 exec_lo, exec_lo, s19
	v_mov_b32_e32 v6, 0
	s_and_saveexec_b32 s19, s18
.LBB8_973:
	v_lshrrev_b32_e32 v2, 24, v2
	s_delay_alu instid0(VALU_DEP_1)
	v_and_or_b32 v6, 0x80, v2, v3
.LBB8_974:
	s_or_b32 exec_lo, exec_lo, s19
.LBB8_975:
	s_delay_alu instid0(SALU_CYCLE_1)
	s_or_b32 exec_lo, exec_lo, s17
	s_mov_b32 s17, 0
	global_store_b8 v[4:5], v6, off
.LBB8_976:
	s_and_b32 vcc_lo, exec_lo, s17
	s_cbranch_vccz .LBB8_986
; %bb.977:
	s_wait_xcnt 0x0
	s_delay_alu instid0(VALU_DEP_4) | instskip(SKIP_1) | instid1(VALU_DEP_1)
	v_cvt_f32_f64_e32 v2, v[0:1]
	s_mov_b32 s17, exec_lo
                                        ; implicit-def: $vgpr3
	v_and_b32_e32 v6, 0x7fffffff, v2
	s_delay_alu instid0(VALU_DEP_1)
	v_cmpx_gt_u32_e32 0x43f00000, v6
	s_xor_b32 s17, exec_lo, s17
	s_cbranch_execz .LBB8_983
; %bb.978:
	s_mov_b32 s18, exec_lo
                                        ; implicit-def: $vgpr3
	v_cmpx_lt_u32_e32 0x3c7fffff, v6
	s_xor_b32 s18, exec_lo, s18
; %bb.979:
	v_bfe_u32 v3, v2, 20, 1
	s_delay_alu instid0(VALU_DEP_1) | instskip(NEXT) | instid1(VALU_DEP_1)
	v_add3_u32 v3, v2, v3, 0x407ffff
	v_and_b32_e32 v6, 0xff00000, v3
	v_lshrrev_b32_e32 v3, 20, v3
	s_delay_alu instid0(VALU_DEP_2) | instskip(NEXT) | instid1(VALU_DEP_2)
	v_cmp_ne_u32_e32 vcc_lo, 0x7f00000, v6
	v_cndmask_b32_e32 v3, 0x7e, v3, vcc_lo
; %bb.980:
	s_and_not1_saveexec_b32 s18, s18
; %bb.981:
	v_add_f32_e64 v3, 0x46800000, |v2|
; %bb.982:
	s_or_b32 exec_lo, exec_lo, s18
                                        ; implicit-def: $vgpr6
.LBB8_983:
	s_and_not1_saveexec_b32 s17, s17
; %bb.984:
	v_mov_b32_e32 v3, 0x7f
	v_cmp_lt_u32_e32 vcc_lo, 0x7f800000, v6
	s_delay_alu instid0(VALU_DEP_2)
	v_cndmask_b32_e32 v3, 0x7e, v3, vcc_lo
; %bb.985:
	s_or_b32 exec_lo, exec_lo, s17
	v_lshrrev_b32_e32 v2, 24, v2
	s_delay_alu instid0(VALU_DEP_1)
	v_and_or_b32 v2, 0x80, v2, v3
	global_store_b8 v[4:5], v2, off
.LBB8_986:
	s_mov_b32 s17, 0
.LBB8_987:
	s_delay_alu instid0(SALU_CYCLE_1)
	s_and_not1_b32 vcc_lo, exec_lo, s17
	s_cbranch_vccnz .LBB8_997
; %bb.988:
	s_wait_xcnt 0x0
	s_delay_alu instid0(VALU_DEP_4) | instskip(SKIP_1) | instid1(VALU_DEP_1)
	v_cvt_f32_f64_e32 v2, v[0:1]
	s_mov_b32 s17, exec_lo
                                        ; implicit-def: $vgpr3
	v_and_b32_e32 v6, 0x7fffffff, v2
	s_delay_alu instid0(VALU_DEP_1)
	v_cmpx_gt_u32_e32 0x47800000, v6
	s_xor_b32 s17, exec_lo, s17
	s_cbranch_execz .LBB8_994
; %bb.989:
	s_mov_b32 s18, exec_lo
                                        ; implicit-def: $vgpr3
	v_cmpx_lt_u32_e32 0x387fffff, v6
	s_xor_b32 s18, exec_lo, s18
; %bb.990:
	v_bfe_u32 v3, v2, 21, 1
	s_delay_alu instid0(VALU_DEP_1) | instskip(NEXT) | instid1(VALU_DEP_1)
	v_add3_u32 v3, v2, v3, 0x80fffff
	v_lshrrev_b32_e32 v3, 21, v3
; %bb.991:
	s_and_not1_saveexec_b32 s18, s18
; %bb.992:
	v_add_f32_e64 v3, 0x43000000, |v2|
; %bb.993:
	s_or_b32 exec_lo, exec_lo, s18
                                        ; implicit-def: $vgpr6
.LBB8_994:
	s_and_not1_saveexec_b32 s17, s17
; %bb.995:
	v_mov_b32_e32 v3, 0x7f
	v_cmp_lt_u32_e32 vcc_lo, 0x7f800000, v6
	s_delay_alu instid0(VALU_DEP_2)
	v_cndmask_b32_e32 v3, 0x7c, v3, vcc_lo
; %bb.996:
	s_or_b32 exec_lo, exec_lo, s17
	v_lshrrev_b32_e32 v2, 24, v2
	s_delay_alu instid0(VALU_DEP_1)
	v_and_or_b32 v2, 0x80, v2, v3
	global_store_b8 v[4:5], v2, off
.LBB8_997:
	s_mov_b32 s17, 0
.LBB8_998:
	s_delay_alu instid0(SALU_CYCLE_1)
	s_and_not1_b32 vcc_lo, exec_lo, s17
	s_mov_b32 s17, 0
	s_cbranch_vccnz .LBB8_1006
; %bb.999:
	s_cmp_gt_i32 s15, 14
	s_mov_b32 s17, -1
	s_cbranch_scc0 .LBB8_1003
; %bb.1000:
	s_cmp_eq_u32 s15, 15
	s_mov_b32 s0, -1
	s_cbranch_scc0 .LBB8_1002
; %bb.1001:
	s_wait_xcnt 0x0
	s_delay_alu instid0(VALU_DEP_4) | instskip(SKIP_1) | instid1(VALU_DEP_1)
	v_cvt_f32_f64_e32 v2, v[0:1]
	s_mov_b32 s0, 0
	v_bfe_u32 v3, v2, 16, 1
	v_cmp_o_f32_e32 vcc_lo, v2, v2
	s_delay_alu instid0(VALU_DEP_2) | instskip(NEXT) | instid1(VALU_DEP_1)
	v_add3_u32 v3, v2, v3, 0x7fff
	v_lshrrev_b32_e32 v3, 16, v3
	s_delay_alu instid0(VALU_DEP_1)
	v_cndmask_b32_e32 v2, 0x7fc0, v3, vcc_lo
	global_store_b16 v[4:5], v2, off
.LBB8_1002:
	s_mov_b32 s17, 0
.LBB8_1003:
	s_delay_alu instid0(SALU_CYCLE_1)
	s_and_b32 vcc_lo, exec_lo, s17
	s_mov_b32 s17, 0
	s_cbranch_vccz .LBB8_1006
; %bb.1004:
	s_cmp_lg_u32 s15, 11
	s_mov_b32 s17, -1
	s_cselect_b32 s15, -1, 0
	s_and_not1_b32 s0, s0, exec_lo
	s_and_b32 s15, s15, exec_lo
	s_delay_alu instid0(SALU_CYCLE_1)
	s_or_b32 s0, s0, s15
	s_branch .LBB8_1006
.LBB8_1005:
	s_mov_b32 s17, 0
.LBB8_1006:
	s_and_not1_b32 s11, s11, exec_lo
	s_and_b32 s0, s0, exec_lo
	s_and_b32 s15, s16, exec_lo
	;; [unrolled: 1-line block ×3, first 2 shown]
	s_or_b32 s11, s11, s0
	s_wait_xcnt 0x0
	s_or_b32 exec_lo, exec_lo, s14
	s_and_saveexec_b32 s0, s11
	s_cbranch_execz .LBB8_935
.LBB8_1007:
	s_or_b32 s12, s12, exec_lo
	s_and_not1_b32 s16, s16, exec_lo
	s_trap 2
	s_or_b32 exec_lo, exec_lo, s0
	s_and_saveexec_b32 s0, s16
	s_delay_alu instid0(SALU_CYCLE_1)
	s_xor_b32 s0, exec_lo, s0
	s_cbranch_execnz .LBB8_936
.LBB8_1008:
	s_or_b32 exec_lo, exec_lo, s0
	s_and_saveexec_b32 s0, s15
	s_delay_alu instid0(SALU_CYCLE_1)
	s_xor_b32 s0, exec_lo, s0
	s_cbranch_execz .LBB8_1046
.LBB8_1009:
	s_sext_i32_i16 s14, s13
	s_mov_b32 s11, -1
	s_cmp_lt_i32 s14, 5
	s_cbranch_scc1 .LBB8_1030
; %bb.1010:
	s_cmp_lt_i32 s14, 8
	s_cbranch_scc1 .LBB8_1020
; %bb.1011:
	s_cmp_lt_i32 s14, 9
	s_cbranch_scc1 .LBB8_1017
; %bb.1012:
	s_cmp_gt_i32 s14, 9
	s_cbranch_scc0 .LBB8_1014
; %bb.1013:
	s_wait_loadcnt 0x0
	v_mov_b32_e32 v2, 0
	s_mov_b32 s11, 0
	s_delay_alu instid0(VALU_DEP_1)
	v_mov_b32_e32 v3, v2
	global_store_b128 v[4:5], v[0:3], off
.LBB8_1014:
	s_and_not1_b32 vcc_lo, exec_lo, s11
	s_cbranch_vccnz .LBB8_1016
; %bb.1015:
	s_wait_loadcnt 0x0
	v_cvt_f32_f64_e32 v2, v[0:1]
	v_mov_b32_e32 v3, 0
	global_store_b64 v[4:5], v[2:3], off
.LBB8_1016:
	s_mov_b32 s11, 0
.LBB8_1017:
	s_delay_alu instid0(SALU_CYCLE_1)
	s_and_not1_b32 vcc_lo, exec_lo, s11
	s_cbranch_vccnz .LBB8_1019
; %bb.1018:
	s_wait_loadcnt 0x0
	v_and_or_b32 v2, 0x1ff, v1, v0
	v_lshrrev_b32_e32 v3, 8, v1
	v_bfe_u32 v6, v1, 20, 11
	s_delay_alu instid0(VALU_DEP_3) | instskip(NEXT) | instid1(VALU_DEP_2)
	v_cmp_ne_u32_e32 vcc_lo, 0, v2
	v_sub_nc_u32_e32 v7, 0x3f1, v6
	v_cndmask_b32_e64 v2, 0, 1, vcc_lo
	s_delay_alu instid0(VALU_DEP_1) | instskip(NEXT) | instid1(VALU_DEP_3)
	v_and_or_b32 v2, 0xffe, v3, v2
	v_med3_i32 v3, v7, 0, 13
	s_delay_alu instid0(VALU_DEP_2) | instskip(NEXT) | instid1(VALU_DEP_1)
	v_or_b32_e32 v7, 0x1000, v2
	v_lshrrev_b32_e32 v8, v3, v7
	s_delay_alu instid0(VALU_DEP_1) | instskip(NEXT) | instid1(VALU_DEP_1)
	v_lshlrev_b32_e32 v3, v3, v8
	v_cmp_ne_u32_e32 vcc_lo, v3, v7
	v_cndmask_b32_e64 v3, 0, 1, vcc_lo
	s_delay_alu instid0(VALU_DEP_1) | instskip(SKIP_1) | instid1(VALU_DEP_1)
	v_or_b32_e32 v3, v8, v3
	v_add_nc_u32_e32 v6, 0xfffffc10, v6
	v_lshl_or_b32 v7, v6, 12, v2
	v_cmp_gt_i32_e32 vcc_lo, 1, v6
	s_delay_alu instid0(VALU_DEP_2) | instskip(NEXT) | instid1(VALU_DEP_1)
	v_cndmask_b32_e32 v3, v7, v3, vcc_lo
	v_dual_lshrrev_b32 v3, 2, v3 :: v_dual_bitop2_b32 v7, 7, v3 bitop3:0x40
	s_delay_alu instid0(VALU_DEP_1) | instskip(SKIP_4) | instid1(VALU_DEP_2)
	v_cmp_lt_i32_e32 vcc_lo, 5, v7
	v_cndmask_b32_e64 v8, 0, 1, vcc_lo
	v_cmp_eq_u32_e32 vcc_lo, 3, v7
	v_cndmask_b32_e64 v7, 0, 1, vcc_lo
	v_cmp_ne_u32_e32 vcc_lo, 0, v2
	v_or_b32_e32 v7, v7, v8
	s_delay_alu instid0(VALU_DEP_1) | instskip(NEXT) | instid1(VALU_DEP_1)
	v_dual_mov_b32 v8, 0x7e00 :: v_dual_add_nc_u32 v3, v3, v7
	v_cndmask_b32_e32 v2, 0x7c00, v8, vcc_lo
	v_cmp_gt_i32_e32 vcc_lo, 31, v6
	v_lshrrev_b32_e32 v7, 16, v1
	s_delay_alu instid0(VALU_DEP_4) | instskip(SKIP_1) | instid1(VALU_DEP_2)
	v_cndmask_b32_e32 v3, 0x7c00, v3, vcc_lo
	v_cmp_eq_u32_e32 vcc_lo, 0x40f, v6
	v_cndmask_b32_e32 v2, v3, v2, vcc_lo
	s_delay_alu instid0(VALU_DEP_4) | instskip(NEXT) | instid1(VALU_DEP_1)
	v_and_b32_e32 v3, 0x8000, v7
	v_bitop3_b32 v2, v3, 0xffff, v2 bitop3:0xc8
	global_store_b32 v[4:5], v2, off
.LBB8_1019:
	s_mov_b32 s11, 0
.LBB8_1020:
	s_delay_alu instid0(SALU_CYCLE_1)
	s_and_not1_b32 vcc_lo, exec_lo, s11
	s_cbranch_vccnz .LBB8_1029
; %bb.1021:
	s_sext_i32_i16 s14, s13
	s_mov_b32 s11, -1
	s_cmp_lt_i32 s14, 6
	s_cbranch_scc1 .LBB8_1027
; %bb.1022:
	s_cmp_gt_i32 s14, 6
	s_cbranch_scc0 .LBB8_1024
; %bb.1023:
	s_mov_b32 s11, 0
	global_store_b64 v[4:5], v[0:1], off
.LBB8_1024:
	s_and_not1_b32 vcc_lo, exec_lo, s11
	s_cbranch_vccnz .LBB8_1026
; %bb.1025:
	s_wait_loadcnt 0x0
	v_cvt_f32_f64_e32 v2, v[0:1]
	global_store_b32 v[4:5], v2, off
.LBB8_1026:
	s_mov_b32 s11, 0
.LBB8_1027:
	s_delay_alu instid0(SALU_CYCLE_1)
	s_and_not1_b32 vcc_lo, exec_lo, s11
	s_cbranch_vccnz .LBB8_1029
; %bb.1028:
	s_wait_loadcnt 0x0
	v_and_or_b32 v2, 0x1ff, v1, v0
	v_lshrrev_b32_e32 v3, 8, v1
	v_bfe_u32 v6, v1, 20, 11
	s_delay_alu instid0(VALU_DEP_3) | instskip(NEXT) | instid1(VALU_DEP_2)
	v_cmp_ne_u32_e32 vcc_lo, 0, v2
	v_sub_nc_u32_e32 v7, 0x3f1, v6
	v_cndmask_b32_e64 v2, 0, 1, vcc_lo
	s_delay_alu instid0(VALU_DEP_1) | instskip(NEXT) | instid1(VALU_DEP_3)
	v_and_or_b32 v2, 0xffe, v3, v2
	v_med3_i32 v3, v7, 0, 13
	s_delay_alu instid0(VALU_DEP_2) | instskip(NEXT) | instid1(VALU_DEP_1)
	v_or_b32_e32 v7, 0x1000, v2
	v_lshrrev_b32_e32 v8, v3, v7
	s_delay_alu instid0(VALU_DEP_1) | instskip(NEXT) | instid1(VALU_DEP_1)
	v_lshlrev_b32_e32 v3, v3, v8
	v_cmp_ne_u32_e32 vcc_lo, v3, v7
	v_cndmask_b32_e64 v3, 0, 1, vcc_lo
	s_delay_alu instid0(VALU_DEP_1) | instskip(SKIP_1) | instid1(VALU_DEP_1)
	v_or_b32_e32 v3, v8, v3
	v_add_nc_u32_e32 v6, 0xfffffc10, v6
	v_lshl_or_b32 v7, v6, 12, v2
	v_cmp_gt_i32_e32 vcc_lo, 1, v6
	s_delay_alu instid0(VALU_DEP_2) | instskip(NEXT) | instid1(VALU_DEP_1)
	v_cndmask_b32_e32 v3, v7, v3, vcc_lo
	v_dual_lshrrev_b32 v3, 2, v3 :: v_dual_bitop2_b32 v7, 7, v3 bitop3:0x40
	s_delay_alu instid0(VALU_DEP_1) | instskip(SKIP_4) | instid1(VALU_DEP_2)
	v_cmp_lt_i32_e32 vcc_lo, 5, v7
	v_cndmask_b32_e64 v8, 0, 1, vcc_lo
	v_cmp_eq_u32_e32 vcc_lo, 3, v7
	v_cndmask_b32_e64 v7, 0, 1, vcc_lo
	v_cmp_ne_u32_e32 vcc_lo, 0, v2
	v_or_b32_e32 v7, v7, v8
	s_delay_alu instid0(VALU_DEP_1) | instskip(NEXT) | instid1(VALU_DEP_1)
	v_dual_mov_b32 v8, 0x7e00 :: v_dual_add_nc_u32 v3, v3, v7
	v_cndmask_b32_e32 v2, 0x7c00, v8, vcc_lo
	v_cmp_gt_i32_e32 vcc_lo, 31, v6
	s_delay_alu instid0(VALU_DEP_3) | instskip(SKIP_1) | instid1(VALU_DEP_2)
	v_cndmask_b32_e32 v3, 0x7c00, v3, vcc_lo
	v_cmp_eq_u32_e32 vcc_lo, 0x40f, v6
	v_dual_cndmask_b32 v2, v3, v2 :: v_dual_lshrrev_b32 v3, 16, v1
	s_delay_alu instid0(VALU_DEP_1)
	v_and_or_b32 v2, 0x8000, v3, v2
	global_store_b16 v[4:5], v2, off
.LBB8_1029:
	s_mov_b32 s11, 0
.LBB8_1030:
	s_delay_alu instid0(SALU_CYCLE_1)
	s_and_not1_b32 vcc_lo, exec_lo, s11
	s_cbranch_vccnz .LBB8_1046
; %bb.1031:
	s_sext_i32_i16 s14, s13
	s_mov_b32 s11, -1
	s_cmp_lt_i32 s14, 2
	s_cbranch_scc1 .LBB8_1041
; %bb.1032:
	s_cmp_lt_i32 s14, 3
	s_cbranch_scc1 .LBB8_1038
; %bb.1033:
	s_cmp_gt_i32 s14, 3
	s_cbranch_scc0 .LBB8_1035
; %bb.1034:
	s_wait_loadcnt 0x0
	v_trunc_f64_e32 v[2:3], v[0:1]
	s_mov_b32 s11, 0
	s_delay_alu instid0(VALU_DEP_1) | instskip(NEXT) | instid1(VALU_DEP_1)
	v_ldexp_f64 v[6:7], v[2:3], 0xffffffe0
	v_floor_f64_e32 v[6:7], v[6:7]
	s_delay_alu instid0(VALU_DEP_1) | instskip(SKIP_1) | instid1(VALU_DEP_2)
	v_fmamk_f64 v[2:3], v[6:7], 0xc1f00000, v[2:3]
	v_cvt_i32_f64_e32 v7, v[6:7]
	v_cvt_u32_f64_e32 v6, v[2:3]
	global_store_b64 v[4:5], v[6:7], off
.LBB8_1035:
	s_and_not1_b32 vcc_lo, exec_lo, s11
	s_cbranch_vccnz .LBB8_1037
; %bb.1036:
	s_wait_loadcnt 0x0
	v_cvt_i32_f64_e32 v2, v[0:1]
	global_store_b32 v[4:5], v2, off
.LBB8_1037:
	s_mov_b32 s11, 0
.LBB8_1038:
	s_delay_alu instid0(SALU_CYCLE_1)
	s_and_not1_b32 vcc_lo, exec_lo, s11
	s_cbranch_vccnz .LBB8_1040
; %bb.1039:
	s_wait_loadcnt 0x0
	v_cvt_i32_f64_e32 v2, v[0:1]
	global_store_b16 v[4:5], v2, off
.LBB8_1040:
	s_mov_b32 s11, 0
.LBB8_1041:
	s_delay_alu instid0(SALU_CYCLE_1)
	s_and_not1_b32 vcc_lo, exec_lo, s11
	s_cbranch_vccnz .LBB8_1046
; %bb.1042:
	s_sext_i32_i16 s11, s13
	s_delay_alu instid0(SALU_CYCLE_1)
	s_cmp_gt_i32 s11, 0
	s_mov_b32 s11, -1
	s_cbranch_scc0 .LBB8_1044
; %bb.1043:
	s_wait_loadcnt 0x0
	v_cvt_i32_f64_e32 v2, v[0:1]
	s_mov_b32 s11, 0
	global_store_b8 v[4:5], v2, off
.LBB8_1044:
	s_and_not1_b32 vcc_lo, exec_lo, s11
	s_cbranch_vccnz .LBB8_1046
; %bb.1045:
	s_wait_xcnt 0x0
	v_trunc_f64_e32 v[0:1], v[0:1]
	s_wait_loadcnt 0x0
	s_delay_alu instid0(VALU_DEP_1) | instskip(NEXT) | instid1(VALU_DEP_1)
	v_ldexp_f64 v[2:3], v[0:1], 0xffffffe0
	v_floor_f64_e32 v[2:3], v[2:3]
	s_delay_alu instid0(VALU_DEP_1) | instskip(NEXT) | instid1(VALU_DEP_1)
	v_fmamk_f64 v[0:1], v[2:3], 0xc1f00000, v[0:1]
	v_cvt_u32_f64_e32 v0, v[0:1]
	global_store_b8 v[4:5], v0, off
.LBB8_1046:
	s_wait_xcnt 0x0
	s_or_b32 exec_lo, exec_lo, s0
	s_delay_alu instid0(SALU_CYCLE_1)
	s_and_b32 s11, s12, exec_lo
                                        ; implicit-def: $vgpr14
.LBB8_1047:
	s_or_saveexec_b32 s10, s10
	s_mov_b32 s0, 0
                                        ; implicit-def: $sgpr12
                                        ; implicit-def: $vgpr0_vgpr1
                                        ; implicit-def: $vgpr12_vgpr13
	s_xor_b32 exec_lo, exec_lo, s10
	s_cbranch_execz .LBB8_1660
; %bb.1048:
	s_wait_loadcnt 0x0
	v_mul_lo_u32 v2, s3, v14
	s_and_b32 s0, 0xffff, s9
	s_delay_alu instid0(SALU_CYCLE_1) | instskip(NEXT) | instid1(VALU_DEP_1)
	s_cmp_lt_i32 s0, 11
	v_ashrrev_i32_e32 v3, 31, v2
	s_delay_alu instid0(VALU_DEP_1)
	v_add_nc_u64_e32 v[0:1], s[6:7], v[2:3]
	s_cbranch_scc1 .LBB8_1055
; %bb.1049:
	s_cmp_gt_i32 s0, 25
	s_mov_b32 s9, 0
	s_cbranch_scc0 .LBB8_1057
; %bb.1050:
	s_cmp_gt_i32 s0, 28
	s_cbranch_scc0 .LBB8_1058
; %bb.1051:
	s_cmp_gt_i32 s0, 43
	;; [unrolled: 3-line block ×3, first 2 shown]
	s_cbranch_scc0 .LBB8_1060
; %bb.1053:
	s_cmp_eq_u32 s0, 46
	s_mov_b32 s13, 0
	s_cbranch_scc0 .LBB8_1063
; %bb.1054:
	global_load_b32 v3, v[0:1], off
	s_mov_b32 s12, -1
	s_wait_loadcnt 0x0
	v_lshlrev_b32_e32 v3, 16, v3
	s_delay_alu instid0(VALU_DEP_1)
	v_cvt_f64_f32_e32 v[4:5], v3
	s_branch .LBB8_1065
.LBB8_1055:
	s_mov_b32 s12, 0
	s_mov_b32 s1, s11
                                        ; implicit-def: $vgpr4_vgpr5
	s_cbranch_execnz .LBB8_1128
.LBB8_1056:
	s_and_not1_b32 vcc_lo, exec_lo, s12
	s_cbranch_vccz .LBB8_1173
	s_branch .LBB8_1658
.LBB8_1057:
	s_mov_b32 s12, 0
                                        ; implicit-def: $vgpr4_vgpr5
	s_cbranch_execnz .LBB8_1093
	s_branch .LBB8_1124
.LBB8_1058:
	s_mov_b32 s13, -1
	s_mov_b32 s12, 0
                                        ; implicit-def: $vgpr4_vgpr5
	s_branch .LBB8_1074
.LBB8_1059:
	s_mov_b32 s12, 0
                                        ; implicit-def: $vgpr4_vgpr5
	s_cbranch_execnz .LBB8_1070
	s_branch .LBB8_1073
.LBB8_1060:
	s_mov_b32 s13, -1
	s_branch .LBB8_1064
.LBB8_1061:
	s_and_not1_saveexec_b32 s18, s18
	s_cbranch_execz .LBB8_960
.LBB8_1062:
	v_add_f32_e64 v3, 0x46000000, |v2|
	s_and_not1_b32 s17, s17, exec_lo
	s_delay_alu instid0(VALU_DEP_1) | instskip(NEXT) | instid1(VALU_DEP_1)
	v_and_b32_e32 v3, 0xff, v3
	v_cmp_ne_u32_e32 vcc_lo, 0, v3
	s_and_b32 s19, vcc_lo, exec_lo
	s_delay_alu instid0(SALU_CYCLE_1)
	s_or_b32 s17, s17, s19
	s_or_b32 exec_lo, exec_lo, s18
	v_mov_b32_e32 v6, 0
	s_and_saveexec_b32 s18, s17
	s_cbranch_execnz .LBB8_961
	s_branch .LBB8_962
.LBB8_1063:
	s_mov_b32 s1, -1
.LBB8_1064:
	s_mov_b32 s12, 0
                                        ; implicit-def: $vgpr4_vgpr5
.LBB8_1065:
	s_and_b32 vcc_lo, exec_lo, s13
	s_cbranch_vccz .LBB8_1068
; %bb.1066:
	s_cmp_eq_u32 s0, 44
	s_cbranch_scc0 .LBB8_1069
; %bb.1067:
	global_load_u8 v3, v[0:1], off
	s_mov_b32 s1, 0
	s_mov_b32 s12, -1
	s_wait_loadcnt 0x0
	v_cmp_ne_u32_e32 vcc_lo, 0xff, v3
	v_lshlrev_b32_e32 v4, 23, v3
	s_delay_alu instid0(VALU_DEP_1) | instskip(NEXT) | instid1(VALU_DEP_1)
	v_cvt_f64_f32_e32 v[4:5], v4
	v_cndmask_b32_e32 v4, 0x20000000, v4, vcc_lo
	s_delay_alu instid0(VALU_DEP_2) | instskip(SKIP_1) | instid1(VALU_DEP_2)
	v_cndmask_b32_e32 v5, 0x7ff80000, v5, vcc_lo
	v_cmp_ne_u32_e32 vcc_lo, 0, v3
	v_cndmask_b32_e32 v5, 0x38000000, v5, vcc_lo
	s_delay_alu instid0(VALU_DEP_4)
	v_cndmask_b32_e32 v4, 0, v4, vcc_lo
.LBB8_1068:
	s_branch .LBB8_1073
.LBB8_1069:
	s_mov_b32 s1, -1
                                        ; implicit-def: $vgpr4_vgpr5
	s_branch .LBB8_1073
.LBB8_1070:
	s_cmp_eq_u32 s0, 29
	s_cbranch_scc0 .LBB8_1072
; %bb.1071:
	global_load_b64 v[4:5], v[0:1], off
	s_mov_b32 s1, 0
	s_mov_b32 s12, -1
	s_mov_b32 s13, 0
	s_wait_loadcnt 0x0
	v_cvt_f64_u32_e32 v[6:7], v5
	v_cvt_f64_u32_e32 v[4:5], v4
	s_delay_alu instid0(VALU_DEP_2) | instskip(NEXT) | instid1(VALU_DEP_1)
	v_ldexp_f64 v[6:7], v[6:7], 32
	v_add_f64_e32 v[4:5], v[6:7], v[4:5]
	s_branch .LBB8_1074
.LBB8_1072:
	s_mov_b32 s1, -1
                                        ; implicit-def: $vgpr4_vgpr5
.LBB8_1073:
	s_mov_b32 s13, 0
.LBB8_1074:
	s_delay_alu instid0(SALU_CYCLE_1)
	s_and_b32 vcc_lo, exec_lo, s13
	s_cbranch_vccz .LBB8_1092
; %bb.1075:
	s_cmp_lt_i32 s0, 27
	s_cbranch_scc1 .LBB8_1078
; %bb.1076:
	s_cmp_gt_i32 s0, 27
	s_cbranch_scc0 .LBB8_1079
; %bb.1077:
	global_load_b32 v3, v[0:1], off
	s_mov_b32 s12, 0
	s_wait_loadcnt 0x0
	v_cvt_f64_u32_e32 v[4:5], v3
	s_branch .LBB8_1080
.LBB8_1078:
	s_mov_b32 s12, -1
                                        ; implicit-def: $vgpr4_vgpr5
	s_branch .LBB8_1083
.LBB8_1079:
	s_mov_b32 s12, -1
                                        ; implicit-def: $vgpr4_vgpr5
.LBB8_1080:
	s_delay_alu instid0(SALU_CYCLE_1)
	s_and_not1_b32 vcc_lo, exec_lo, s12
	s_cbranch_vccnz .LBB8_1082
; %bb.1081:
	global_load_u16 v3, v[0:1], off
	s_wait_loadcnt 0x0
	v_cvt_f64_u32_e32 v[4:5], v3
.LBB8_1082:
	s_mov_b32 s12, 0
.LBB8_1083:
	s_delay_alu instid0(SALU_CYCLE_1)
	s_and_not1_b32 vcc_lo, exec_lo, s12
	s_cbranch_vccnz .LBB8_1091
; %bb.1084:
	global_load_u8 v3, v[0:1], off
	s_mov_b32 s12, 0
	s_mov_b32 s13, exec_lo
	s_wait_loadcnt 0x0
	v_cmpx_lt_i16_e32 0x7f, v3
	s_xor_b32 s13, exec_lo, s13
	s_cbranch_execz .LBB8_1104
; %bb.1085:
	s_mov_b32 s12, -1
	s_mov_b32 s14, exec_lo
	v_cmpx_eq_u16_e32 0x80, v3
; %bb.1086:
	s_xor_b32 s12, exec_lo, -1
; %bb.1087:
	s_or_b32 exec_lo, exec_lo, s14
	s_delay_alu instid0(SALU_CYCLE_1)
	s_and_b32 s12, s12, exec_lo
	s_or_saveexec_b32 s13, s13
	v_mov_b64_e32 v[4:5], 0x7ff8000020000000
	s_xor_b32 exec_lo, exec_lo, s13
	s_cbranch_execnz .LBB8_1105
.LBB8_1088:
	s_or_b32 exec_lo, exec_lo, s13
	s_and_saveexec_b32 s13, s12
	s_cbranch_execz .LBB8_1090
.LBB8_1089:
	v_and_b32_e32 v4, 0xffff, v3
	s_delay_alu instid0(VALU_DEP_1) | instskip(SKIP_1) | instid1(VALU_DEP_2)
	v_and_b32_e32 v5, 7, v4
	v_bfe_u32 v8, v4, 3, 4
	v_clz_i32_u32_e32 v6, v5
	s_delay_alu instid0(VALU_DEP_2) | instskip(NEXT) | instid1(VALU_DEP_2)
	v_cmp_eq_u32_e32 vcc_lo, 0, v8
	v_min_u32_e32 v6, 32, v6
	s_delay_alu instid0(VALU_DEP_1) | instskip(NEXT) | instid1(VALU_DEP_1)
	v_subrev_nc_u32_e32 v7, 28, v6
	v_dual_lshlrev_b32 v4, v7, v4 :: v_dual_sub_nc_u32 v6, 29, v6
	s_delay_alu instid0(VALU_DEP_1) | instskip(NEXT) | instid1(VALU_DEP_1)
	v_dual_lshlrev_b32 v3, 24, v3 :: v_dual_bitop2_b32 v4, 7, v4 bitop3:0x40
	v_dual_cndmask_b32 v6, v8, v6, vcc_lo :: v_dual_cndmask_b32 v4, v5, v4, vcc_lo
	s_delay_alu instid0(VALU_DEP_2) | instskip(NEXT) | instid1(VALU_DEP_2)
	v_and_b32_e32 v3, 0x80000000, v3
	v_lshl_add_u32 v5, v6, 23, 0x3b800000
	s_delay_alu instid0(VALU_DEP_3) | instskip(NEXT) | instid1(VALU_DEP_1)
	v_lshlrev_b32_e32 v4, 20, v4
	v_or3_b32 v3, v3, v5, v4
	s_delay_alu instid0(VALU_DEP_1)
	v_cvt_f64_f32_e32 v[4:5], v3
.LBB8_1090:
	s_or_b32 exec_lo, exec_lo, s13
.LBB8_1091:
	s_mov_b32 s12, -1
.LBB8_1092:
	s_branch .LBB8_1124
.LBB8_1093:
	s_cmp_gt_i32 s0, 22
	s_cbranch_scc0 .LBB8_1103
; %bb.1094:
	s_cmp_lt_i32 s0, 24
	s_cbranch_scc1 .LBB8_1106
; %bb.1095:
	s_cmp_gt_i32 s0, 24
	s_cbranch_scc0 .LBB8_1107
; %bb.1096:
	global_load_u8 v3, v[0:1], off
	s_mov_b32 s12, exec_lo
	s_wait_loadcnt 0x0
	v_cmpx_lt_i16_e32 0x7f, v3
	s_xor_b32 s12, exec_lo, s12
	s_cbranch_execz .LBB8_1118
; %bb.1097:
	s_mov_b32 s9, -1
	s_mov_b32 s13, exec_lo
	v_cmpx_eq_u16_e32 0x80, v3
; %bb.1098:
	s_xor_b32 s9, exec_lo, -1
; %bb.1099:
	s_or_b32 exec_lo, exec_lo, s13
	s_delay_alu instid0(SALU_CYCLE_1)
	s_and_b32 s9, s9, exec_lo
	s_or_saveexec_b32 s12, s12
	v_mov_b64_e32 v[4:5], 0x7ff8000020000000
	s_xor_b32 exec_lo, exec_lo, s12
	s_cbranch_execnz .LBB8_1119
.LBB8_1100:
	s_or_b32 exec_lo, exec_lo, s12
	s_and_saveexec_b32 s12, s9
	s_cbranch_execz .LBB8_1102
.LBB8_1101:
	v_and_b32_e32 v4, 0xffff, v3
	s_delay_alu instid0(VALU_DEP_1) | instskip(SKIP_1) | instid1(VALU_DEP_2)
	v_and_b32_e32 v5, 3, v4
	v_bfe_u32 v8, v4, 2, 5
	v_clz_i32_u32_e32 v6, v5
	s_delay_alu instid0(VALU_DEP_2) | instskip(NEXT) | instid1(VALU_DEP_2)
	v_cmp_eq_u32_e32 vcc_lo, 0, v8
	v_min_u32_e32 v6, 32, v6
	s_delay_alu instid0(VALU_DEP_1) | instskip(NEXT) | instid1(VALU_DEP_1)
	v_subrev_nc_u32_e32 v7, 29, v6
	v_dual_lshlrev_b32 v4, v7, v4 :: v_dual_sub_nc_u32 v6, 30, v6
	s_delay_alu instid0(VALU_DEP_1) | instskip(NEXT) | instid1(VALU_DEP_1)
	v_dual_lshlrev_b32 v3, 24, v3 :: v_dual_bitop2_b32 v4, 3, v4 bitop3:0x40
	v_dual_cndmask_b32 v6, v8, v6, vcc_lo :: v_dual_cndmask_b32 v4, v5, v4, vcc_lo
	s_delay_alu instid0(VALU_DEP_2) | instskip(NEXT) | instid1(VALU_DEP_2)
	v_and_b32_e32 v3, 0x80000000, v3
	v_lshl_add_u32 v5, v6, 23, 0x37800000
	s_delay_alu instid0(VALU_DEP_3) | instskip(NEXT) | instid1(VALU_DEP_1)
	v_lshlrev_b32_e32 v4, 21, v4
	v_or3_b32 v3, v3, v5, v4
	s_delay_alu instid0(VALU_DEP_1)
	v_cvt_f64_f32_e32 v[4:5], v3
.LBB8_1102:
	s_or_b32 exec_lo, exec_lo, s12
	s_mov_b32 s9, 0
	s_branch .LBB8_1108
.LBB8_1103:
                                        ; implicit-def: $vgpr4_vgpr5
	s_mov_b32 s9, 0
	s_branch .LBB8_1114
.LBB8_1104:
	s_or_saveexec_b32 s13, s13
	v_mov_b64_e32 v[4:5], 0x7ff8000020000000
	s_xor_b32 exec_lo, exec_lo, s13
	s_cbranch_execz .LBB8_1088
.LBB8_1105:
	v_cmp_ne_u16_e32 vcc_lo, 0, v3
	v_mov_b64_e32 v[4:5], 0
	s_and_not1_b32 s12, s12, exec_lo
	s_and_b32 s14, vcc_lo, exec_lo
	s_delay_alu instid0(SALU_CYCLE_1)
	s_or_b32 s12, s12, s14
	s_or_b32 exec_lo, exec_lo, s13
	s_and_saveexec_b32 s13, s12
	s_cbranch_execnz .LBB8_1089
	s_branch .LBB8_1090
.LBB8_1106:
	s_mov_b32 s9, -1
                                        ; implicit-def: $vgpr4_vgpr5
	s_branch .LBB8_1111
.LBB8_1107:
	s_mov_b32 s9, -1
                                        ; implicit-def: $vgpr4_vgpr5
.LBB8_1108:
	s_delay_alu instid0(SALU_CYCLE_1)
	s_and_b32 vcc_lo, exec_lo, s9
	s_cbranch_vccz .LBB8_1110
; %bb.1109:
	global_load_u8 v3, v[0:1], off
	s_wait_loadcnt 0x0
	v_lshlrev_b32_e32 v3, 24, v3
	s_delay_alu instid0(VALU_DEP_1) | instskip(NEXT) | instid1(VALU_DEP_1)
	v_and_b32_e32 v4, 0x7f000000, v3
	v_clz_i32_u32_e32 v5, v4
	v_cmp_ne_u32_e32 vcc_lo, 0, v4
	v_add_nc_u32_e32 v7, 0x1000000, v4
	s_delay_alu instid0(VALU_DEP_3) | instskip(NEXT) | instid1(VALU_DEP_1)
	v_min_u32_e32 v5, 32, v5
	v_sub_nc_u32_e64 v5, v5, 4 clamp
	s_delay_alu instid0(VALU_DEP_1) | instskip(NEXT) | instid1(VALU_DEP_1)
	v_dual_lshlrev_b32 v6, v5, v4 :: v_dual_lshlrev_b32 v5, 23, v5
	v_lshrrev_b32_e32 v6, 4, v6
	s_delay_alu instid0(VALU_DEP_1) | instskip(NEXT) | instid1(VALU_DEP_1)
	v_dual_sub_nc_u32 v5, v6, v5 :: v_dual_ashrrev_i32 v6, 8, v7
	v_add_nc_u32_e32 v5, 0x3c000000, v5
	s_delay_alu instid0(VALU_DEP_1) | instskip(NEXT) | instid1(VALU_DEP_1)
	v_and_or_b32 v5, 0x7f800000, v6, v5
	v_cndmask_b32_e32 v4, 0, v5, vcc_lo
	s_delay_alu instid0(VALU_DEP_1) | instskip(NEXT) | instid1(VALU_DEP_1)
	v_and_or_b32 v3, 0x80000000, v3, v4
	v_cvt_f64_f32_e32 v[4:5], v3
.LBB8_1110:
	s_mov_b32 s9, 0
.LBB8_1111:
	s_delay_alu instid0(SALU_CYCLE_1)
	s_and_not1_b32 vcc_lo, exec_lo, s9
	s_cbranch_vccnz .LBB8_1113
; %bb.1112:
	global_load_u8 v3, v[0:1], off
	s_wait_loadcnt 0x0
	v_lshlrev_b32_e32 v4, 25, v3
	v_lshlrev_b16 v3, 8, v3
	s_delay_alu instid0(VALU_DEP_1) | instskip(SKIP_1) | instid1(VALU_DEP_2)
	v_and_or_b32 v6, 0x7f00, v3, 0.5
	v_bfe_i32 v3, v3, 0, 16
	v_dual_add_f32 v6, -0.5, v6 :: v_dual_lshrrev_b32 v5, 4, v4
	v_cmp_gt_u32_e32 vcc_lo, 0x8000000, v4
	s_delay_alu instid0(VALU_DEP_2) | instskip(NEXT) | instid1(VALU_DEP_1)
	v_or_b32_e32 v5, 0x70000000, v5
	v_mul_f32_e32 v5, 0x7800000, v5
	s_delay_alu instid0(VALU_DEP_1) | instskip(NEXT) | instid1(VALU_DEP_1)
	v_cndmask_b32_e32 v4, v5, v6, vcc_lo
	v_and_or_b32 v3, 0x80000000, v3, v4
	s_delay_alu instid0(VALU_DEP_1)
	v_cvt_f64_f32_e32 v[4:5], v3
.LBB8_1113:
	s_mov_b32 s12, -1
	s_mov_b32 s9, 0
	s_cbranch_execnz .LBB8_1124
.LBB8_1114:
	s_cmp_gt_i32 s0, 14
	s_cbranch_scc0 .LBB8_1117
; %bb.1115:
	s_cmp_eq_u32 s0, 15
	s_cbranch_scc0 .LBB8_1120
; %bb.1116:
	global_load_u16 v3, v[0:1], off
	s_mov_b32 s1, 0
	s_mov_b32 s12, -1
	s_wait_loadcnt 0x0
	v_lshlrev_b32_e32 v3, 16, v3
	s_delay_alu instid0(VALU_DEP_1)
	v_cvt_f64_f32_e32 v[4:5], v3
	s_branch .LBB8_1122
.LBB8_1117:
	s_mov_b32 s9, -1
	s_branch .LBB8_1121
.LBB8_1118:
	s_or_saveexec_b32 s12, s12
	v_mov_b64_e32 v[4:5], 0x7ff8000020000000
	s_xor_b32 exec_lo, exec_lo, s12
	s_cbranch_execz .LBB8_1100
.LBB8_1119:
	v_cmp_ne_u16_e32 vcc_lo, 0, v3
	v_mov_b64_e32 v[4:5], 0
	s_and_not1_b32 s9, s9, exec_lo
	s_and_b32 s13, vcc_lo, exec_lo
	s_delay_alu instid0(SALU_CYCLE_1)
	s_or_b32 s9, s9, s13
	s_or_b32 exec_lo, exec_lo, s12
	s_and_saveexec_b32 s12, s9
	s_cbranch_execnz .LBB8_1101
	s_branch .LBB8_1102
.LBB8_1120:
	s_mov_b32 s1, -1
.LBB8_1121:
                                        ; implicit-def: $vgpr4_vgpr5
.LBB8_1122:
	s_and_b32 vcc_lo, exec_lo, s9
	s_mov_b32 s9, 0
	s_cbranch_vccz .LBB8_1124
; %bb.1123:
	s_cmp_lg_u32 s0, 11
	s_mov_b32 s9, -1
	s_cselect_b32 s1, -1, 0
.LBB8_1124:
	s_delay_alu instid0(SALU_CYCLE_1)
	s_and_b32 vcc_lo, exec_lo, s1
	s_mov_b32 s1, s11
	s_cbranch_vccnz .LBB8_1189
; %bb.1125:
	s_and_not1_b32 vcc_lo, exec_lo, s9
	s_cbranch_vccnz .LBB8_1127
.LBB8_1126:
	global_load_u8 v3, v[0:1], off
	v_mov_b32_e32 v4, 0
	s_mov_b32 s12, -1
	s_wait_loadcnt 0x0
	v_cmp_ne_u16_e32 vcc_lo, 0, v3
	v_cndmask_b32_e64 v5, 0, 0x3ff00000, vcc_lo
.LBB8_1127:
	s_branch .LBB8_1056
.LBB8_1128:
	s_cmp_lt_i32 s0, 5
	s_cbranch_scc1 .LBB8_1133
; %bb.1129:
	s_cmp_lt_i32 s0, 8
	s_cbranch_scc1 .LBB8_1134
; %bb.1130:
	;; [unrolled: 3-line block ×3, first 2 shown]
	s_cmp_gt_i32 s0, 9
	s_cbranch_scc0 .LBB8_1136
; %bb.1132:
	global_load_b64 v[4:5], v[0:1], off
	s_mov_b32 s9, 0
	s_branch .LBB8_1137
.LBB8_1133:
                                        ; implicit-def: $vgpr4_vgpr5
	s_branch .LBB8_1154
.LBB8_1134:
                                        ; implicit-def: $vgpr4_vgpr5
	s_branch .LBB8_1143
.LBB8_1135:
	s_mov_b32 s9, -1
                                        ; implicit-def: $vgpr4_vgpr5
	s_branch .LBB8_1140
.LBB8_1136:
	s_mov_b32 s9, -1
                                        ; implicit-def: $vgpr4_vgpr5
.LBB8_1137:
	s_delay_alu instid0(SALU_CYCLE_1)
	s_and_not1_b32 vcc_lo, exec_lo, s9
	s_cbranch_vccnz .LBB8_1139
; %bb.1138:
	global_load_b32 v3, v[0:1], off
	s_wait_loadcnt 0x0
	v_cvt_f64_f32_e32 v[4:5], v3
.LBB8_1139:
	s_mov_b32 s9, 0
.LBB8_1140:
	s_delay_alu instid0(SALU_CYCLE_1)
	s_and_not1_b32 vcc_lo, exec_lo, s9
	s_cbranch_vccnz .LBB8_1142
; %bb.1141:
	global_load_b32 v3, v[0:1], off
	s_wait_loadcnt 0x0
	v_cvt_f32_f16_e32 v3, v3
	s_delay_alu instid0(VALU_DEP_1)
	v_cvt_f64_f32_e32 v[4:5], v3
.LBB8_1142:
	s_cbranch_execnz .LBB8_1153
.LBB8_1143:
	s_cmp_lt_i32 s0, 6
	s_cbranch_scc1 .LBB8_1146
; %bb.1144:
	s_cmp_gt_i32 s0, 6
	s_cbranch_scc0 .LBB8_1147
; %bb.1145:
	s_wait_loadcnt 0x0
	global_load_b64 v[4:5], v[0:1], off
	s_mov_b32 s9, 0
	s_branch .LBB8_1148
.LBB8_1146:
	s_mov_b32 s9, -1
                                        ; implicit-def: $vgpr4_vgpr5
	s_branch .LBB8_1151
.LBB8_1147:
	s_mov_b32 s9, -1
                                        ; implicit-def: $vgpr4_vgpr5
.LBB8_1148:
	s_delay_alu instid0(SALU_CYCLE_1)
	s_and_not1_b32 vcc_lo, exec_lo, s9
	s_cbranch_vccnz .LBB8_1150
; %bb.1149:
	global_load_b32 v3, v[0:1], off
	s_wait_loadcnt 0x0
	v_cvt_f64_f32_e32 v[4:5], v3
.LBB8_1150:
	s_mov_b32 s9, 0
.LBB8_1151:
	s_delay_alu instid0(SALU_CYCLE_1)
	s_and_not1_b32 vcc_lo, exec_lo, s9
	s_cbranch_vccnz .LBB8_1153
; %bb.1152:
	global_load_u16 v3, v[0:1], off
	s_wait_loadcnt 0x0
	v_cvt_f32_f16_e32 v3, v3
	s_delay_alu instid0(VALU_DEP_1)
	v_cvt_f64_f32_e32 v[4:5], v3
.LBB8_1153:
	s_cbranch_execnz .LBB8_1172
.LBB8_1154:
	s_cmp_lt_i32 s0, 2
	s_cbranch_scc1 .LBB8_1158
; %bb.1155:
	s_cmp_lt_i32 s0, 3
	s_cbranch_scc1 .LBB8_1159
; %bb.1156:
	s_cmp_gt_i32 s0, 3
	s_cbranch_scc0 .LBB8_1160
; %bb.1157:
	s_wait_loadcnt 0x0
	global_load_b64 v[4:5], v[0:1], off
	s_mov_b32 s9, 0
	s_wait_loadcnt 0x0
	v_cvt_f64_i32_e32 v[6:7], v5
	v_cvt_f64_u32_e32 v[4:5], v4
	s_delay_alu instid0(VALU_DEP_2) | instskip(NEXT) | instid1(VALU_DEP_1)
	v_ldexp_f64 v[6:7], v[6:7], 32
	v_add_f64_e32 v[4:5], v[6:7], v[4:5]
	s_branch .LBB8_1161
.LBB8_1158:
                                        ; implicit-def: $vgpr4_vgpr5
	s_branch .LBB8_1167
.LBB8_1159:
	s_mov_b32 s9, -1
                                        ; implicit-def: $vgpr4_vgpr5
	s_branch .LBB8_1164
.LBB8_1160:
	s_mov_b32 s9, -1
                                        ; implicit-def: $vgpr4_vgpr5
.LBB8_1161:
	s_delay_alu instid0(SALU_CYCLE_1)
	s_and_not1_b32 vcc_lo, exec_lo, s9
	s_cbranch_vccnz .LBB8_1163
; %bb.1162:
	global_load_b32 v3, v[0:1], off
	s_wait_loadcnt 0x0
	v_cvt_f64_i32_e32 v[4:5], v3
.LBB8_1163:
	s_mov_b32 s9, 0
.LBB8_1164:
	s_delay_alu instid0(SALU_CYCLE_1)
	s_and_not1_b32 vcc_lo, exec_lo, s9
	s_cbranch_vccnz .LBB8_1166
; %bb.1165:
	global_load_i16 v3, v[0:1], off
	s_wait_loadcnt 0x0
	v_cvt_f64_i32_e32 v[4:5], v3
.LBB8_1166:
	s_cbranch_execnz .LBB8_1172
.LBB8_1167:
	s_cmp_gt_i32 s0, 0
	s_mov_b32 s9, 0
	s_cbranch_scc0 .LBB8_1169
; %bb.1168:
	global_load_i8 v3, v[0:1], off
	s_wait_loadcnt 0x0
	v_cvt_f64_i32_e32 v[4:5], v3
	s_branch .LBB8_1170
.LBB8_1169:
	s_mov_b32 s9, -1
                                        ; implicit-def: $vgpr4_vgpr5
.LBB8_1170:
	s_delay_alu instid0(SALU_CYCLE_1)
	s_and_not1_b32 vcc_lo, exec_lo, s9
	s_cbranch_vccnz .LBB8_1172
; %bb.1171:
	global_load_u8 v0, v[0:1], off
	s_wait_loadcnt 0x0
	v_cvt_f64_u32_e32 v[4:5], v0
.LBB8_1172:
.LBB8_1173:
	s_wait_loadcnt 0x0
	s_delay_alu instid0(VALU_DEP_1) | instskip(SKIP_2) | instid1(SALU_CYCLE_1)
	v_cmp_ge_f64_e64 s9, 0x40200000, |v[4:5]|
                                        ; implicit-def: $vgpr0_vgpr1
	s_wait_xcnt 0x0
	s_and_saveexec_b32 s12, s9
	s_xor_b32 s9, exec_lo, s12
	s_cbranch_execz .LBB8_1175
; %bb.1174:
	v_fma_f64 v[0:1], |v[4:5]|, 0.5, -2.0
	s_mov_b64 s[12:13], 0xbc545cb72134d0ef
	s_delay_alu instid0(VALU_DEP_1) | instid1(SALU_CYCLE_1)
	v_fmaak_f64 v[6:7], s[12:13], v[0:1], 0x3c833362977da589
	s_mov_b64 s[12:13], 0x3ff71547652b82fe
	s_delay_alu instid0(SALU_CYCLE_1) | instskip(SKIP_1) | instid1(VALU_DEP_2)
	v_mul_f64_e64 v[10:11], |v[4:5]|, s[12:13]
	s_mov_b64 s[12:13], 0xbfe62e42fefa39ef
	v_fmaak_f64 v[8:9], v[0:1], v[6:7], 0x3c545cb72134d0ef
	s_delay_alu instid0(VALU_DEP_1) | instskip(NEXT) | instid1(VALU_DEP_3)
	v_add_f64_e32 v[8:9], 0xbcb184eb721ebbb4, v[8:9]
	v_rndne_f64_e32 v[10:11], v[10:11]
	s_delay_alu instid0(VALU_DEP_2) | instskip(NEXT) | instid1(VALU_DEP_2)
	v_fma_f64 v[6:7], v[0:1], v[8:9], -v[6:7]
	v_fma_f64 v[4:5], v[10:11], s[12:13], |v[4:5]|
	s_mov_b64 s[12:13], 0x3e5ade156a5dcb37
	v_cvt_i32_f64_e32 v3, v[10:11]
	s_delay_alu instid0(VALU_DEP_3) | instskip(NEXT) | instid1(VALU_DEP_3)
	v_add_f64_e32 v[6:7], 0x3cdee6d893f65eba, v[6:7]
	v_fmamk_f64 v[4:5], v[10:11], 0xbc7abc9e3b39803f, v[4:5]
	s_delay_alu instid0(VALU_DEP_1) | instskip(NEXT) | instid1(VALU_DEP_3)
	v_fmaak_f64 v[12:13], s[12:13], v[4:5], 0x3e928af3fca7ab0c
	v_fma_f64 v[8:9], v[0:1], v[6:7], -v[8:9]
	s_delay_alu instid0(VALU_DEP_2) | instskip(NEXT) | instid1(VALU_DEP_1)
	v_fmaak_f64 v[12:13], v[4:5], v[12:13], 0x3ec71dee623fde64
	v_fmaak_f64 v[12:13], v[4:5], v[12:13], 0x3efa01997c89e6b0
	s_delay_alu instid0(VALU_DEP_1) | instskip(NEXT) | instid1(VALU_DEP_1)
	v_fmaak_f64 v[12:13], v[4:5], v[12:13], 0x3f2a01a014761f6e
	v_fmaak_f64 v[12:13], v[4:5], v[12:13], 0x3f56c16c1852b7b0
	v_add_f64_e32 v[8:9], 0xbd0a5022c297fbeb, v[8:9]
	s_delay_alu instid0(VALU_DEP_1) | instskip(NEXT) | instid1(VALU_DEP_1)
	v_fma_f64 v[6:7], v[0:1], v[8:9], -v[6:7]
	v_add_f64_e32 v[6:7], 0x3d359b464b262627, v[6:7]
	s_delay_alu instid0(VALU_DEP_1) | instskip(NEXT) | instid1(VALU_DEP_1)
	v_fma_f64 v[8:9], v[0:1], v[6:7], -v[8:9]
	;; [unrolled: 3-line block ×24, first 2 shown]
	v_add_f64_e32 v[8:9], 0xbfd37febc057cd8d, v[8:9]
	s_delay_alu instid0(VALU_DEP_1) | instskip(SKIP_1) | instid1(VALU_DEP_1)
	v_fma_f64 v[0:1], v[0:1], v[8:9], -v[6:7]
	v_fmaak_f64 v[8:9], v[4:5], v[12:13], 0x3f81111111122322
	v_fmaak_f64 v[8:9], v[4:5], v[8:9], 0x3fa55555555502a1
	s_delay_alu instid0(VALU_DEP_1) | instskip(NEXT) | instid1(VALU_DEP_1)
	v_fmaak_f64 v[8:9], v[4:5], v[8:9], 0x3fc5555555555511
	v_fmaak_f64 v[8:9], v[4:5], v[8:9], 0x3fe000000000000b
	s_delay_alu instid0(VALU_DEP_1) | instskip(SKIP_1) | instid1(VALU_DEP_2)
	v_fma_f64 v[8:9], v[4:5], v[8:9], 1.0
	v_add_f64_e32 v[0:1], 0x3fe5a84e9035a22a, v[0:1]
	v_fma_f64 v[4:5], v[4:5], v[8:9], 1.0
	s_delay_alu instid0(VALU_DEP_2) | instskip(NEXT) | instid1(VALU_DEP_2)
	v_add_f64_e64 v[0:1], v[0:1], -v[6:7]
	v_ldexp_f64 v[4:5], v[4:5], v3
	s_delay_alu instid0(VALU_DEP_2) | instskip(NEXT) | instid1(VALU_DEP_1)
	v_mul_f64_e32 v[0:1], 0.5, v[0:1]
	v_mul_f64_e32 v[0:1], v[4:5], v[0:1]
                                        ; implicit-def: $vgpr4_vgpr5
.LBB8_1175:
	s_and_not1_saveexec_b32 s9, s9
	s_cbranch_execz .LBB8_1177
; %bb.1176:
	v_and_b32_e32 v1, 0x7fffffff, v5
	v_mov_b32_e32 v0, v4
	v_cmp_gt_f64_e64 s14, 0x10000000, |v[4:5]|
	s_mov_b64 s[12:13], 0xbc60adb754ca8b19
	v_div_scale_f64 v[6:7], null, v[0:1], v[0:1], 0x40400000
	v_div_scale_f64 v[0:1], vcc_lo, 0x40400000, v[0:1], 0x40400000
	v_cndmask_b32_e64 v3, 0, 0x100, s14
	s_delay_alu instid0(VALU_DEP_3) | instskip(SKIP_1) | instid1(TRANS32_DEP_1)
	v_rcp_f64_e32 v[8:9], v[6:7]
	v_nop
	v_fma_f64 v[10:11], -v[6:7], v[8:9], 1.0
	s_delay_alu instid0(VALU_DEP_1) | instskip(NEXT) | instid1(VALU_DEP_1)
	v_fmac_f64_e32 v[8:9], v[8:9], v[10:11]
	v_fma_f64 v[10:11], -v[6:7], v[8:9], 1.0
	s_delay_alu instid0(VALU_DEP_1) | instskip(NEXT) | instid1(VALU_DEP_1)
	v_fmac_f64_e32 v[8:9], v[8:9], v[10:11]
	v_mul_f64_e32 v[10:11], v[0:1], v[8:9]
	s_delay_alu instid0(VALU_DEP_1) | instskip(NEXT) | instid1(VALU_DEP_1)
	v_fma_f64 v[0:1], -v[6:7], v[10:11], v[0:1]
	v_div_fmas_f64 v[0:1], v[0:1], v[8:9], v[10:11]
	v_ldexp_f64 v[10:11], |v[4:5]|, v3
	v_cmp_nlt_f64_e64 vcc_lo, 0x40900000, |v[4:5]|
	s_delay_alu instid0(VALU_DEP_3) | instskip(NEXT) | instid1(VALU_DEP_3)
	v_div_fixup_f64 v[0:1], v[0:1], |v[4:5]|, 0x40400000
	v_rsq_f64_e32 v[16:17], v[10:11]
	s_delay_alu instid0(VALU_DEP_1) | instskip(NEXT) | instid1(TRANS32_DEP_1)
	v_add_f64_e32 v[0:1], -2.0, v[0:1]
	v_mul_f64_e32 v[18:19], v[10:11], v[16:17]
	s_delay_alu instid0(VALU_DEP_2) | instskip(SKIP_1) | instid1(SALU_CYCLE_1)
	v_fmaak_f64 v[6:7], s[12:13], v[0:1], 0xbc5646da66119130
	s_mov_b64 s[12:13], 0x3ff71547652b82fe
	v_mul_f64_e64 v[12:13], |v[4:5]|, s[12:13]
	s_mov_b64 s[12:13], 0xbfe62e42fefa39ef
	s_delay_alu instid0(VALU_DEP_2) | instskip(NEXT) | instid1(VALU_DEP_1)
	v_fmaak_f64 v[8:9], v[0:1], v[6:7], 0x3c60adb754ca8b19
	v_add_f64_e32 v[8:9], 0x3c89be1812d98421, v[8:9]
	s_delay_alu instid0(VALU_DEP_3) | instskip(NEXT) | instid1(VALU_DEP_2)
	v_rndne_f64_e32 v[12:13], v[12:13]
	v_fma_f64 v[6:7], v[0:1], v[8:9], -v[6:7]
	s_delay_alu instid0(VALU_DEP_2) | instskip(SKIP_2) | instid1(VALU_DEP_3)
	v_fma_f64 v[20:21], v[12:13], s[12:13], |v[4:5]|
	s_mov_b64 s[12:13], 0x3e5ade156a5dcb37
	v_cvt_i32_f64_e32 v3, v[12:13]
	v_add_f64_e32 v[6:7], 0x3c83f3dd076041cd, v[6:7]
	s_delay_alu instid0(VALU_DEP_3) | instskip(NEXT) | instid1(VALU_DEP_1)
	v_fmamk_f64 v[20:21], v[12:13], 0xbc7abc9e3b39803f, v[20:21]
	v_fmaak_f64 v[24:25], s[12:13], v[20:21], 0x3e928af3fca7ab0c
	s_delay_alu instid0(VALU_DEP_3) | instskip(NEXT) | instid1(VALU_DEP_2)
	v_fma_f64 v[8:9], v[0:1], v[6:7], -v[8:9]
	v_fmaak_f64 v[24:25], v[20:21], v[24:25], 0x3ec71dee623fde64
	s_delay_alu instid0(VALU_DEP_1) | instskip(NEXT) | instid1(VALU_DEP_1)
	v_fmaak_f64 v[24:25], v[20:21], v[24:25], 0x3efa01997c89e6b0
	v_fmaak_f64 v[24:25], v[20:21], v[24:25], 0x3f2a01a014761f6e
	s_delay_alu instid0(VALU_DEP_1) | instskip(NEXT) | instid1(VALU_DEP_1)
	v_fmaak_f64 v[24:25], v[20:21], v[24:25], 0x3f56c16c1852b7b0
	v_fmaak_f64 v[24:25], v[20:21], v[24:25], 0x3f81111111122322
	v_add_f64_e32 v[8:9], 0xbcb4600babd21fe4, v[8:9]
	s_delay_alu instid0(VALU_DEP_1) | instskip(NEXT) | instid1(VALU_DEP_1)
	v_fma_f64 v[6:7], v[0:1], v[8:9], -v[6:7]
	v_add_f64_e32 v[6:7], 0xbcb8aee7d908de38, v[6:7]
	s_delay_alu instid0(VALU_DEP_1) | instskip(NEXT) | instid1(VALU_DEP_1)
	v_fma_f64 v[8:9], v[0:1], v[6:7], -v[8:9]
	v_add_f64_e32 v[8:9], 0x3cdfee7da3eafb1f, v[8:9]
	s_delay_alu instid0(VALU_DEP_1) | instskip(NEXT) | instid1(VALU_DEP_1)
	v_fma_f64 v[6:7], v[0:1], v[8:9], -v[6:7]
	v_add_f64_e32 v[6:7], 0x3cf12a919094e6d7, v[6:7]
	s_delay_alu instid0(VALU_DEP_1) | instskip(NEXT) | instid1(VALU_DEP_1)
	v_fma_f64 v[8:9], v[0:1], v[6:7], -v[8:9]
	v_add_f64_e32 v[8:9], 0xbd0583fe7e65629a, v[8:9]
	s_delay_alu instid0(VALU_DEP_1) | instskip(NEXT) | instid1(VALU_DEP_1)
	v_fma_f64 v[6:7], v[0:1], v[8:9], -v[6:7]
	v_add_f64_e32 v[6:7], 0xbd275d99cf68bb32, v[6:7]
	s_delay_alu instid0(VALU_DEP_1) | instskip(NEXT) | instid1(VALU_DEP_1)
	v_fma_f64 v[8:9], v[0:1], v[6:7], -v[8:9]
	v_add_f64_e32 v[8:9], 0x3d1156ff0d5fc545, v[8:9]
	s_delay_alu instid0(VALU_DEP_1) | instskip(NEXT) | instid1(VALU_DEP_1)
	v_fma_f64 v[6:7], v[0:1], v[8:9], -v[6:7]
	v_add_f64_e32 v[6:7], 0x3d5b1c8c6b83c073, v[6:7]
	s_delay_alu instid0(VALU_DEP_1) | instskip(NEXT) | instid1(VALU_DEP_1)
	v_fma_f64 v[8:9], v[0:1], v[6:7], -v[8:9]
	v_add_f64_e32 v[8:9], 0x3d694347fa268cec, v[8:9]
	s_delay_alu instid0(VALU_DEP_1) | instskip(NEXT) | instid1(VALU_DEP_1)
	v_fma_f64 v[6:7], v[0:1], v[8:9], -v[6:7]
	v_add_f64_e32 v[6:7], 0xbd7f904303178d66, v[6:7]
	s_delay_alu instid0(VALU_DEP_1) | instskip(NEXT) | instid1(VALU_DEP_1)
	v_fma_f64 v[8:9], v[0:1], v[6:7], -v[8:9]
	v_add_f64_e32 v[8:9], 0xbdad0fd7357e7bf2, v[8:9]
	s_delay_alu instid0(VALU_DEP_1) | instskip(NEXT) | instid1(VALU_DEP_1)
	v_fma_f64 v[6:7], v[0:1], v[8:9], -v[6:7]
	v_add_f64_e32 v[6:7], 0xbdc1511d08397425, v[6:7]
	s_delay_alu instid0(VALU_DEP_1) | instskip(NEXT) | instid1(VALU_DEP_1)
	v_fma_f64 v[8:9], v[0:1], v[6:7], -v[8:9]
	v_add_f64_e32 v[8:9], 0x3daa24feabe8004f, v[8:9]
	s_delay_alu instid0(VALU_DEP_1) | instskip(NEXT) | instid1(VALU_DEP_1)
	v_fma_f64 v[6:7], v[0:1], v[8:9], -v[6:7]
	v_add_f64_e32 v[6:7], 0x3e00f9ccc0f46f75, v[6:7]
	s_delay_alu instid0(VALU_DEP_1) | instskip(NEXT) | instid1(VALU_DEP_1)
	v_fma_f64 v[8:9], v[0:1], v[6:7], -v[8:9]
	v_add_f64_e32 v[8:9], 0x3e2d2c64a9225b87, v[8:9]
	s_delay_alu instid0(VALU_DEP_1) | instskip(NEXT) | instid1(VALU_DEP_1)
	v_fma_f64 v[6:7], v[0:1], v[8:9], -v[6:7]
	v_add_f64_e32 v[6:7], 0x3e58569280d6d56d, v[6:7]
	s_delay_alu instid0(VALU_DEP_1) | instskip(NEXT) | instid1(VALU_DEP_1)
	v_fma_f64 v[8:9], v[0:1], v[6:7], -v[8:9]
	v_add_f64_e32 v[8:9], 0x3e8b8007d9cd616e, v[8:9]
	s_delay_alu instid0(VALU_DEP_1) | instskip(NEXT) | instid1(VALU_DEP_1)
	v_fma_f64 v[6:7], v[0:1], v[8:9], -v[6:7]
	v_add_f64_e32 v[6:7], 0x3ec8412bc101c586, v[6:7]
	s_delay_alu instid0(VALU_DEP_1) | instskip(NEXT) | instid1(VALU_DEP_1)
	v_fma_f64 v[8:9], v[0:1], v[6:7], -v[8:9]
	v_add_f64_e32 v[8:9], 0x3f120fa378999e52, v[8:9]
	s_delay_alu instid0(VALU_DEP_1) | instskip(NEXT) | instid1(VALU_DEP_1)
	v_fma_f64 v[6:7], v[0:1], v[8:9], -v[6:7]
	v_add_f64_e32 v[6:7], 0x3f6b998ca2e59049, v[6:7]
	s_delay_alu instid0(VALU_DEP_1) | instskip(SKIP_1) | instid1(VALU_DEP_1)
	v_fma_f64 v[0:1], v[0:1], v[6:7], -v[8:9]
	v_fmaak_f64 v[6:7], v[20:21], v[24:25], 0x3fa55555555502a1
	v_fmaak_f64 v[6:7], v[20:21], v[6:7], 0x3fc5555555555511
	s_delay_alu instid0(VALU_DEP_1) | instskip(NEXT) | instid1(VALU_DEP_1)
	v_fmaak_f64 v[6:7], v[20:21], v[6:7], 0x3fe000000000000b
	v_fma_f64 v[6:7], v[20:21], v[6:7], 1.0
	v_add_f64_e32 v[0:1], 0x3fe9be62aca809cb, v[0:1]
	s_delay_alu instid0(VALU_DEP_2) | instskip(NEXT) | instid1(VALU_DEP_2)
	v_fma_f64 v[6:7], v[20:21], v[6:7], 1.0
	v_add_f64_e64 v[0:1], v[0:1], -v[8:9]
	s_delay_alu instid0(VALU_DEP_2) | instskip(SKIP_1) | instid1(VALU_DEP_3)
	v_ldexp_f64 v[6:7], v[6:7], v3
	v_cndmask_b32_e64 v3, 0, 0xffffff80, s14
	v_mul_f64_e32 v[0:1], 0.5, v[0:1]
	s_delay_alu instid0(VALU_DEP_3) | instskip(NEXT) | instid1(VALU_DEP_4)
	v_cndmask_b32_e32 v5, 0x7ff00000, v7, vcc_lo
	v_cndmask_b32_e32 v4, 0, v6, vcc_lo
	v_cmp_class_f64_e64 vcc_lo, v[10:11], 0x260
	v_mul_f64_e32 v[16:17], 0.5, v[16:17]
	s_delay_alu instid0(VALU_DEP_3) | instskip(NEXT) | instid1(VALU_DEP_2)
	v_mul_f64_e32 v[0:1], v[4:5], v[0:1]
	v_fma_f64 v[22:23], -v[16:17], v[18:19], 0.5
	s_delay_alu instid0(VALU_DEP_1) | instskip(SKIP_1) | instid1(VALU_DEP_2)
	v_fmac_f64_e32 v[18:19], v[18:19], v[22:23]
	v_fmac_f64_e32 v[16:17], v[16:17], v[22:23]
	v_fma_f64 v[22:23], -v[18:19], v[18:19], v[10:11]
	s_delay_alu instid0(VALU_DEP_1) | instskip(NEXT) | instid1(VALU_DEP_1)
	v_fmac_f64_e32 v[18:19], v[22:23], v[16:17]
	v_fma_f64 v[12:13], -v[18:19], v[18:19], v[10:11]
	s_delay_alu instid0(VALU_DEP_1) | instskip(NEXT) | instid1(VALU_DEP_1)
	v_fmac_f64_e32 v[18:19], v[12:13], v[16:17]
	v_ldexp_f64 v[6:7], v[18:19], v3
	s_delay_alu instid0(VALU_DEP_1) | instskip(NEXT) | instid1(VALU_DEP_1)
	v_dual_cndmask_b32 v5, v7, v11 :: v_dual_cndmask_b32 v4, v6, v10
	v_div_scale_f64 v[6:7], null, v[4:5], v[4:5], v[0:1]
	s_delay_alu instid0(VALU_DEP_1) | instskip(SKIP_1) | instid1(TRANS32_DEP_1)
	v_rcp_f64_e32 v[8:9], v[6:7]
	v_nop
	v_fma_f64 v[10:11], -v[6:7], v[8:9], 1.0
	s_delay_alu instid0(VALU_DEP_1) | instskip(NEXT) | instid1(VALU_DEP_1)
	v_fmac_f64_e32 v[8:9], v[8:9], v[10:11]
	v_fma_f64 v[10:11], -v[6:7], v[8:9], 1.0
	s_delay_alu instid0(VALU_DEP_1) | instskip(SKIP_1) | instid1(VALU_DEP_1)
	v_fmac_f64_e32 v[8:9], v[8:9], v[10:11]
	v_div_scale_f64 v[10:11], vcc_lo, v[0:1], v[4:5], v[0:1]
	v_mul_f64_e32 v[12:13], v[10:11], v[8:9]
	s_delay_alu instid0(VALU_DEP_1) | instskip(NEXT) | instid1(VALU_DEP_1)
	v_fma_f64 v[6:7], -v[6:7], v[12:13], v[10:11]
	v_div_fmas_f64 v[6:7], v[6:7], v[8:9], v[12:13]
	s_delay_alu instid0(VALU_DEP_1)
	v_div_fixup_f64 v[0:1], v[6:7], v[4:5], v[0:1]
.LBB8_1177:
	s_or_b32 exec_lo, exec_lo, s9
	s_lshl_b32 s3, s3, 7
	s_cmp_lt_i32 s0, 11
	v_add_nc_u32_e32 v2, s3, v2
	s_delay_alu instid0(VALU_DEP_1) | instskip(NEXT) | instid1(VALU_DEP_1)
	v_ashrrev_i32_e32 v3, 31, v2
	v_add_nc_u64_e32 v[4:5], s[6:7], v[2:3]
	s_cbranch_scc1 .LBB8_1184
; %bb.1178:
	s_cmp_gt_i32 s0, 25
	s_mov_b32 s12, 0
	s_cbranch_scc0 .LBB8_1186
; %bb.1179:
	s_cmp_gt_i32 s0, 28
	s_cbranch_scc0 .LBB8_1187
; %bb.1180:
	s_cmp_gt_i32 s0, 43
	;; [unrolled: 3-line block ×3, first 2 shown]
	s_cbranch_scc0 .LBB8_1190
; %bb.1182:
	s_cmp_eq_u32 s0, 46
	s_mov_b32 s14, 0
	s_cbranch_scc0 .LBB8_1193
; %bb.1183:
	global_load_b32 v3, v[4:5], off
	s_mov_b32 s9, 0
	s_mov_b32 s13, -1
	s_wait_loadcnt 0x0
	v_lshlrev_b32_e32 v3, 16, v3
	s_delay_alu instid0(VALU_DEP_1)
	v_cvt_f64_f32_e32 v[6:7], v3
	s_branch .LBB8_1195
.LBB8_1184:
	s_mov_b32 s13, 0
                                        ; implicit-def: $vgpr6_vgpr7
	s_cbranch_execnz .LBB8_1260
.LBB8_1185:
	s_and_not1_b32 vcc_lo, exec_lo, s13
	s_cbranch_vccnz .LBB8_1658
	s_branch .LBB8_1307
.LBB8_1186:
	s_mov_b32 s13, 0
	s_mov_b32 s9, 0
                                        ; implicit-def: $vgpr6_vgpr7
	s_cbranch_execnz .LBB8_1224
	s_branch .LBB8_1256
.LBB8_1187:
	s_mov_b32 s14, -1
	s_mov_b32 s13, 0
	s_mov_b32 s9, 0
                                        ; implicit-def: $vgpr6_vgpr7
	s_branch .LBB8_1205
.LBB8_1188:
	s_mov_b32 s14, -1
	s_mov_b32 s13, 0
	s_mov_b32 s9, 0
                                        ; implicit-def: $vgpr6_vgpr7
	s_branch .LBB8_1200
.LBB8_1189:
	s_or_b32 s1, s11, exec_lo
	s_trap 2
	s_cbranch_execz .LBB8_1126
	s_branch .LBB8_1127
.LBB8_1190:
	s_mov_b32 s14, -1
	s_mov_b32 s13, 0
	s_mov_b32 s9, 0
	s_branch .LBB8_1194
.LBB8_1191:
	s_and_not1_saveexec_b32 s19, s19
	s_cbranch_execz .LBB8_972
.LBB8_1192:
	v_add_f32_e64 v3, 0x42800000, |v2|
	s_and_not1_b32 s18, s18, exec_lo
	s_delay_alu instid0(VALU_DEP_1) | instskip(NEXT) | instid1(VALU_DEP_1)
	v_and_b32_e32 v3, 0xff, v3
	v_cmp_ne_u32_e32 vcc_lo, 0, v3
	s_and_b32 s20, vcc_lo, exec_lo
	s_delay_alu instid0(SALU_CYCLE_1)
	s_or_b32 s18, s18, s20
	s_or_b32 exec_lo, exec_lo, s19
	v_mov_b32_e32 v6, 0
	s_and_saveexec_b32 s19, s18
	s_cbranch_execnz .LBB8_973
	s_branch .LBB8_974
.LBB8_1193:
	s_mov_b32 s9, -1
	s_mov_b32 s13, 0
.LBB8_1194:
                                        ; implicit-def: $vgpr6_vgpr7
.LBB8_1195:
	s_and_b32 vcc_lo, exec_lo, s14
	s_cbranch_vccz .LBB8_1199
; %bb.1196:
	s_cmp_eq_u32 s0, 44
	s_cbranch_scc0 .LBB8_1198
; %bb.1197:
	global_load_u8 v3, v[4:5], off
	s_mov_b32 s9, 0
	s_mov_b32 s13, -1
	s_wait_loadcnt 0x0
	v_lshlrev_b32_e32 v6, 23, v3
	v_cmp_ne_u32_e32 vcc_lo, 0xff, v3
	s_delay_alu instid0(VALU_DEP_2) | instskip(NEXT) | instid1(VALU_DEP_1)
	v_cvt_f64_f32_e32 v[6:7], v6
	v_cndmask_b32_e32 v6, 0x20000000, v6, vcc_lo
	s_delay_alu instid0(VALU_DEP_2) | instskip(SKIP_1) | instid1(VALU_DEP_2)
	v_cndmask_b32_e32 v7, 0x7ff80000, v7, vcc_lo
	v_cmp_ne_u32_e32 vcc_lo, 0, v3
	v_cndmask_b32_e32 v7, 0x38000000, v7, vcc_lo
	s_delay_alu instid0(VALU_DEP_4)
	v_cndmask_b32_e32 v6, 0, v6, vcc_lo
	s_branch .LBB8_1199
.LBB8_1198:
	s_mov_b32 s9, -1
                                        ; implicit-def: $vgpr6_vgpr7
.LBB8_1199:
	s_mov_b32 s14, 0
.LBB8_1200:
	s_delay_alu instid0(SALU_CYCLE_1)
	s_and_b32 vcc_lo, exec_lo, s14
	s_cbranch_vccz .LBB8_1204
; %bb.1201:
	s_cmp_eq_u32 s0, 29
	s_cbranch_scc0 .LBB8_1203
; %bb.1202:
	global_load_b64 v[6:7], v[4:5], off
	s_mov_b32 s9, 0
	s_mov_b32 s13, -1
	s_mov_b32 s14, 0
	s_wait_loadcnt 0x0
	v_cvt_f64_u32_e32 v[8:9], v7
	v_cvt_f64_u32_e32 v[6:7], v6
	s_delay_alu instid0(VALU_DEP_2) | instskip(NEXT) | instid1(VALU_DEP_1)
	v_ldexp_f64 v[8:9], v[8:9], 32
	v_add_f64_e32 v[6:7], v[8:9], v[6:7]
	s_branch .LBB8_1205
.LBB8_1203:
	s_mov_b32 s9, -1
                                        ; implicit-def: $vgpr6_vgpr7
.LBB8_1204:
	s_mov_b32 s14, 0
.LBB8_1205:
	s_delay_alu instid0(SALU_CYCLE_1)
	s_and_b32 vcc_lo, exec_lo, s14
	s_cbranch_vccz .LBB8_1223
; %bb.1206:
	s_cmp_lt_i32 s0, 27
	s_cbranch_scc1 .LBB8_1209
; %bb.1207:
	s_cmp_gt_i32 s0, 27
	s_cbranch_scc0 .LBB8_1210
; %bb.1208:
	global_load_b32 v3, v[4:5], off
	s_mov_b32 s13, 0
	s_wait_loadcnt 0x0
	v_cvt_f64_u32_e32 v[6:7], v3
	s_branch .LBB8_1211
.LBB8_1209:
	s_mov_b32 s13, -1
                                        ; implicit-def: $vgpr6_vgpr7
	s_branch .LBB8_1214
.LBB8_1210:
	s_mov_b32 s13, -1
                                        ; implicit-def: $vgpr6_vgpr7
.LBB8_1211:
	s_delay_alu instid0(SALU_CYCLE_1)
	s_and_not1_b32 vcc_lo, exec_lo, s13
	s_cbranch_vccnz .LBB8_1213
; %bb.1212:
	global_load_u16 v3, v[4:5], off
	s_wait_loadcnt 0x0
	v_cvt_f64_u32_e32 v[6:7], v3
.LBB8_1213:
	s_mov_b32 s13, 0
.LBB8_1214:
	s_delay_alu instid0(SALU_CYCLE_1)
	s_and_not1_b32 vcc_lo, exec_lo, s13
	s_cbranch_vccnz .LBB8_1222
; %bb.1215:
	global_load_u8 v3, v[4:5], off
	s_mov_b32 s13, 0
	s_mov_b32 s14, exec_lo
	s_wait_loadcnt 0x0
	v_cmpx_lt_i16_e32 0x7f, v3
	s_xor_b32 s14, exec_lo, s14
	s_cbranch_execz .LBB8_1235
; %bb.1216:
	s_mov_b32 s13, -1
	s_mov_b32 s15, exec_lo
	v_cmpx_eq_u16_e32 0x80, v3
; %bb.1217:
	s_xor_b32 s13, exec_lo, -1
; %bb.1218:
	s_or_b32 exec_lo, exec_lo, s15
	s_delay_alu instid0(SALU_CYCLE_1)
	s_and_b32 s13, s13, exec_lo
	s_or_saveexec_b32 s14, s14
	v_mov_b64_e32 v[6:7], 0x7ff8000020000000
	s_xor_b32 exec_lo, exec_lo, s14
	s_cbranch_execnz .LBB8_1236
.LBB8_1219:
	s_or_b32 exec_lo, exec_lo, s14
	s_and_saveexec_b32 s14, s13
	s_cbranch_execz .LBB8_1221
.LBB8_1220:
	v_and_b32_e32 v6, 0xffff, v3
	s_delay_alu instid0(VALU_DEP_1) | instskip(SKIP_1) | instid1(VALU_DEP_2)
	v_and_b32_e32 v7, 7, v6
	v_bfe_u32 v10, v6, 3, 4
	v_clz_i32_u32_e32 v8, v7
	s_delay_alu instid0(VALU_DEP_2) | instskip(NEXT) | instid1(VALU_DEP_2)
	v_cmp_eq_u32_e32 vcc_lo, 0, v10
	v_min_u32_e32 v8, 32, v8
	s_delay_alu instid0(VALU_DEP_1) | instskip(NEXT) | instid1(VALU_DEP_1)
	v_subrev_nc_u32_e32 v9, 28, v8
	v_dual_lshlrev_b32 v6, v9, v6 :: v_dual_sub_nc_u32 v8, 29, v8
	s_delay_alu instid0(VALU_DEP_1) | instskip(NEXT) | instid1(VALU_DEP_1)
	v_dual_lshlrev_b32 v3, 24, v3 :: v_dual_bitop2_b32 v6, 7, v6 bitop3:0x40
	v_dual_cndmask_b32 v8, v10, v8, vcc_lo :: v_dual_cndmask_b32 v6, v7, v6, vcc_lo
	s_delay_alu instid0(VALU_DEP_2) | instskip(NEXT) | instid1(VALU_DEP_2)
	v_and_b32_e32 v3, 0x80000000, v3
	v_lshl_add_u32 v7, v8, 23, 0x3b800000
	s_delay_alu instid0(VALU_DEP_3) | instskip(NEXT) | instid1(VALU_DEP_1)
	v_lshlrev_b32_e32 v6, 20, v6
	v_or3_b32 v3, v3, v7, v6
	s_delay_alu instid0(VALU_DEP_1)
	v_cvt_f64_f32_e32 v[6:7], v3
.LBB8_1221:
	s_or_b32 exec_lo, exec_lo, s14
.LBB8_1222:
	s_mov_b32 s13, -1
.LBB8_1223:
	s_branch .LBB8_1256
.LBB8_1224:
	s_cmp_gt_i32 s0, 22
	s_cbranch_scc0 .LBB8_1234
; %bb.1225:
	s_cmp_lt_i32 s0, 24
	s_cbranch_scc1 .LBB8_1237
; %bb.1226:
	s_cmp_gt_i32 s0, 24
	s_cbranch_scc0 .LBB8_1238
; %bb.1227:
	global_load_u8 v3, v[4:5], off
	s_mov_b32 s13, exec_lo
	s_wait_loadcnt 0x0
	v_cmpx_lt_i16_e32 0x7f, v3
	s_xor_b32 s13, exec_lo, s13
	s_cbranch_execz .LBB8_1250
; %bb.1228:
	s_mov_b32 s12, -1
	s_mov_b32 s14, exec_lo
	v_cmpx_eq_u16_e32 0x80, v3
; %bb.1229:
	s_xor_b32 s12, exec_lo, -1
; %bb.1230:
	s_or_b32 exec_lo, exec_lo, s14
	s_delay_alu instid0(SALU_CYCLE_1)
	s_and_b32 s12, s12, exec_lo
	s_or_saveexec_b32 s13, s13
	v_mov_b64_e32 v[6:7], 0x7ff8000020000000
	s_xor_b32 exec_lo, exec_lo, s13
	s_cbranch_execnz .LBB8_1251
.LBB8_1231:
	s_or_b32 exec_lo, exec_lo, s13
	s_and_saveexec_b32 s13, s12
	s_cbranch_execz .LBB8_1233
.LBB8_1232:
	v_and_b32_e32 v6, 0xffff, v3
	s_delay_alu instid0(VALU_DEP_1) | instskip(SKIP_1) | instid1(VALU_DEP_2)
	v_and_b32_e32 v7, 3, v6
	v_bfe_u32 v10, v6, 2, 5
	v_clz_i32_u32_e32 v8, v7
	s_delay_alu instid0(VALU_DEP_2) | instskip(NEXT) | instid1(VALU_DEP_2)
	v_cmp_eq_u32_e32 vcc_lo, 0, v10
	v_min_u32_e32 v8, 32, v8
	s_delay_alu instid0(VALU_DEP_1) | instskip(NEXT) | instid1(VALU_DEP_1)
	v_subrev_nc_u32_e32 v9, 29, v8
	v_dual_lshlrev_b32 v6, v9, v6 :: v_dual_sub_nc_u32 v8, 30, v8
	s_delay_alu instid0(VALU_DEP_1) | instskip(NEXT) | instid1(VALU_DEP_1)
	v_dual_lshlrev_b32 v3, 24, v3 :: v_dual_bitop2_b32 v6, 3, v6 bitop3:0x40
	v_dual_cndmask_b32 v8, v10, v8, vcc_lo :: v_dual_cndmask_b32 v6, v7, v6, vcc_lo
	s_delay_alu instid0(VALU_DEP_2) | instskip(NEXT) | instid1(VALU_DEP_2)
	v_and_b32_e32 v3, 0x80000000, v3
	v_lshl_add_u32 v7, v8, 23, 0x37800000
	s_delay_alu instid0(VALU_DEP_3) | instskip(NEXT) | instid1(VALU_DEP_1)
	v_lshlrev_b32_e32 v6, 21, v6
	v_or3_b32 v3, v3, v7, v6
	s_delay_alu instid0(VALU_DEP_1)
	v_cvt_f64_f32_e32 v[6:7], v3
.LBB8_1233:
	s_or_b32 exec_lo, exec_lo, s13
	s_mov_b32 s12, 0
	s_branch .LBB8_1239
.LBB8_1234:
	s_mov_b32 s12, -1
                                        ; implicit-def: $vgpr6_vgpr7
	s_branch .LBB8_1245
.LBB8_1235:
	s_or_saveexec_b32 s14, s14
	v_mov_b64_e32 v[6:7], 0x7ff8000020000000
	s_xor_b32 exec_lo, exec_lo, s14
	s_cbranch_execz .LBB8_1219
.LBB8_1236:
	v_cmp_ne_u16_e32 vcc_lo, 0, v3
	v_mov_b64_e32 v[6:7], 0
	s_and_not1_b32 s13, s13, exec_lo
	s_and_b32 s15, vcc_lo, exec_lo
	s_delay_alu instid0(SALU_CYCLE_1)
	s_or_b32 s13, s13, s15
	s_or_b32 exec_lo, exec_lo, s14
	s_and_saveexec_b32 s14, s13
	s_cbranch_execnz .LBB8_1220
	s_branch .LBB8_1221
.LBB8_1237:
	s_mov_b32 s12, -1
                                        ; implicit-def: $vgpr6_vgpr7
	s_branch .LBB8_1242
.LBB8_1238:
	s_mov_b32 s12, -1
                                        ; implicit-def: $vgpr6_vgpr7
.LBB8_1239:
	s_delay_alu instid0(SALU_CYCLE_1)
	s_and_b32 vcc_lo, exec_lo, s12
	s_cbranch_vccz .LBB8_1241
; %bb.1240:
	global_load_u8 v3, v[4:5], off
	s_wait_loadcnt 0x0
	v_lshlrev_b32_e32 v3, 24, v3
	s_delay_alu instid0(VALU_DEP_1) | instskip(NEXT) | instid1(VALU_DEP_1)
	v_and_b32_e32 v6, 0x7f000000, v3
	v_clz_i32_u32_e32 v7, v6
	v_cmp_ne_u32_e32 vcc_lo, 0, v6
	v_add_nc_u32_e32 v9, 0x1000000, v6
	s_delay_alu instid0(VALU_DEP_3) | instskip(NEXT) | instid1(VALU_DEP_1)
	v_min_u32_e32 v7, 32, v7
	v_sub_nc_u32_e64 v7, v7, 4 clamp
	s_delay_alu instid0(VALU_DEP_1) | instskip(NEXT) | instid1(VALU_DEP_1)
	v_dual_lshlrev_b32 v8, v7, v6 :: v_dual_lshlrev_b32 v7, 23, v7
	v_lshrrev_b32_e32 v8, 4, v8
	s_delay_alu instid0(VALU_DEP_1) | instskip(NEXT) | instid1(VALU_DEP_1)
	v_dual_sub_nc_u32 v7, v8, v7 :: v_dual_ashrrev_i32 v8, 8, v9
	v_add_nc_u32_e32 v7, 0x3c000000, v7
	s_delay_alu instid0(VALU_DEP_1) | instskip(NEXT) | instid1(VALU_DEP_1)
	v_and_or_b32 v7, 0x7f800000, v8, v7
	v_cndmask_b32_e32 v6, 0, v7, vcc_lo
	s_delay_alu instid0(VALU_DEP_1) | instskip(NEXT) | instid1(VALU_DEP_1)
	v_and_or_b32 v3, 0x80000000, v3, v6
	v_cvt_f64_f32_e32 v[6:7], v3
.LBB8_1241:
	s_mov_b32 s12, 0
.LBB8_1242:
	s_delay_alu instid0(SALU_CYCLE_1)
	s_and_not1_b32 vcc_lo, exec_lo, s12
	s_cbranch_vccnz .LBB8_1244
; %bb.1243:
	global_load_u8 v3, v[4:5], off
	s_wait_loadcnt 0x0
	v_lshlrev_b32_e32 v6, 25, v3
	v_lshlrev_b16 v3, 8, v3
	s_delay_alu instid0(VALU_DEP_1) | instskip(SKIP_1) | instid1(VALU_DEP_2)
	v_and_or_b32 v8, 0x7f00, v3, 0.5
	v_bfe_i32 v3, v3, 0, 16
	v_dual_add_f32 v8, -0.5, v8 :: v_dual_lshrrev_b32 v7, 4, v6
	v_cmp_gt_u32_e32 vcc_lo, 0x8000000, v6
	s_delay_alu instid0(VALU_DEP_2) | instskip(NEXT) | instid1(VALU_DEP_1)
	v_or_b32_e32 v7, 0x70000000, v7
	v_mul_f32_e32 v7, 0x7800000, v7
	s_delay_alu instid0(VALU_DEP_1) | instskip(NEXT) | instid1(VALU_DEP_1)
	v_cndmask_b32_e32 v6, v7, v8, vcc_lo
	v_and_or_b32 v3, 0x80000000, v3, v6
	s_delay_alu instid0(VALU_DEP_1)
	v_cvt_f64_f32_e32 v[6:7], v3
.LBB8_1244:
	s_mov_b32 s12, 0
	s_mov_b32 s13, -1
.LBB8_1245:
	s_and_not1_b32 vcc_lo, exec_lo, s12
	s_mov_b32 s12, 0
	s_cbranch_vccnz .LBB8_1256
; %bb.1246:
	s_cmp_gt_i32 s0, 14
	s_cbranch_scc0 .LBB8_1249
; %bb.1247:
	s_cmp_eq_u32 s0, 15
	s_cbranch_scc0 .LBB8_1252
; %bb.1248:
	global_load_u16 v3, v[4:5], off
	s_mov_b32 s9, 0
	s_mov_b32 s13, -1
	s_wait_loadcnt 0x0
	v_lshlrev_b32_e32 v3, 16, v3
	s_delay_alu instid0(VALU_DEP_1)
	v_cvt_f64_f32_e32 v[6:7], v3
	s_branch .LBB8_1254
.LBB8_1249:
	s_mov_b32 s12, -1
	s_branch .LBB8_1253
.LBB8_1250:
	s_or_saveexec_b32 s13, s13
	v_mov_b64_e32 v[6:7], 0x7ff8000020000000
	s_xor_b32 exec_lo, exec_lo, s13
	s_cbranch_execz .LBB8_1231
.LBB8_1251:
	v_cmp_ne_u16_e32 vcc_lo, 0, v3
	v_mov_b64_e32 v[6:7], 0
	s_and_not1_b32 s12, s12, exec_lo
	s_and_b32 s14, vcc_lo, exec_lo
	s_delay_alu instid0(SALU_CYCLE_1)
	s_or_b32 s12, s12, s14
	s_or_b32 exec_lo, exec_lo, s13
	s_and_saveexec_b32 s13, s12
	s_cbranch_execnz .LBB8_1232
	s_branch .LBB8_1233
.LBB8_1252:
	s_mov_b32 s9, -1
.LBB8_1253:
                                        ; implicit-def: $vgpr6_vgpr7
.LBB8_1254:
	s_and_b32 vcc_lo, exec_lo, s12
	s_mov_b32 s12, 0
	s_cbranch_vccz .LBB8_1256
; %bb.1255:
	s_cmp_lg_u32 s0, 11
	s_mov_b32 s12, -1
	s_cselect_b32 s9, -1, 0
.LBB8_1256:
	s_delay_alu instid0(SALU_CYCLE_1)
	s_and_b32 vcc_lo, exec_lo, s9
	s_cbranch_vccnz .LBB8_1323
; %bb.1257:
	s_and_not1_b32 vcc_lo, exec_lo, s12
	s_cbranch_vccnz .LBB8_1259
.LBB8_1258:
	global_load_u8 v3, v[4:5], off
	v_mov_b32_e32 v6, 0
	s_mov_b32 s13, -1
	s_wait_loadcnt 0x0
	v_cmp_ne_u16_e32 vcc_lo, 0, v3
	v_cndmask_b32_e64 v7, 0, 0x3ff00000, vcc_lo
.LBB8_1259:
	s_branch .LBB8_1185
.LBB8_1260:
	s_cmp_lt_i32 s0, 5
	s_cbranch_scc1 .LBB8_1265
; %bb.1261:
	s_cmp_lt_i32 s0, 8
	s_cbranch_scc1 .LBB8_1266
; %bb.1262:
	;; [unrolled: 3-line block ×3, first 2 shown]
	s_cmp_gt_i32 s0, 9
	s_cbranch_scc0 .LBB8_1268
; %bb.1264:
	global_load_b64 v[6:7], v[4:5], off
	s_mov_b32 s9, 0
	s_branch .LBB8_1269
.LBB8_1265:
                                        ; implicit-def: $vgpr6_vgpr7
	s_branch .LBB8_1287
.LBB8_1266:
	s_mov_b32 s9, -1
                                        ; implicit-def: $vgpr6_vgpr7
	s_branch .LBB8_1275
.LBB8_1267:
	s_mov_b32 s9, -1
                                        ; implicit-def: $vgpr6_vgpr7
	s_branch .LBB8_1272
.LBB8_1268:
	s_mov_b32 s9, -1
                                        ; implicit-def: $vgpr6_vgpr7
.LBB8_1269:
	s_delay_alu instid0(SALU_CYCLE_1)
	s_and_not1_b32 vcc_lo, exec_lo, s9
	s_cbranch_vccnz .LBB8_1271
; %bb.1270:
	global_load_b32 v3, v[4:5], off
	s_wait_loadcnt 0x0
	v_cvt_f64_f32_e32 v[6:7], v3
.LBB8_1271:
	s_mov_b32 s9, 0
.LBB8_1272:
	s_delay_alu instid0(SALU_CYCLE_1)
	s_and_not1_b32 vcc_lo, exec_lo, s9
	s_cbranch_vccnz .LBB8_1274
; %bb.1273:
	global_load_b32 v3, v[4:5], off
	s_wait_loadcnt 0x0
	v_cvt_f32_f16_e32 v3, v3
	s_delay_alu instid0(VALU_DEP_1)
	v_cvt_f64_f32_e32 v[6:7], v3
.LBB8_1274:
	s_mov_b32 s9, 0
.LBB8_1275:
	s_delay_alu instid0(SALU_CYCLE_1)
	s_and_not1_b32 vcc_lo, exec_lo, s9
	s_cbranch_vccnz .LBB8_1286
; %bb.1276:
	s_cmp_lt_i32 s0, 6
	s_cbranch_scc1 .LBB8_1279
; %bb.1277:
	s_cmp_gt_i32 s0, 6
	s_cbranch_scc0 .LBB8_1280
; %bb.1278:
	s_wait_loadcnt 0x0
	global_load_b64 v[6:7], v[4:5], off
	s_mov_b32 s9, 0
	s_branch .LBB8_1281
.LBB8_1279:
	s_mov_b32 s9, -1
                                        ; implicit-def: $vgpr6_vgpr7
	s_branch .LBB8_1284
.LBB8_1280:
	s_mov_b32 s9, -1
                                        ; implicit-def: $vgpr6_vgpr7
.LBB8_1281:
	s_delay_alu instid0(SALU_CYCLE_1)
	s_and_not1_b32 vcc_lo, exec_lo, s9
	s_cbranch_vccnz .LBB8_1283
; %bb.1282:
	global_load_b32 v3, v[4:5], off
	s_wait_loadcnt 0x0
	v_cvt_f64_f32_e32 v[6:7], v3
.LBB8_1283:
	s_mov_b32 s9, 0
.LBB8_1284:
	s_delay_alu instid0(SALU_CYCLE_1)
	s_and_not1_b32 vcc_lo, exec_lo, s9
	s_cbranch_vccnz .LBB8_1286
; %bb.1285:
	global_load_u16 v3, v[4:5], off
	s_wait_loadcnt 0x0
	v_cvt_f32_f16_e32 v3, v3
	s_delay_alu instid0(VALU_DEP_1)
	v_cvt_f64_f32_e32 v[6:7], v3
.LBB8_1286:
	s_cbranch_execnz .LBB8_1306
.LBB8_1287:
	s_cmp_lt_i32 s0, 2
	s_cbranch_scc1 .LBB8_1291
; %bb.1288:
	s_cmp_lt_i32 s0, 3
	s_cbranch_scc1 .LBB8_1292
; %bb.1289:
	s_cmp_gt_i32 s0, 3
	s_cbranch_scc0 .LBB8_1293
; %bb.1290:
	s_wait_loadcnt 0x0
	global_load_b64 v[6:7], v[4:5], off
	s_mov_b32 s9, 0
	s_wait_loadcnt 0x0
	v_cvt_f64_i32_e32 v[8:9], v7
	v_cvt_f64_u32_e32 v[6:7], v6
	s_delay_alu instid0(VALU_DEP_2) | instskip(NEXT) | instid1(VALU_DEP_1)
	v_ldexp_f64 v[8:9], v[8:9], 32
	v_add_f64_e32 v[6:7], v[8:9], v[6:7]
	s_branch .LBB8_1294
.LBB8_1291:
	s_mov_b32 s9, -1
                                        ; implicit-def: $vgpr6_vgpr7
	s_branch .LBB8_1300
.LBB8_1292:
	s_mov_b32 s9, -1
                                        ; implicit-def: $vgpr6_vgpr7
	s_branch .LBB8_1297
.LBB8_1293:
	s_mov_b32 s9, -1
                                        ; implicit-def: $vgpr6_vgpr7
.LBB8_1294:
	s_delay_alu instid0(SALU_CYCLE_1)
	s_and_not1_b32 vcc_lo, exec_lo, s9
	s_cbranch_vccnz .LBB8_1296
; %bb.1295:
	global_load_b32 v3, v[4:5], off
	s_wait_loadcnt 0x0
	v_cvt_f64_i32_e32 v[6:7], v3
.LBB8_1296:
	s_mov_b32 s9, 0
.LBB8_1297:
	s_delay_alu instid0(SALU_CYCLE_1)
	s_and_not1_b32 vcc_lo, exec_lo, s9
	s_cbranch_vccnz .LBB8_1299
; %bb.1298:
	global_load_i16 v3, v[4:5], off
	s_wait_loadcnt 0x0
	v_cvt_f64_i32_e32 v[6:7], v3
.LBB8_1299:
	s_mov_b32 s9, 0
.LBB8_1300:
	s_delay_alu instid0(SALU_CYCLE_1)
	s_and_not1_b32 vcc_lo, exec_lo, s9
	s_cbranch_vccnz .LBB8_1306
; %bb.1301:
	s_cmp_gt_i32 s0, 0
	s_mov_b32 s9, 0
	s_cbranch_scc0 .LBB8_1303
; %bb.1302:
	global_load_i8 v3, v[4:5], off
	s_wait_loadcnt 0x0
	v_cvt_f64_i32_e32 v[6:7], v3
	s_branch .LBB8_1304
.LBB8_1303:
	s_mov_b32 s9, -1
                                        ; implicit-def: $vgpr6_vgpr7
.LBB8_1304:
	s_delay_alu instid0(SALU_CYCLE_1)
	s_and_not1_b32 vcc_lo, exec_lo, s9
	s_cbranch_vccnz .LBB8_1306
; %bb.1305:
	global_load_u8 v3, v[4:5], off
	s_wait_loadcnt 0x0
	v_cvt_f64_u32_e32 v[6:7], v3
.LBB8_1306:
.LBB8_1307:
	s_wait_loadcnt 0x0
	s_delay_alu instid0(VALU_DEP_1) | instskip(SKIP_2) | instid1(SALU_CYCLE_1)
	v_cmp_ge_f64_e64 s9, 0x40200000, |v[6:7]|
                                        ; implicit-def: $vgpr4_vgpr5
	s_wait_xcnt 0x0
	s_and_saveexec_b32 s12, s9
	s_xor_b32 s9, exec_lo, s12
	s_cbranch_execz .LBB8_1309
; %bb.1308:
	v_fma_f64 v[4:5], |v[6:7]|, 0.5, -2.0
	s_mov_b64 s[12:13], 0xbc545cb72134d0ef
	s_delay_alu instid0(VALU_DEP_1) | instid1(SALU_CYCLE_1)
	v_fmaak_f64 v[8:9], s[12:13], v[4:5], 0x3c833362977da589
	s_mov_b64 s[12:13], 0x3ff71547652b82fe
	s_delay_alu instid0(SALU_CYCLE_1) | instskip(SKIP_1) | instid1(VALU_DEP_2)
	v_mul_f64_e64 v[12:13], |v[6:7]|, s[12:13]
	s_mov_b64 s[12:13], 0xbfe62e42fefa39ef
	v_fmaak_f64 v[10:11], v[4:5], v[8:9], 0x3c545cb72134d0ef
	s_delay_alu instid0(VALU_DEP_1) | instskip(NEXT) | instid1(VALU_DEP_3)
	v_add_f64_e32 v[10:11], 0xbcb184eb721ebbb4, v[10:11]
	v_rndne_f64_e32 v[12:13], v[12:13]
	s_delay_alu instid0(VALU_DEP_2) | instskip(NEXT) | instid1(VALU_DEP_2)
	v_fma_f64 v[8:9], v[4:5], v[10:11], -v[8:9]
	v_fma_f64 v[6:7], v[12:13], s[12:13], |v[6:7]|
	s_mov_b64 s[12:13], 0x3e5ade156a5dcb37
	v_cvt_i32_f64_e32 v3, v[12:13]
	s_delay_alu instid0(VALU_DEP_3) | instskip(NEXT) | instid1(VALU_DEP_3)
	v_add_f64_e32 v[8:9], 0x3cdee6d893f65eba, v[8:9]
	v_fmamk_f64 v[6:7], v[12:13], 0xbc7abc9e3b39803f, v[6:7]
	s_delay_alu instid0(VALU_DEP_1) | instskip(NEXT) | instid1(VALU_DEP_3)
	v_fmaak_f64 v[16:17], s[12:13], v[6:7], 0x3e928af3fca7ab0c
	v_fma_f64 v[10:11], v[4:5], v[8:9], -v[10:11]
	s_delay_alu instid0(VALU_DEP_2) | instskip(NEXT) | instid1(VALU_DEP_1)
	v_fmaak_f64 v[16:17], v[6:7], v[16:17], 0x3ec71dee623fde64
	v_fmaak_f64 v[16:17], v[6:7], v[16:17], 0x3efa01997c89e6b0
	s_delay_alu instid0(VALU_DEP_1) | instskip(NEXT) | instid1(VALU_DEP_1)
	v_fmaak_f64 v[16:17], v[6:7], v[16:17], 0x3f2a01a014761f6e
	v_fmaak_f64 v[16:17], v[6:7], v[16:17], 0x3f56c16c1852b7b0
	v_add_f64_e32 v[10:11], 0xbd0a5022c297fbeb, v[10:11]
	s_delay_alu instid0(VALU_DEP_1) | instskip(NEXT) | instid1(VALU_DEP_1)
	v_fma_f64 v[8:9], v[4:5], v[10:11], -v[8:9]
	v_add_f64_e32 v[8:9], 0x3d359b464b262627, v[8:9]
	s_delay_alu instid0(VALU_DEP_1) | instskip(NEXT) | instid1(VALU_DEP_1)
	v_fma_f64 v[10:11], v[4:5], v[8:9], -v[10:11]
	;; [unrolled: 3-line block ×24, first 2 shown]
	v_add_f64_e32 v[10:11], 0xbfd37febc057cd8d, v[10:11]
	s_delay_alu instid0(VALU_DEP_1) | instskip(SKIP_1) | instid1(VALU_DEP_1)
	v_fma_f64 v[4:5], v[4:5], v[10:11], -v[8:9]
	v_fmaak_f64 v[10:11], v[6:7], v[16:17], 0x3f81111111122322
	v_fmaak_f64 v[10:11], v[6:7], v[10:11], 0x3fa55555555502a1
	s_delay_alu instid0(VALU_DEP_1) | instskip(NEXT) | instid1(VALU_DEP_1)
	v_fmaak_f64 v[10:11], v[6:7], v[10:11], 0x3fc5555555555511
	v_fmaak_f64 v[10:11], v[6:7], v[10:11], 0x3fe000000000000b
	s_delay_alu instid0(VALU_DEP_1) | instskip(SKIP_1) | instid1(VALU_DEP_2)
	v_fma_f64 v[10:11], v[6:7], v[10:11], 1.0
	v_add_f64_e32 v[4:5], 0x3fe5a84e9035a22a, v[4:5]
	v_fma_f64 v[6:7], v[6:7], v[10:11], 1.0
	s_delay_alu instid0(VALU_DEP_2) | instskip(NEXT) | instid1(VALU_DEP_2)
	v_add_f64_e64 v[4:5], v[4:5], -v[8:9]
	v_ldexp_f64 v[6:7], v[6:7], v3
	s_delay_alu instid0(VALU_DEP_2) | instskip(NEXT) | instid1(VALU_DEP_1)
	v_mul_f64_e32 v[4:5], 0.5, v[4:5]
	v_mul_f64_e32 v[4:5], v[6:7], v[4:5]
                                        ; implicit-def: $vgpr6_vgpr7
.LBB8_1309:
	s_and_not1_saveexec_b32 s9, s9
	s_cbranch_execz .LBB8_1311
; %bb.1310:
	v_and_b32_e32 v5, 0x7fffffff, v7
	v_mov_b32_e32 v4, v6
	s_mov_b64 s[12:13], 0xbc60adb754ca8b19
	v_cmp_gt_f64_e64 s14, 0x10000000, |v[6:7]|
	s_delay_alu instid0(VALU_DEP_2) | instskip(SKIP_1) | instid1(VALU_DEP_3)
	v_div_scale_f64 v[8:9], null, v[4:5], v[4:5], 0x40400000
	v_div_scale_f64 v[4:5], vcc_lo, 0x40400000, v[4:5], 0x40400000
	v_cndmask_b32_e64 v3, 0, 0x100, s14
	s_delay_alu instid0(VALU_DEP_3) | instskip(SKIP_1) | instid1(TRANS32_DEP_1)
	v_rcp_f64_e32 v[10:11], v[8:9]
	v_nop
	v_fma_f64 v[12:13], -v[8:9], v[10:11], 1.0
	s_delay_alu instid0(VALU_DEP_1) | instskip(NEXT) | instid1(VALU_DEP_1)
	v_fmac_f64_e32 v[10:11], v[10:11], v[12:13]
	v_fma_f64 v[12:13], -v[8:9], v[10:11], 1.0
	s_delay_alu instid0(VALU_DEP_1) | instskip(NEXT) | instid1(VALU_DEP_1)
	v_fmac_f64_e32 v[10:11], v[10:11], v[12:13]
	v_mul_f64_e32 v[12:13], v[4:5], v[10:11]
	s_delay_alu instid0(VALU_DEP_1) | instskip(NEXT) | instid1(VALU_DEP_1)
	v_fma_f64 v[4:5], -v[8:9], v[12:13], v[4:5]
	v_div_fmas_f64 v[4:5], v[4:5], v[10:11], v[12:13]
	v_ldexp_f64 v[12:13], |v[6:7]|, v3
	v_cmp_nlt_f64_e64 vcc_lo, 0x40900000, |v[6:7]|
	s_delay_alu instid0(VALU_DEP_3) | instskip(NEXT) | instid1(VALU_DEP_3)
	v_div_fixup_f64 v[4:5], v[4:5], |v[6:7]|, 0x40400000
	v_rsq_f64_e32 v[18:19], v[12:13]
	s_delay_alu instid0(VALU_DEP_1) | instskip(NEXT) | instid1(TRANS32_DEP_1)
	v_add_f64_e32 v[4:5], -2.0, v[4:5]
	v_mul_f64_e32 v[20:21], v[12:13], v[18:19]
	s_delay_alu instid0(VALU_DEP_2) | instskip(SKIP_1) | instid1(SALU_CYCLE_1)
	v_fmaak_f64 v[8:9], s[12:13], v[4:5], 0xbc5646da66119130
	s_mov_b64 s[12:13], 0x3ff71547652b82fe
	v_mul_f64_e64 v[16:17], |v[6:7]|, s[12:13]
	s_mov_b64 s[12:13], 0xbfe62e42fefa39ef
	s_delay_alu instid0(VALU_DEP_2) | instskip(NEXT) | instid1(VALU_DEP_1)
	v_fmaak_f64 v[10:11], v[4:5], v[8:9], 0x3c60adb754ca8b19
	v_add_f64_e32 v[10:11], 0x3c89be1812d98421, v[10:11]
	s_delay_alu instid0(VALU_DEP_3) | instskip(NEXT) | instid1(VALU_DEP_2)
	v_rndne_f64_e32 v[16:17], v[16:17]
	v_fma_f64 v[8:9], v[4:5], v[10:11], -v[8:9]
	s_delay_alu instid0(VALU_DEP_2) | instskip(SKIP_2) | instid1(VALU_DEP_3)
	v_fma_f64 v[22:23], v[16:17], s[12:13], |v[6:7]|
	s_mov_b64 s[12:13], 0x3e5ade156a5dcb37
	v_cvt_i32_f64_e32 v3, v[16:17]
	v_add_f64_e32 v[8:9], 0x3c83f3dd076041cd, v[8:9]
	s_delay_alu instid0(VALU_DEP_3) | instskip(NEXT) | instid1(VALU_DEP_1)
	v_fmamk_f64 v[22:23], v[16:17], 0xbc7abc9e3b39803f, v[22:23]
	v_fmaak_f64 v[26:27], s[12:13], v[22:23], 0x3e928af3fca7ab0c
	s_delay_alu instid0(VALU_DEP_3) | instskip(NEXT) | instid1(VALU_DEP_2)
	v_fma_f64 v[10:11], v[4:5], v[8:9], -v[10:11]
	v_fmaak_f64 v[26:27], v[22:23], v[26:27], 0x3ec71dee623fde64
	s_delay_alu instid0(VALU_DEP_1) | instskip(NEXT) | instid1(VALU_DEP_1)
	v_fmaak_f64 v[26:27], v[22:23], v[26:27], 0x3efa01997c89e6b0
	v_fmaak_f64 v[26:27], v[22:23], v[26:27], 0x3f2a01a014761f6e
	s_delay_alu instid0(VALU_DEP_1) | instskip(NEXT) | instid1(VALU_DEP_1)
	v_fmaak_f64 v[26:27], v[22:23], v[26:27], 0x3f56c16c1852b7b0
	v_fmaak_f64 v[26:27], v[22:23], v[26:27], 0x3f81111111122322
	v_add_f64_e32 v[10:11], 0xbcb4600babd21fe4, v[10:11]
	s_delay_alu instid0(VALU_DEP_1) | instskip(NEXT) | instid1(VALU_DEP_1)
	v_fma_f64 v[8:9], v[4:5], v[10:11], -v[8:9]
	v_add_f64_e32 v[8:9], 0xbcb8aee7d908de38, v[8:9]
	s_delay_alu instid0(VALU_DEP_1) | instskip(NEXT) | instid1(VALU_DEP_1)
	v_fma_f64 v[10:11], v[4:5], v[8:9], -v[10:11]
	;; [unrolled: 3-line block ×19, first 2 shown]
	v_add_f64_e32 v[8:9], 0x3f6b998ca2e59049, v[8:9]
	s_delay_alu instid0(VALU_DEP_1) | instskip(SKIP_1) | instid1(VALU_DEP_1)
	v_fma_f64 v[4:5], v[4:5], v[8:9], -v[10:11]
	v_fmaak_f64 v[8:9], v[22:23], v[26:27], 0x3fa55555555502a1
	v_fmaak_f64 v[8:9], v[22:23], v[8:9], 0x3fc5555555555511
	s_delay_alu instid0(VALU_DEP_1) | instskip(NEXT) | instid1(VALU_DEP_1)
	v_fmaak_f64 v[8:9], v[22:23], v[8:9], 0x3fe000000000000b
	v_fma_f64 v[8:9], v[22:23], v[8:9], 1.0
	v_add_f64_e32 v[4:5], 0x3fe9be62aca809cb, v[4:5]
	s_delay_alu instid0(VALU_DEP_2) | instskip(NEXT) | instid1(VALU_DEP_2)
	v_fma_f64 v[8:9], v[22:23], v[8:9], 1.0
	v_add_f64_e64 v[4:5], v[4:5], -v[10:11]
	s_delay_alu instid0(VALU_DEP_2) | instskip(SKIP_1) | instid1(VALU_DEP_3)
	v_ldexp_f64 v[8:9], v[8:9], v3
	v_cndmask_b32_e64 v3, 0, 0xffffff80, s14
	v_mul_f64_e32 v[4:5], 0.5, v[4:5]
	s_delay_alu instid0(VALU_DEP_3) | instskip(NEXT) | instid1(VALU_DEP_4)
	v_cndmask_b32_e32 v7, 0x7ff00000, v9, vcc_lo
	v_cndmask_b32_e32 v6, 0, v8, vcc_lo
	v_cmp_class_f64_e64 vcc_lo, v[12:13], 0x260
	v_mul_f64_e32 v[18:19], 0.5, v[18:19]
	s_delay_alu instid0(VALU_DEP_3) | instskip(NEXT) | instid1(VALU_DEP_2)
	v_mul_f64_e32 v[4:5], v[6:7], v[4:5]
	v_fma_f64 v[24:25], -v[18:19], v[20:21], 0.5
	s_delay_alu instid0(VALU_DEP_1) | instskip(SKIP_1) | instid1(VALU_DEP_2)
	v_fmac_f64_e32 v[20:21], v[20:21], v[24:25]
	v_fmac_f64_e32 v[18:19], v[18:19], v[24:25]
	v_fma_f64 v[24:25], -v[20:21], v[20:21], v[12:13]
	s_delay_alu instid0(VALU_DEP_1) | instskip(NEXT) | instid1(VALU_DEP_1)
	v_fmac_f64_e32 v[20:21], v[24:25], v[18:19]
	v_fma_f64 v[16:17], -v[20:21], v[20:21], v[12:13]
	s_delay_alu instid0(VALU_DEP_1) | instskip(NEXT) | instid1(VALU_DEP_1)
	v_fmac_f64_e32 v[20:21], v[16:17], v[18:19]
	v_ldexp_f64 v[8:9], v[20:21], v3
	s_delay_alu instid0(VALU_DEP_1) | instskip(NEXT) | instid1(VALU_DEP_1)
	v_dual_cndmask_b32 v7, v9, v13 :: v_dual_cndmask_b32 v6, v8, v12
	v_div_scale_f64 v[8:9], null, v[6:7], v[6:7], v[4:5]
	s_delay_alu instid0(VALU_DEP_1) | instskip(SKIP_1) | instid1(TRANS32_DEP_1)
	v_rcp_f64_e32 v[10:11], v[8:9]
	v_nop
	v_fma_f64 v[12:13], -v[8:9], v[10:11], 1.0
	s_delay_alu instid0(VALU_DEP_1) | instskip(NEXT) | instid1(VALU_DEP_1)
	v_fmac_f64_e32 v[10:11], v[10:11], v[12:13]
	v_fma_f64 v[12:13], -v[8:9], v[10:11], 1.0
	s_delay_alu instid0(VALU_DEP_1) | instskip(SKIP_1) | instid1(VALU_DEP_1)
	v_fmac_f64_e32 v[10:11], v[10:11], v[12:13]
	v_div_scale_f64 v[12:13], vcc_lo, v[4:5], v[6:7], v[4:5]
	v_mul_f64_e32 v[16:17], v[12:13], v[10:11]
	s_delay_alu instid0(VALU_DEP_1) | instskip(NEXT) | instid1(VALU_DEP_1)
	v_fma_f64 v[8:9], -v[8:9], v[16:17], v[12:13]
	v_div_fmas_f64 v[8:9], v[8:9], v[10:11], v[16:17]
	s_delay_alu instid0(VALU_DEP_1)
	v_div_fixup_f64 v[4:5], v[8:9], v[6:7], v[4:5]
.LBB8_1311:
	s_or_b32 exec_lo, exec_lo, s9
	v_add_nc_u32_e32 v2, s3, v2
	s_cmp_lt_i32 s0, 11
	s_delay_alu instid0(VALU_DEP_1) | instskip(NEXT) | instid1(VALU_DEP_1)
	v_ashrrev_i32_e32 v3, 31, v2
	v_add_nc_u64_e32 v[6:7], s[6:7], v[2:3]
	s_cbranch_scc1 .LBB8_1318
; %bb.1312:
	s_cmp_gt_i32 s0, 25
	s_mov_b32 s12, 0
	s_cbranch_scc0 .LBB8_1320
; %bb.1313:
	s_cmp_gt_i32 s0, 28
	s_cbranch_scc0 .LBB8_1321
; %bb.1314:
	s_cmp_gt_i32 s0, 43
	;; [unrolled: 3-line block ×3, first 2 shown]
	s_cbranch_scc0 .LBB8_1324
; %bb.1316:
	s_cmp_eq_u32 s0, 46
	s_mov_b32 s14, 0
	s_cbranch_scc0 .LBB8_1325
; %bb.1317:
	global_load_b32 v3, v[6:7], off
	s_mov_b32 s9, 0
	s_mov_b32 s13, -1
	s_wait_loadcnt 0x0
	v_lshlrev_b32_e32 v3, 16, v3
	s_delay_alu instid0(VALU_DEP_1)
	v_cvt_f64_f32_e32 v[10:11], v3
	s_branch .LBB8_1327
.LBB8_1318:
	s_mov_b32 s13, 0
                                        ; implicit-def: $vgpr10_vgpr11
	s_cbranch_execnz .LBB8_1393
.LBB8_1319:
	s_and_not1_b32 vcc_lo, exec_lo, s13
	s_cbranch_vccnz .LBB8_1658
	s_branch .LBB8_1441
.LBB8_1320:
	s_mov_b32 s14, -1
	s_mov_b32 s13, 0
	s_mov_b32 s9, 0
                                        ; implicit-def: $vgpr10_vgpr11
	s_branch .LBB8_1356
.LBB8_1321:
	s_mov_b32 s14, -1
	s_mov_b32 s13, 0
	s_mov_b32 s9, 0
                                        ; implicit-def: $vgpr10_vgpr11
	s_branch .LBB8_1337
.LBB8_1322:
	s_mov_b32 s14, -1
	s_mov_b32 s13, 0
	s_mov_b32 s9, 0
                                        ; implicit-def: $vgpr10_vgpr11
	s_branch .LBB8_1332
.LBB8_1323:
	s_or_b32 s1, s1, exec_lo
	s_trap 2
	s_cbranch_execz .LBB8_1258
	s_branch .LBB8_1259
.LBB8_1324:
	s_mov_b32 s14, -1
	s_mov_b32 s13, 0
	s_mov_b32 s9, 0
	s_branch .LBB8_1326
.LBB8_1325:
	s_mov_b32 s9, -1
	s_mov_b32 s13, 0
.LBB8_1326:
                                        ; implicit-def: $vgpr10_vgpr11
.LBB8_1327:
	s_and_b32 vcc_lo, exec_lo, s14
	s_cbranch_vccz .LBB8_1331
; %bb.1328:
	s_cmp_eq_u32 s0, 44
	s_cbranch_scc0 .LBB8_1330
; %bb.1329:
	global_load_u8 v3, v[6:7], off
	s_mov_b32 s9, 0
	s_mov_b32 s13, -1
	s_wait_loadcnt 0x0
	v_cmp_ne_u32_e32 vcc_lo, 0xff, v3
	v_lshlrev_b32_e32 v8, 23, v3
	s_delay_alu instid0(VALU_DEP_1) | instskip(NEXT) | instid1(VALU_DEP_1)
	v_cvt_f64_f32_e32 v[8:9], v8
	v_cndmask_b32_e32 v8, 0x20000000, v8, vcc_lo
	s_delay_alu instid0(VALU_DEP_2) | instskip(SKIP_1) | instid1(VALU_DEP_2)
	v_cndmask_b32_e32 v9, 0x7ff80000, v9, vcc_lo
	v_cmp_ne_u32_e32 vcc_lo, 0, v3
	v_cndmask_b32_e32 v11, 0x38000000, v9, vcc_lo
	s_delay_alu instid0(VALU_DEP_4)
	v_cndmask_b32_e32 v10, 0, v8, vcc_lo
	s_branch .LBB8_1331
.LBB8_1330:
	s_mov_b32 s9, -1
                                        ; implicit-def: $vgpr10_vgpr11
.LBB8_1331:
	s_mov_b32 s14, 0
.LBB8_1332:
	s_delay_alu instid0(SALU_CYCLE_1)
	s_and_b32 vcc_lo, exec_lo, s14
	s_cbranch_vccz .LBB8_1336
; %bb.1333:
	s_cmp_eq_u32 s0, 29
	s_cbranch_scc0 .LBB8_1335
; %bb.1334:
	global_load_b64 v[8:9], v[6:7], off
	s_mov_b32 s9, 0
	s_mov_b32 s13, -1
	s_mov_b32 s14, 0
	s_wait_loadcnt 0x0
	v_cvt_f64_u32_e32 v[10:11], v9
	v_cvt_f64_u32_e32 v[8:9], v8
	s_delay_alu instid0(VALU_DEP_2) | instskip(NEXT) | instid1(VALU_DEP_1)
	v_ldexp_f64 v[10:11], v[10:11], 32
	v_add_f64_e32 v[10:11], v[10:11], v[8:9]
	s_branch .LBB8_1337
.LBB8_1335:
	s_mov_b32 s9, -1
                                        ; implicit-def: $vgpr10_vgpr11
.LBB8_1336:
	s_mov_b32 s14, 0
.LBB8_1337:
	s_delay_alu instid0(SALU_CYCLE_1)
	s_and_b32 vcc_lo, exec_lo, s14
	s_cbranch_vccz .LBB8_1355
; %bb.1338:
	s_cmp_lt_i32 s0, 27
	s_cbranch_scc1 .LBB8_1341
; %bb.1339:
	s_cmp_gt_i32 s0, 27
	s_cbranch_scc0 .LBB8_1342
; %bb.1340:
	global_load_b32 v3, v[6:7], off
	s_mov_b32 s13, 0
	s_wait_loadcnt 0x0
	v_cvt_f64_u32_e32 v[10:11], v3
	s_branch .LBB8_1343
.LBB8_1341:
	s_mov_b32 s13, -1
                                        ; implicit-def: $vgpr10_vgpr11
	s_branch .LBB8_1346
.LBB8_1342:
	s_mov_b32 s13, -1
                                        ; implicit-def: $vgpr10_vgpr11
.LBB8_1343:
	s_delay_alu instid0(SALU_CYCLE_1)
	s_and_not1_b32 vcc_lo, exec_lo, s13
	s_cbranch_vccnz .LBB8_1345
; %bb.1344:
	global_load_u16 v3, v[6:7], off
	s_wait_loadcnt 0x0
	v_cvt_f64_u32_e32 v[10:11], v3
.LBB8_1345:
	s_mov_b32 s13, 0
.LBB8_1346:
	s_delay_alu instid0(SALU_CYCLE_1)
	s_and_not1_b32 vcc_lo, exec_lo, s13
	s_cbranch_vccnz .LBB8_1354
; %bb.1347:
	global_load_u8 v3, v[6:7], off
	s_mov_b32 s13, 0
	s_mov_b32 s14, exec_lo
	s_wait_loadcnt 0x0
	v_cmpx_lt_i16_e32 0x7f, v3
	s_xor_b32 s14, exec_lo, s14
	s_cbranch_execz .LBB8_1368
; %bb.1348:
	s_mov_b32 s13, -1
	s_mov_b32 s15, exec_lo
	v_cmpx_eq_u16_e32 0x80, v3
; %bb.1349:
	s_xor_b32 s13, exec_lo, -1
; %bb.1350:
	s_or_b32 exec_lo, exec_lo, s15
	s_delay_alu instid0(SALU_CYCLE_1)
	s_and_b32 s13, s13, exec_lo
	s_or_saveexec_b32 s14, s14
	v_mov_b64_e32 v[10:11], 0x7ff8000020000000
	s_xor_b32 exec_lo, exec_lo, s14
	s_cbranch_execnz .LBB8_1369
.LBB8_1351:
	s_or_b32 exec_lo, exec_lo, s14
	s_and_saveexec_b32 s14, s13
	s_cbranch_execz .LBB8_1353
.LBB8_1352:
	v_and_b32_e32 v8, 0xffff, v3
	s_delay_alu instid0(VALU_DEP_1) | instskip(SKIP_1) | instid1(VALU_DEP_2)
	v_and_b32_e32 v9, 7, v8
	v_bfe_u32 v12, v8, 3, 4
	v_clz_i32_u32_e32 v10, v9
	s_delay_alu instid0(VALU_DEP_2) | instskip(NEXT) | instid1(VALU_DEP_2)
	v_cmp_eq_u32_e32 vcc_lo, 0, v12
	v_min_u32_e32 v10, 32, v10
	s_delay_alu instid0(VALU_DEP_1) | instskip(NEXT) | instid1(VALU_DEP_1)
	v_subrev_nc_u32_e32 v11, 28, v10
	v_dual_lshlrev_b32 v8, v11, v8 :: v_dual_sub_nc_u32 v10, 29, v10
	s_delay_alu instid0(VALU_DEP_1) | instskip(NEXT) | instid1(VALU_DEP_1)
	v_dual_lshlrev_b32 v3, 24, v3 :: v_dual_bitop2_b32 v8, 7, v8 bitop3:0x40
	v_dual_cndmask_b32 v10, v12, v10, vcc_lo :: v_dual_cndmask_b32 v8, v9, v8, vcc_lo
	s_delay_alu instid0(VALU_DEP_2) | instskip(NEXT) | instid1(VALU_DEP_2)
	v_and_b32_e32 v3, 0x80000000, v3
	v_lshl_add_u32 v9, v10, 23, 0x3b800000
	s_delay_alu instid0(VALU_DEP_3) | instskip(NEXT) | instid1(VALU_DEP_1)
	v_lshlrev_b32_e32 v8, 20, v8
	v_or3_b32 v3, v3, v9, v8
	s_delay_alu instid0(VALU_DEP_1)
	v_cvt_f64_f32_e32 v[10:11], v3
.LBB8_1353:
	s_or_b32 exec_lo, exec_lo, s14
.LBB8_1354:
	s_mov_b32 s13, -1
.LBB8_1355:
	s_mov_b32 s14, 0
.LBB8_1356:
	s_delay_alu instid0(SALU_CYCLE_1)
	s_and_b32 vcc_lo, exec_lo, s14
	s_cbranch_vccz .LBB8_1389
; %bb.1357:
	s_cmp_gt_i32 s0, 22
	s_cbranch_scc0 .LBB8_1367
; %bb.1358:
	s_cmp_lt_i32 s0, 24
	s_cbranch_scc1 .LBB8_1370
; %bb.1359:
	s_cmp_gt_i32 s0, 24
	s_cbranch_scc0 .LBB8_1371
; %bb.1360:
	global_load_u8 v3, v[6:7], off
	s_mov_b32 s13, exec_lo
	s_wait_loadcnt 0x0
	v_cmpx_lt_i16_e32 0x7f, v3
	s_xor_b32 s13, exec_lo, s13
	s_cbranch_execz .LBB8_1383
; %bb.1361:
	s_mov_b32 s12, -1
	s_mov_b32 s14, exec_lo
	v_cmpx_eq_u16_e32 0x80, v3
; %bb.1362:
	s_xor_b32 s12, exec_lo, -1
; %bb.1363:
	s_or_b32 exec_lo, exec_lo, s14
	s_delay_alu instid0(SALU_CYCLE_1)
	s_and_b32 s12, s12, exec_lo
	s_or_saveexec_b32 s13, s13
	v_mov_b64_e32 v[10:11], 0x7ff8000020000000
	s_xor_b32 exec_lo, exec_lo, s13
	s_cbranch_execnz .LBB8_1384
.LBB8_1364:
	s_or_b32 exec_lo, exec_lo, s13
	s_and_saveexec_b32 s13, s12
	s_cbranch_execz .LBB8_1366
.LBB8_1365:
	v_and_b32_e32 v8, 0xffff, v3
	s_delay_alu instid0(VALU_DEP_1) | instskip(SKIP_1) | instid1(VALU_DEP_2)
	v_and_b32_e32 v9, 3, v8
	v_bfe_u32 v12, v8, 2, 5
	v_clz_i32_u32_e32 v10, v9
	s_delay_alu instid0(VALU_DEP_2) | instskip(NEXT) | instid1(VALU_DEP_2)
	v_cmp_eq_u32_e32 vcc_lo, 0, v12
	v_min_u32_e32 v10, 32, v10
	s_delay_alu instid0(VALU_DEP_1) | instskip(NEXT) | instid1(VALU_DEP_1)
	v_subrev_nc_u32_e32 v11, 29, v10
	v_dual_lshlrev_b32 v8, v11, v8 :: v_dual_sub_nc_u32 v10, 30, v10
	s_delay_alu instid0(VALU_DEP_1) | instskip(NEXT) | instid1(VALU_DEP_1)
	v_dual_lshlrev_b32 v3, 24, v3 :: v_dual_bitop2_b32 v8, 3, v8 bitop3:0x40
	v_dual_cndmask_b32 v10, v12, v10, vcc_lo :: v_dual_cndmask_b32 v8, v9, v8, vcc_lo
	s_delay_alu instid0(VALU_DEP_2) | instskip(NEXT) | instid1(VALU_DEP_2)
	v_and_b32_e32 v3, 0x80000000, v3
	v_lshl_add_u32 v9, v10, 23, 0x37800000
	s_delay_alu instid0(VALU_DEP_3) | instskip(NEXT) | instid1(VALU_DEP_1)
	v_lshlrev_b32_e32 v8, 21, v8
	v_or3_b32 v3, v3, v9, v8
	s_delay_alu instid0(VALU_DEP_1)
	v_cvt_f64_f32_e32 v[10:11], v3
.LBB8_1366:
	s_or_b32 exec_lo, exec_lo, s13
	s_mov_b32 s12, 0
	s_branch .LBB8_1372
.LBB8_1367:
	s_mov_b32 s12, -1
                                        ; implicit-def: $vgpr10_vgpr11
	s_branch .LBB8_1378
.LBB8_1368:
	s_or_saveexec_b32 s14, s14
	v_mov_b64_e32 v[10:11], 0x7ff8000020000000
	s_xor_b32 exec_lo, exec_lo, s14
	s_cbranch_execz .LBB8_1351
.LBB8_1369:
	v_cmp_ne_u16_e32 vcc_lo, 0, v3
	v_mov_b64_e32 v[10:11], 0
	s_and_not1_b32 s13, s13, exec_lo
	s_and_b32 s15, vcc_lo, exec_lo
	s_delay_alu instid0(SALU_CYCLE_1)
	s_or_b32 s13, s13, s15
	s_or_b32 exec_lo, exec_lo, s14
	s_and_saveexec_b32 s14, s13
	s_cbranch_execnz .LBB8_1352
	s_branch .LBB8_1353
.LBB8_1370:
	s_mov_b32 s12, -1
                                        ; implicit-def: $vgpr10_vgpr11
	s_branch .LBB8_1375
.LBB8_1371:
	s_mov_b32 s12, -1
                                        ; implicit-def: $vgpr10_vgpr11
.LBB8_1372:
	s_delay_alu instid0(SALU_CYCLE_1)
	s_and_b32 vcc_lo, exec_lo, s12
	s_cbranch_vccz .LBB8_1374
; %bb.1373:
	global_load_u8 v3, v[6:7], off
	s_wait_loadcnt 0x0
	v_lshlrev_b32_e32 v3, 24, v3
	s_delay_alu instid0(VALU_DEP_1) | instskip(NEXT) | instid1(VALU_DEP_1)
	v_and_b32_e32 v8, 0x7f000000, v3
	v_clz_i32_u32_e32 v9, v8
	v_cmp_ne_u32_e32 vcc_lo, 0, v8
	v_add_nc_u32_e32 v11, 0x1000000, v8
	s_delay_alu instid0(VALU_DEP_3) | instskip(NEXT) | instid1(VALU_DEP_1)
	v_min_u32_e32 v9, 32, v9
	v_sub_nc_u32_e64 v9, v9, 4 clamp
	s_delay_alu instid0(VALU_DEP_1) | instskip(NEXT) | instid1(VALU_DEP_1)
	v_dual_lshlrev_b32 v10, v9, v8 :: v_dual_lshlrev_b32 v9, 23, v9
	v_lshrrev_b32_e32 v10, 4, v10
	s_delay_alu instid0(VALU_DEP_1) | instskip(NEXT) | instid1(VALU_DEP_1)
	v_dual_sub_nc_u32 v9, v10, v9 :: v_dual_ashrrev_i32 v10, 8, v11
	v_add_nc_u32_e32 v9, 0x3c000000, v9
	s_delay_alu instid0(VALU_DEP_1) | instskip(NEXT) | instid1(VALU_DEP_1)
	v_and_or_b32 v9, 0x7f800000, v10, v9
	v_cndmask_b32_e32 v8, 0, v9, vcc_lo
	s_delay_alu instid0(VALU_DEP_1) | instskip(NEXT) | instid1(VALU_DEP_1)
	v_and_or_b32 v3, 0x80000000, v3, v8
	v_cvt_f64_f32_e32 v[10:11], v3
.LBB8_1374:
	s_mov_b32 s12, 0
.LBB8_1375:
	s_delay_alu instid0(SALU_CYCLE_1)
	s_and_not1_b32 vcc_lo, exec_lo, s12
	s_cbranch_vccnz .LBB8_1377
; %bb.1376:
	global_load_u8 v3, v[6:7], off
	s_wait_loadcnt 0x0
	v_lshlrev_b32_e32 v8, 25, v3
	v_lshlrev_b16 v3, 8, v3
	s_delay_alu instid0(VALU_DEP_1) | instskip(SKIP_1) | instid1(VALU_DEP_2)
	v_and_or_b32 v10, 0x7f00, v3, 0.5
	v_bfe_i32 v3, v3, 0, 16
	v_dual_add_f32 v10, -0.5, v10 :: v_dual_lshrrev_b32 v9, 4, v8
	v_cmp_gt_u32_e32 vcc_lo, 0x8000000, v8
	s_delay_alu instid0(VALU_DEP_2) | instskip(NEXT) | instid1(VALU_DEP_1)
	v_or_b32_e32 v9, 0x70000000, v9
	v_mul_f32_e32 v9, 0x7800000, v9
	s_delay_alu instid0(VALU_DEP_1) | instskip(NEXT) | instid1(VALU_DEP_1)
	v_cndmask_b32_e32 v8, v9, v10, vcc_lo
	v_and_or_b32 v3, 0x80000000, v3, v8
	s_delay_alu instid0(VALU_DEP_1)
	v_cvt_f64_f32_e32 v[10:11], v3
.LBB8_1377:
	s_mov_b32 s12, 0
	s_mov_b32 s13, -1
.LBB8_1378:
	s_and_not1_b32 vcc_lo, exec_lo, s12
	s_mov_b32 s12, 0
	s_cbranch_vccnz .LBB8_1389
; %bb.1379:
	s_cmp_gt_i32 s0, 14
	s_cbranch_scc0 .LBB8_1382
; %bb.1380:
	s_cmp_eq_u32 s0, 15
	s_cbranch_scc0 .LBB8_1385
; %bb.1381:
	global_load_u16 v3, v[6:7], off
	s_mov_b32 s9, 0
	s_mov_b32 s13, -1
	s_wait_loadcnt 0x0
	v_lshlrev_b32_e32 v3, 16, v3
	s_delay_alu instid0(VALU_DEP_1)
	v_cvt_f64_f32_e32 v[10:11], v3
	s_branch .LBB8_1387
.LBB8_1382:
	s_mov_b32 s12, -1
	s_branch .LBB8_1386
.LBB8_1383:
	s_or_saveexec_b32 s13, s13
	v_mov_b64_e32 v[10:11], 0x7ff8000020000000
	s_xor_b32 exec_lo, exec_lo, s13
	s_cbranch_execz .LBB8_1364
.LBB8_1384:
	v_cmp_ne_u16_e32 vcc_lo, 0, v3
	v_mov_b64_e32 v[10:11], 0
	s_and_not1_b32 s12, s12, exec_lo
	s_and_b32 s14, vcc_lo, exec_lo
	s_delay_alu instid0(SALU_CYCLE_1)
	s_or_b32 s12, s12, s14
	s_or_b32 exec_lo, exec_lo, s13
	s_and_saveexec_b32 s13, s12
	s_cbranch_execnz .LBB8_1365
	s_branch .LBB8_1366
.LBB8_1385:
	s_mov_b32 s9, -1
.LBB8_1386:
                                        ; implicit-def: $vgpr10_vgpr11
.LBB8_1387:
	s_and_b32 vcc_lo, exec_lo, s12
	s_mov_b32 s12, 0
	s_cbranch_vccz .LBB8_1389
; %bb.1388:
	s_cmp_lg_u32 s0, 11
	s_mov_b32 s12, -1
	s_cselect_b32 s9, -1, 0
.LBB8_1389:
	s_delay_alu instid0(SALU_CYCLE_1)
	s_and_b32 vcc_lo, exec_lo, s9
	s_cbranch_vccnz .LBB8_1456
; %bb.1390:
	s_and_not1_b32 vcc_lo, exec_lo, s12
	s_cbranch_vccnz .LBB8_1392
.LBB8_1391:
	global_load_u8 v3, v[6:7], off
	v_mov_b32_e32 v10, 0
	s_mov_b32 s13, -1
	s_wait_loadcnt 0x0
	v_cmp_ne_u16_e32 vcc_lo, 0, v3
	v_cndmask_b32_e64 v11, 0, 0x3ff00000, vcc_lo
.LBB8_1392:
	s_branch .LBB8_1319
.LBB8_1393:
	s_cmp_lt_i32 s0, 5
	s_cbranch_scc1 .LBB8_1398
; %bb.1394:
	s_cmp_lt_i32 s0, 8
	s_cbranch_scc1 .LBB8_1399
; %bb.1395:
	;; [unrolled: 3-line block ×3, first 2 shown]
	s_cmp_gt_i32 s0, 9
	s_cbranch_scc0 .LBB8_1401
; %bb.1397:
	global_load_b64 v[10:11], v[6:7], off
	s_mov_b32 s9, 0
	s_branch .LBB8_1402
.LBB8_1398:
	s_mov_b32 s9, -1
                                        ; implicit-def: $vgpr10_vgpr11
	s_branch .LBB8_1420
.LBB8_1399:
	s_mov_b32 s9, -1
                                        ; implicit-def: $vgpr10_vgpr11
	s_branch .LBB8_1408
.LBB8_1400:
	s_mov_b32 s9, -1
                                        ; implicit-def: $vgpr10_vgpr11
	s_branch .LBB8_1405
.LBB8_1401:
	s_mov_b32 s9, -1
                                        ; implicit-def: $vgpr10_vgpr11
.LBB8_1402:
	s_delay_alu instid0(SALU_CYCLE_1)
	s_and_not1_b32 vcc_lo, exec_lo, s9
	s_cbranch_vccnz .LBB8_1404
; %bb.1403:
	global_load_b32 v3, v[6:7], off
	s_wait_loadcnt 0x0
	v_cvt_f64_f32_e32 v[10:11], v3
.LBB8_1404:
	s_mov_b32 s9, 0
.LBB8_1405:
	s_delay_alu instid0(SALU_CYCLE_1)
	s_and_not1_b32 vcc_lo, exec_lo, s9
	s_cbranch_vccnz .LBB8_1407
; %bb.1406:
	global_load_b32 v3, v[6:7], off
	s_wait_loadcnt 0x0
	v_cvt_f32_f16_e32 v3, v3
	s_delay_alu instid0(VALU_DEP_1)
	v_cvt_f64_f32_e32 v[10:11], v3
.LBB8_1407:
	s_mov_b32 s9, 0
.LBB8_1408:
	s_delay_alu instid0(SALU_CYCLE_1)
	s_and_not1_b32 vcc_lo, exec_lo, s9
	s_cbranch_vccnz .LBB8_1419
; %bb.1409:
	s_cmp_lt_i32 s0, 6
	s_cbranch_scc1 .LBB8_1412
; %bb.1410:
	s_cmp_gt_i32 s0, 6
	s_cbranch_scc0 .LBB8_1413
; %bb.1411:
	s_wait_loadcnt 0x0
	global_load_b64 v[10:11], v[6:7], off
	s_mov_b32 s9, 0
	s_branch .LBB8_1414
.LBB8_1412:
	s_mov_b32 s9, -1
                                        ; implicit-def: $vgpr10_vgpr11
	s_branch .LBB8_1417
.LBB8_1413:
	s_mov_b32 s9, -1
                                        ; implicit-def: $vgpr10_vgpr11
.LBB8_1414:
	s_delay_alu instid0(SALU_CYCLE_1)
	s_and_not1_b32 vcc_lo, exec_lo, s9
	s_cbranch_vccnz .LBB8_1416
; %bb.1415:
	global_load_b32 v3, v[6:7], off
	s_wait_loadcnt 0x0
	v_cvt_f64_f32_e32 v[10:11], v3
.LBB8_1416:
	s_mov_b32 s9, 0
.LBB8_1417:
	s_delay_alu instid0(SALU_CYCLE_1)
	s_and_not1_b32 vcc_lo, exec_lo, s9
	s_cbranch_vccnz .LBB8_1419
; %bb.1418:
	global_load_u16 v3, v[6:7], off
	s_wait_loadcnt 0x0
	v_cvt_f32_f16_e32 v3, v3
	s_delay_alu instid0(VALU_DEP_1)
	v_cvt_f64_f32_e32 v[10:11], v3
.LBB8_1419:
	s_mov_b32 s9, 0
.LBB8_1420:
	s_delay_alu instid0(SALU_CYCLE_1)
	s_and_not1_b32 vcc_lo, exec_lo, s9
	s_cbranch_vccnz .LBB8_1440
; %bb.1421:
	s_cmp_lt_i32 s0, 2
	s_cbranch_scc1 .LBB8_1425
; %bb.1422:
	s_cmp_lt_i32 s0, 3
	s_cbranch_scc1 .LBB8_1426
; %bb.1423:
	s_cmp_gt_i32 s0, 3
	s_cbranch_scc0 .LBB8_1427
; %bb.1424:
	global_load_b64 v[8:9], v[6:7], off
	s_mov_b32 s9, 0
	s_wait_loadcnt 0x0
	v_cvt_f64_i32_e32 v[10:11], v9
	v_cvt_f64_u32_e32 v[8:9], v8
	s_delay_alu instid0(VALU_DEP_2) | instskip(NEXT) | instid1(VALU_DEP_1)
	v_ldexp_f64 v[10:11], v[10:11], 32
	v_add_f64_e32 v[10:11], v[10:11], v[8:9]
	s_branch .LBB8_1428
.LBB8_1425:
	s_mov_b32 s9, -1
                                        ; implicit-def: $vgpr10_vgpr11
	s_branch .LBB8_1434
.LBB8_1426:
	s_mov_b32 s9, -1
                                        ; implicit-def: $vgpr10_vgpr11
	s_branch .LBB8_1431
.LBB8_1427:
	s_mov_b32 s9, -1
                                        ; implicit-def: $vgpr10_vgpr11
.LBB8_1428:
	s_delay_alu instid0(SALU_CYCLE_1)
	s_and_not1_b32 vcc_lo, exec_lo, s9
	s_cbranch_vccnz .LBB8_1430
; %bb.1429:
	global_load_b32 v3, v[6:7], off
	s_wait_loadcnt 0x0
	v_cvt_f64_i32_e32 v[10:11], v3
.LBB8_1430:
	s_mov_b32 s9, 0
.LBB8_1431:
	s_delay_alu instid0(SALU_CYCLE_1)
	s_and_not1_b32 vcc_lo, exec_lo, s9
	s_cbranch_vccnz .LBB8_1433
; %bb.1432:
	global_load_i16 v3, v[6:7], off
	s_wait_loadcnt 0x0
	v_cvt_f64_i32_e32 v[10:11], v3
.LBB8_1433:
	s_mov_b32 s9, 0
.LBB8_1434:
	s_delay_alu instid0(SALU_CYCLE_1)
	s_and_not1_b32 vcc_lo, exec_lo, s9
	s_cbranch_vccnz .LBB8_1440
; %bb.1435:
	s_cmp_gt_i32 s0, 0
	s_mov_b32 s9, 0
	s_cbranch_scc0 .LBB8_1437
; %bb.1436:
	global_load_i8 v3, v[6:7], off
	s_wait_loadcnt 0x0
	v_cvt_f64_i32_e32 v[10:11], v3
	s_branch .LBB8_1438
.LBB8_1437:
	s_mov_b32 s9, -1
                                        ; implicit-def: $vgpr10_vgpr11
.LBB8_1438:
	s_delay_alu instid0(SALU_CYCLE_1)
	s_and_not1_b32 vcc_lo, exec_lo, s9
	s_cbranch_vccnz .LBB8_1440
; %bb.1439:
	global_load_u8 v3, v[6:7], off
	s_wait_loadcnt 0x0
	v_cvt_f64_u32_e32 v[10:11], v3
.LBB8_1440:
.LBB8_1441:
	s_wait_loadcnt 0x0
	s_delay_alu instid0(VALU_DEP_1) | instskip(SKIP_2) | instid1(SALU_CYCLE_1)
	v_cmp_ge_f64_e64 s9, 0x40200000, |v[10:11]|
                                        ; implicit-def: $vgpr8_vgpr9
	s_wait_xcnt 0x0
	s_and_saveexec_b32 s12, s9
	s_xor_b32 s9, exec_lo, s12
	s_cbranch_execz .LBB8_1443
; %bb.1442:
	v_fma_f64 v[6:7], |v[10:11]|, 0.5, -2.0
	s_mov_b64 s[12:13], 0xbc545cb72134d0ef
	s_delay_alu instid0(VALU_DEP_1) | instid1(SALU_CYCLE_1)
	v_fmaak_f64 v[8:9], s[12:13], v[6:7], 0x3c833362977da589
	s_mov_b64 s[12:13], 0x3ff71547652b82fe
	s_delay_alu instid0(SALU_CYCLE_1) | instskip(SKIP_1) | instid1(VALU_DEP_2)
	v_mul_f64_e64 v[16:17], |v[10:11]|, s[12:13]
	s_mov_b64 s[12:13], 0xbfe62e42fefa39ef
	v_fmaak_f64 v[12:13], v[6:7], v[8:9], 0x3c545cb72134d0ef
	s_delay_alu instid0(VALU_DEP_1) | instskip(NEXT) | instid1(VALU_DEP_3)
	v_add_f64_e32 v[12:13], 0xbcb184eb721ebbb4, v[12:13]
	v_rndne_f64_e32 v[16:17], v[16:17]
	s_delay_alu instid0(VALU_DEP_2) | instskip(NEXT) | instid1(VALU_DEP_2)
	v_fma_f64 v[8:9], v[6:7], v[12:13], -v[8:9]
	v_fma_f64 v[10:11], v[16:17], s[12:13], |v[10:11]|
	s_mov_b64 s[12:13], 0x3e5ade156a5dcb37
	v_cvt_i32_f64_e32 v3, v[16:17]
	s_delay_alu instid0(VALU_DEP_3) | instskip(NEXT) | instid1(VALU_DEP_3)
	v_add_f64_e32 v[8:9], 0x3cdee6d893f65eba, v[8:9]
	v_fmamk_f64 v[10:11], v[16:17], 0xbc7abc9e3b39803f, v[10:11]
	s_delay_alu instid0(VALU_DEP_1) | instskip(NEXT) | instid1(VALU_DEP_3)
	v_fmaak_f64 v[18:19], s[12:13], v[10:11], 0x3e928af3fca7ab0c
	v_fma_f64 v[12:13], v[6:7], v[8:9], -v[12:13]
	s_delay_alu instid0(VALU_DEP_2) | instskip(NEXT) | instid1(VALU_DEP_1)
	v_fmaak_f64 v[18:19], v[10:11], v[18:19], 0x3ec71dee623fde64
	v_fmaak_f64 v[18:19], v[10:11], v[18:19], 0x3efa01997c89e6b0
	s_delay_alu instid0(VALU_DEP_1) | instskip(NEXT) | instid1(VALU_DEP_1)
	v_fmaak_f64 v[18:19], v[10:11], v[18:19], 0x3f2a01a014761f6e
	v_fmaak_f64 v[18:19], v[10:11], v[18:19], 0x3f56c16c1852b7b0
	v_add_f64_e32 v[12:13], 0xbd0a5022c297fbeb, v[12:13]
	s_delay_alu instid0(VALU_DEP_1) | instskip(NEXT) | instid1(VALU_DEP_1)
	v_fma_f64 v[8:9], v[6:7], v[12:13], -v[8:9]
	v_add_f64_e32 v[8:9], 0x3d359b464b262627, v[8:9]
	s_delay_alu instid0(VALU_DEP_1) | instskip(NEXT) | instid1(VALU_DEP_1)
	v_fma_f64 v[12:13], v[6:7], v[8:9], -v[12:13]
	;; [unrolled: 3-line block ×24, first 2 shown]
	v_add_f64_e32 v[12:13], 0xbfd37febc057cd8d, v[12:13]
	s_delay_alu instid0(VALU_DEP_1) | instskip(SKIP_1) | instid1(VALU_DEP_1)
	v_fma_f64 v[6:7], v[6:7], v[12:13], -v[8:9]
	v_fmaak_f64 v[12:13], v[10:11], v[18:19], 0x3f81111111122322
	v_fmaak_f64 v[12:13], v[10:11], v[12:13], 0x3fa55555555502a1
	s_delay_alu instid0(VALU_DEP_1) | instskip(NEXT) | instid1(VALU_DEP_1)
	v_fmaak_f64 v[12:13], v[10:11], v[12:13], 0x3fc5555555555511
	v_fmaak_f64 v[12:13], v[10:11], v[12:13], 0x3fe000000000000b
	s_delay_alu instid0(VALU_DEP_1) | instskip(SKIP_1) | instid1(VALU_DEP_2)
	v_fma_f64 v[12:13], v[10:11], v[12:13], 1.0
	v_add_f64_e32 v[6:7], 0x3fe5a84e9035a22a, v[6:7]
	v_fma_f64 v[10:11], v[10:11], v[12:13], 1.0
	s_delay_alu instid0(VALU_DEP_2) | instskip(NEXT) | instid1(VALU_DEP_2)
	v_add_f64_e64 v[6:7], v[6:7], -v[8:9]
	v_ldexp_f64 v[8:9], v[10:11], v3
                                        ; implicit-def: $vgpr10_vgpr11
	s_delay_alu instid0(VALU_DEP_2) | instskip(NEXT) | instid1(VALU_DEP_1)
	v_mul_f64_e32 v[6:7], 0.5, v[6:7]
	v_mul_f64_e32 v[8:9], v[8:9], v[6:7]
.LBB8_1443:
	s_and_not1_saveexec_b32 s9, s9
	s_cbranch_execz .LBB8_1445
; %bb.1444:
	v_and_b32_e32 v7, 0x7fffffff, v11
	v_mov_b32_e32 v6, v10
	s_mov_b64 s[12:13], 0xbc60adb754ca8b19
	v_cmp_gt_f64_e64 s14, 0x10000000, |v[10:11]|
	s_delay_alu instid0(VALU_DEP_2) | instskip(SKIP_1) | instid1(VALU_DEP_3)
	v_div_scale_f64 v[8:9], null, v[6:7], v[6:7], 0x40400000
	v_div_scale_f64 v[6:7], vcc_lo, 0x40400000, v[6:7], 0x40400000
	v_cndmask_b32_e64 v3, 0, 0x100, s14
	s_delay_alu instid0(VALU_DEP_3) | instskip(SKIP_1) | instid1(TRANS32_DEP_1)
	v_rcp_f64_e32 v[12:13], v[8:9]
	v_nop
	v_fma_f64 v[16:17], -v[8:9], v[12:13], 1.0
	s_delay_alu instid0(VALU_DEP_1) | instskip(NEXT) | instid1(VALU_DEP_1)
	v_fmac_f64_e32 v[12:13], v[12:13], v[16:17]
	v_fma_f64 v[16:17], -v[8:9], v[12:13], 1.0
	s_delay_alu instid0(VALU_DEP_1) | instskip(NEXT) | instid1(VALU_DEP_1)
	v_fmac_f64_e32 v[12:13], v[12:13], v[16:17]
	v_mul_f64_e32 v[16:17], v[6:7], v[12:13]
	s_delay_alu instid0(VALU_DEP_1) | instskip(NEXT) | instid1(VALU_DEP_1)
	v_fma_f64 v[6:7], -v[8:9], v[16:17], v[6:7]
	v_div_fmas_f64 v[6:7], v[6:7], v[12:13], v[16:17]
	v_cmp_nlt_f64_e64 vcc_lo, 0x40900000, |v[10:11]|
	v_ldexp_f64 v[16:17], |v[10:11]|, v3
	s_delay_alu instid0(VALU_DEP_3) | instskip(NEXT) | instid1(VALU_DEP_2)
	v_div_fixup_f64 v[6:7], v[6:7], |v[10:11]|, 0x40400000
	v_rsq_f64_e32 v[20:21], v[16:17]
	s_delay_alu instid0(VALU_DEP_1) | instskip(NEXT) | instid1(TRANS32_DEP_1)
	v_add_f64_e32 v[6:7], -2.0, v[6:7]
	v_mul_f64_e32 v[22:23], v[16:17], v[20:21]
	v_mul_f64_e32 v[20:21], 0.5, v[20:21]
	s_delay_alu instid0(VALU_DEP_3) | instskip(SKIP_1) | instid1(SALU_CYCLE_1)
	v_fmaak_f64 v[8:9], s[12:13], v[6:7], 0xbc5646da66119130
	s_mov_b64 s[12:13], 0x3ff71547652b82fe
	v_mul_f64_e64 v[18:19], |v[10:11]|, s[12:13]
	s_mov_b64 s[12:13], 0xbfe62e42fefa39ef
	s_delay_alu instid0(VALU_DEP_2) | instskip(NEXT) | instid1(VALU_DEP_4)
	v_fmaak_f64 v[12:13], v[6:7], v[8:9], 0x3c60adb754ca8b19
	v_fma_f64 v[26:27], -v[20:21], v[22:23], 0.5
	s_delay_alu instid0(VALU_DEP_2) | instskip(NEXT) | instid1(VALU_DEP_4)
	v_add_f64_e32 v[12:13], 0x3c89be1812d98421, v[12:13]
	v_rndne_f64_e32 v[18:19], v[18:19]
	s_delay_alu instid0(VALU_DEP_3) | instskip(SKIP_1) | instid1(VALU_DEP_4)
	v_fmac_f64_e32 v[22:23], v[22:23], v[26:27]
	v_fmac_f64_e32 v[20:21], v[20:21], v[26:27]
	v_fma_f64 v[8:9], v[6:7], v[12:13], -v[8:9]
	s_delay_alu instid0(VALU_DEP_4) | instskip(SKIP_3) | instid1(VALU_DEP_4)
	v_fma_f64 v[24:25], v[18:19], s[12:13], |v[10:11]|
	s_mov_b64 s[12:13], 0x3e5ade156a5dcb37
	v_cvt_i32_f64_e32 v3, v[18:19]
	v_fma_f64 v[26:27], -v[22:23], v[22:23], v[16:17]
	v_add_f64_e32 v[8:9], 0x3c83f3dd076041cd, v[8:9]
	s_delay_alu instid0(VALU_DEP_4) | instskip(NEXT) | instid1(VALU_DEP_3)
	v_fmamk_f64 v[24:25], v[18:19], 0xbc7abc9e3b39803f, v[24:25]
	v_fmac_f64_e32 v[22:23], v[26:27], v[20:21]
	s_delay_alu instid0(VALU_DEP_2) | instskip(NEXT) | instid1(VALU_DEP_4)
	v_fmaak_f64 v[28:29], s[12:13], v[24:25], 0x3e928af3fca7ab0c
	v_fma_f64 v[12:13], v[6:7], v[8:9], -v[12:13]
	s_delay_alu instid0(VALU_DEP_2) | instskip(NEXT) | instid1(VALU_DEP_1)
	v_fmaak_f64 v[28:29], v[24:25], v[28:29], 0x3ec71dee623fde64
	v_fmaak_f64 v[28:29], v[24:25], v[28:29], 0x3efa01997c89e6b0
	s_delay_alu instid0(VALU_DEP_1) | instskip(NEXT) | instid1(VALU_DEP_1)
	v_fmaak_f64 v[28:29], v[24:25], v[28:29], 0x3f2a01a014761f6e
	v_fmaak_f64 v[28:29], v[24:25], v[28:29], 0x3f56c16c1852b7b0
	v_fma_f64 v[18:19], -v[22:23], v[22:23], v[16:17]
	s_delay_alu instid0(VALU_DEP_2) | instskip(SKIP_1) | instid1(VALU_DEP_3)
	v_fmaak_f64 v[28:29], v[24:25], v[28:29], 0x3f81111111122322
	v_add_f64_e32 v[12:13], 0xbcb4600babd21fe4, v[12:13]
	v_fmac_f64_e32 v[22:23], v[18:19], v[20:21]
	s_delay_alu instid0(VALU_DEP_2) | instskip(NEXT) | instid1(VALU_DEP_1)
	v_fma_f64 v[8:9], v[6:7], v[12:13], -v[8:9]
	v_add_f64_e32 v[8:9], 0xbcb8aee7d908de38, v[8:9]
	s_delay_alu instid0(VALU_DEP_1) | instskip(NEXT) | instid1(VALU_DEP_1)
	v_fma_f64 v[12:13], v[6:7], v[8:9], -v[12:13]
	v_add_f64_e32 v[12:13], 0x3cdfee7da3eafb1f, v[12:13]
	s_delay_alu instid0(VALU_DEP_1) | instskip(NEXT) | instid1(VALU_DEP_1)
	v_fma_f64 v[8:9], v[6:7], v[12:13], -v[8:9]
	v_add_f64_e32 v[8:9], 0x3cf12a919094e6d7, v[8:9]
	s_delay_alu instid0(VALU_DEP_1) | instskip(NEXT) | instid1(VALU_DEP_1)
	v_fma_f64 v[12:13], v[6:7], v[8:9], -v[12:13]
	v_add_f64_e32 v[12:13], 0xbd0583fe7e65629a, v[12:13]
	s_delay_alu instid0(VALU_DEP_1) | instskip(NEXT) | instid1(VALU_DEP_1)
	v_fma_f64 v[8:9], v[6:7], v[12:13], -v[8:9]
	v_add_f64_e32 v[8:9], 0xbd275d99cf68bb32, v[8:9]
	s_delay_alu instid0(VALU_DEP_1) | instskip(NEXT) | instid1(VALU_DEP_1)
	v_fma_f64 v[12:13], v[6:7], v[8:9], -v[12:13]
	v_add_f64_e32 v[12:13], 0x3d1156ff0d5fc545, v[12:13]
	s_delay_alu instid0(VALU_DEP_1) | instskip(NEXT) | instid1(VALU_DEP_1)
	v_fma_f64 v[8:9], v[6:7], v[12:13], -v[8:9]
	v_add_f64_e32 v[8:9], 0x3d5b1c8c6b83c073, v[8:9]
	s_delay_alu instid0(VALU_DEP_1) | instskip(NEXT) | instid1(VALU_DEP_1)
	v_fma_f64 v[12:13], v[6:7], v[8:9], -v[12:13]
	v_add_f64_e32 v[12:13], 0x3d694347fa268cec, v[12:13]
	s_delay_alu instid0(VALU_DEP_1) | instskip(NEXT) | instid1(VALU_DEP_1)
	v_fma_f64 v[8:9], v[6:7], v[12:13], -v[8:9]
	v_add_f64_e32 v[8:9], 0xbd7f904303178d66, v[8:9]
	s_delay_alu instid0(VALU_DEP_1) | instskip(NEXT) | instid1(VALU_DEP_1)
	v_fma_f64 v[12:13], v[6:7], v[8:9], -v[12:13]
	v_add_f64_e32 v[12:13], 0xbdad0fd7357e7bf2, v[12:13]
	s_delay_alu instid0(VALU_DEP_1) | instskip(NEXT) | instid1(VALU_DEP_1)
	v_fma_f64 v[8:9], v[6:7], v[12:13], -v[8:9]
	v_add_f64_e32 v[8:9], 0xbdc1511d08397425, v[8:9]
	s_delay_alu instid0(VALU_DEP_1) | instskip(NEXT) | instid1(VALU_DEP_1)
	v_fma_f64 v[12:13], v[6:7], v[8:9], -v[12:13]
	v_add_f64_e32 v[12:13], 0x3daa24feabe8004f, v[12:13]
	s_delay_alu instid0(VALU_DEP_1) | instskip(NEXT) | instid1(VALU_DEP_1)
	v_fma_f64 v[8:9], v[6:7], v[12:13], -v[8:9]
	v_add_f64_e32 v[8:9], 0x3e00f9ccc0f46f75, v[8:9]
	s_delay_alu instid0(VALU_DEP_1) | instskip(NEXT) | instid1(VALU_DEP_1)
	v_fma_f64 v[12:13], v[6:7], v[8:9], -v[12:13]
	v_add_f64_e32 v[12:13], 0x3e2d2c64a9225b87, v[12:13]
	s_delay_alu instid0(VALU_DEP_1) | instskip(NEXT) | instid1(VALU_DEP_1)
	v_fma_f64 v[8:9], v[6:7], v[12:13], -v[8:9]
	v_add_f64_e32 v[8:9], 0x3e58569280d6d56d, v[8:9]
	s_delay_alu instid0(VALU_DEP_1) | instskip(NEXT) | instid1(VALU_DEP_1)
	v_fma_f64 v[12:13], v[6:7], v[8:9], -v[12:13]
	v_add_f64_e32 v[12:13], 0x3e8b8007d9cd616e, v[12:13]
	s_delay_alu instid0(VALU_DEP_1) | instskip(NEXT) | instid1(VALU_DEP_1)
	v_fma_f64 v[8:9], v[6:7], v[12:13], -v[8:9]
	v_add_f64_e32 v[8:9], 0x3ec8412bc101c586, v[8:9]
	s_delay_alu instid0(VALU_DEP_1) | instskip(NEXT) | instid1(VALU_DEP_1)
	v_fma_f64 v[12:13], v[6:7], v[8:9], -v[12:13]
	v_add_f64_e32 v[12:13], 0x3f120fa378999e52, v[12:13]
	s_delay_alu instid0(VALU_DEP_1) | instskip(NEXT) | instid1(VALU_DEP_1)
	v_fma_f64 v[8:9], v[6:7], v[12:13], -v[8:9]
	v_add_f64_e32 v[8:9], 0x3f6b998ca2e59049, v[8:9]
	s_delay_alu instid0(VALU_DEP_1) | instskip(SKIP_1) | instid1(VALU_DEP_1)
	v_fma_f64 v[6:7], v[6:7], v[8:9], -v[12:13]
	v_fmaak_f64 v[8:9], v[24:25], v[28:29], 0x3fa55555555502a1
	v_fmaak_f64 v[8:9], v[24:25], v[8:9], 0x3fc5555555555511
	s_delay_alu instid0(VALU_DEP_1) | instskip(NEXT) | instid1(VALU_DEP_1)
	v_fmaak_f64 v[8:9], v[24:25], v[8:9], 0x3fe000000000000b
	v_fma_f64 v[8:9], v[24:25], v[8:9], 1.0
	v_add_f64_e32 v[6:7], 0x3fe9be62aca809cb, v[6:7]
	s_delay_alu instid0(VALU_DEP_2) | instskip(NEXT) | instid1(VALU_DEP_2)
	v_fma_f64 v[8:9], v[24:25], v[8:9], 1.0
	v_add_f64_e64 v[6:7], v[6:7], -v[12:13]
	s_delay_alu instid0(VALU_DEP_2) | instskip(SKIP_1) | instid1(VALU_DEP_1)
	v_ldexp_f64 v[8:9], v[8:9], v3
	v_cndmask_b32_e64 v3, 0, 0xffffff80, s14
	v_ldexp_f64 v[10:11], v[22:23], v3
	s_delay_alu instid0(VALU_DEP_3) | instskip(NEXT) | instid1(VALU_DEP_4)
	v_cndmask_b32_e32 v9, 0x7ff00000, v9, vcc_lo
	v_cndmask_b32_e32 v8, 0, v8, vcc_lo
	v_cmp_class_f64_e64 vcc_lo, v[16:17], 0x260
	v_mul_f64_e32 v[6:7], 0.5, v[6:7]
	s_delay_alu instid0(VALU_DEP_1) | instskip(SKIP_1) | instid1(VALU_DEP_1)
	v_dual_mul_f64 v[6:7], v[8:9], v[6:7] :: v_dual_cndmask_b32 v8, v10, v16, vcc_lo
	v_cndmask_b32_e32 v9, v11, v17, vcc_lo
	v_div_scale_f64 v[10:11], null, v[8:9], v[8:9], v[6:7]
	s_delay_alu instid0(VALU_DEP_1) | instskip(SKIP_1) | instid1(TRANS32_DEP_1)
	v_rcp_f64_e32 v[12:13], v[10:11]
	v_nop
	v_fma_f64 v[16:17], -v[10:11], v[12:13], 1.0
	s_delay_alu instid0(VALU_DEP_1) | instskip(NEXT) | instid1(VALU_DEP_1)
	v_fmac_f64_e32 v[12:13], v[12:13], v[16:17]
	v_fma_f64 v[16:17], -v[10:11], v[12:13], 1.0
	s_delay_alu instid0(VALU_DEP_1) | instskip(SKIP_1) | instid1(VALU_DEP_1)
	v_fmac_f64_e32 v[12:13], v[12:13], v[16:17]
	v_div_scale_f64 v[16:17], vcc_lo, v[6:7], v[8:9], v[6:7]
	v_mul_f64_e32 v[18:19], v[16:17], v[12:13]
	s_delay_alu instid0(VALU_DEP_1) | instskip(NEXT) | instid1(VALU_DEP_1)
	v_fma_f64 v[10:11], -v[10:11], v[18:19], v[16:17]
	v_div_fmas_f64 v[10:11], v[10:11], v[12:13], v[18:19]
	s_delay_alu instid0(VALU_DEP_1)
	v_div_fixup_f64 v[8:9], v[10:11], v[8:9], v[6:7]
.LBB8_1445:
	s_or_b32 exec_lo, exec_lo, s9
	v_add_nc_u32_e32 v2, s3, v2
	s_cmp_lt_i32 s0, 11
	s_delay_alu instid0(VALU_DEP_1) | instskip(NEXT) | instid1(VALU_DEP_1)
	v_ashrrev_i32_e32 v3, 31, v2
	v_add_nc_u64_e32 v[2:3], s[6:7], v[2:3]
	s_cbranch_scc1 .LBB8_1452
; %bb.1446:
	s_cmp_gt_i32 s0, 25
	s_mov_b32 s6, 0
	s_cbranch_scc0 .LBB8_1453
; %bb.1447:
	s_cmp_gt_i32 s0, 28
	s_cbranch_scc0 .LBB8_1454
; %bb.1448:
	s_cmp_gt_i32 s0, 43
	;; [unrolled: 3-line block ×3, first 2 shown]
	s_cbranch_scc0 .LBB8_1457
; %bb.1450:
	s_cmp_eq_u32 s0, 46
	s_mov_b32 s9, 0
	s_cbranch_scc0 .LBB8_1458
; %bb.1451:
	global_load_b32 v6, v[2:3], off
	s_mov_b32 s3, 0
	s_mov_b32 s7, -1
	s_wait_loadcnt 0x0
	v_lshlrev_b32_e32 v6, 16, v6
	s_delay_alu instid0(VALU_DEP_1)
	v_cvt_f64_f32_e32 v[6:7], v6
	s_branch .LBB8_1460
.LBB8_1452:
	s_mov_b32 s3, -1
	s_mov_b32 s7, 0
                                        ; implicit-def: $vgpr6_vgpr7
	s_branch .LBB8_1526
.LBB8_1453:
	s_mov_b32 s9, -1
	s_mov_b32 s7, 0
	s_mov_b32 s3, 0
                                        ; implicit-def: $vgpr6_vgpr7
	s_branch .LBB8_1489
.LBB8_1454:
	s_mov_b32 s9, -1
	s_mov_b32 s7, 0
	s_mov_b32 s3, 0
                                        ; implicit-def: $vgpr6_vgpr7
	s_branch .LBB8_1470
.LBB8_1455:
	s_mov_b32 s9, -1
	s_mov_b32 s7, 0
	s_mov_b32 s3, 0
                                        ; implicit-def: $vgpr6_vgpr7
	s_branch .LBB8_1465
.LBB8_1456:
	s_or_b32 s1, s1, exec_lo
	s_trap 2
	s_cbranch_execz .LBB8_1391
	s_branch .LBB8_1392
.LBB8_1457:
	s_mov_b32 s9, -1
	s_mov_b32 s7, 0
	s_mov_b32 s3, 0
	s_branch .LBB8_1459
.LBB8_1458:
	s_mov_b32 s3, -1
	s_mov_b32 s7, 0
.LBB8_1459:
                                        ; implicit-def: $vgpr6_vgpr7
.LBB8_1460:
	s_and_b32 vcc_lo, exec_lo, s9
	s_cbranch_vccz .LBB8_1464
; %bb.1461:
	s_cmp_eq_u32 s0, 44
	s_cbranch_scc0 .LBB8_1463
; %bb.1462:
	global_load_u8 v10, v[2:3], off
	s_mov_b32 s3, 0
	s_mov_b32 s7, -1
	s_wait_loadcnt 0x0
	v_cmp_ne_u32_e32 vcc_lo, 0xff, v10
	v_lshlrev_b32_e32 v6, 23, v10
	s_delay_alu instid0(VALU_DEP_1) | instskip(NEXT) | instid1(VALU_DEP_1)
	v_cvt_f64_f32_e32 v[6:7], v6
	v_cndmask_b32_e32 v6, 0x20000000, v6, vcc_lo
	s_delay_alu instid0(VALU_DEP_2) | instskip(SKIP_1) | instid1(VALU_DEP_2)
	v_cndmask_b32_e32 v7, 0x7ff80000, v7, vcc_lo
	v_cmp_ne_u32_e32 vcc_lo, 0, v10
	v_cndmask_b32_e32 v7, 0x38000000, v7, vcc_lo
	s_delay_alu instid0(VALU_DEP_4)
	v_cndmask_b32_e32 v6, 0, v6, vcc_lo
	s_branch .LBB8_1464
.LBB8_1463:
	s_mov_b32 s3, -1
                                        ; implicit-def: $vgpr6_vgpr7
.LBB8_1464:
	s_mov_b32 s9, 0
.LBB8_1465:
	s_delay_alu instid0(SALU_CYCLE_1)
	s_and_b32 vcc_lo, exec_lo, s9
	s_cbranch_vccz .LBB8_1469
; %bb.1466:
	s_cmp_eq_u32 s0, 29
	s_cbranch_scc0 .LBB8_1468
; %bb.1467:
	global_load_b64 v[6:7], v[2:3], off
	s_mov_b32 s3, 0
	s_mov_b32 s7, -1
	s_mov_b32 s9, 0
	s_wait_loadcnt 0x0
	v_cvt_f64_u32_e32 v[10:11], v7
	v_cvt_f64_u32_e32 v[6:7], v6
	s_delay_alu instid0(VALU_DEP_2) | instskip(NEXT) | instid1(VALU_DEP_1)
	v_ldexp_f64 v[10:11], v[10:11], 32
	v_add_f64_e32 v[6:7], v[10:11], v[6:7]
	s_branch .LBB8_1470
.LBB8_1468:
	s_mov_b32 s3, -1
                                        ; implicit-def: $vgpr6_vgpr7
.LBB8_1469:
	s_mov_b32 s9, 0
.LBB8_1470:
	s_delay_alu instid0(SALU_CYCLE_1)
	s_and_b32 vcc_lo, exec_lo, s9
	s_cbranch_vccz .LBB8_1488
; %bb.1471:
	s_cmp_lt_i32 s0, 27
	s_cbranch_scc1 .LBB8_1474
; %bb.1472:
	s_cmp_gt_i32 s0, 27
	s_cbranch_scc0 .LBB8_1475
; %bb.1473:
	global_load_b32 v6, v[2:3], off
	s_mov_b32 s7, 0
	s_wait_loadcnt 0x0
	v_cvt_f64_u32_e32 v[6:7], v6
	s_branch .LBB8_1476
.LBB8_1474:
	s_mov_b32 s7, -1
                                        ; implicit-def: $vgpr6_vgpr7
	s_branch .LBB8_1479
.LBB8_1475:
	s_mov_b32 s7, -1
                                        ; implicit-def: $vgpr6_vgpr7
.LBB8_1476:
	s_delay_alu instid0(SALU_CYCLE_1)
	s_and_not1_b32 vcc_lo, exec_lo, s7
	s_cbranch_vccnz .LBB8_1478
; %bb.1477:
	global_load_u16 v6, v[2:3], off
	s_wait_loadcnt 0x0
	v_cvt_f64_u32_e32 v[6:7], v6
.LBB8_1478:
	s_mov_b32 s7, 0
.LBB8_1479:
	s_delay_alu instid0(SALU_CYCLE_1)
	s_and_not1_b32 vcc_lo, exec_lo, s7
	s_cbranch_vccnz .LBB8_1487
; %bb.1480:
	global_load_u8 v10, v[2:3], off
	s_mov_b32 s7, 0
	s_mov_b32 s9, exec_lo
	s_wait_loadcnt 0x0
	v_cmpx_lt_i16_e32 0x7f, v10
	s_xor_b32 s9, exec_lo, s9
	s_cbranch_execz .LBB8_1501
; %bb.1481:
	s_mov_b32 s7, -1
	s_mov_b32 s12, exec_lo
	v_cmpx_eq_u16_e32 0x80, v10
; %bb.1482:
	s_xor_b32 s7, exec_lo, -1
; %bb.1483:
	s_or_b32 exec_lo, exec_lo, s12
	s_delay_alu instid0(SALU_CYCLE_1)
	s_and_b32 s7, s7, exec_lo
	s_or_saveexec_b32 s9, s9
	v_mov_b64_e32 v[6:7], 0x7ff8000020000000
	s_xor_b32 exec_lo, exec_lo, s9
	s_cbranch_execnz .LBB8_1502
.LBB8_1484:
	s_or_b32 exec_lo, exec_lo, s9
	s_and_saveexec_b32 s9, s7
	s_cbranch_execz .LBB8_1486
.LBB8_1485:
	v_and_b32_e32 v6, 0xffff, v10
	s_delay_alu instid0(VALU_DEP_1) | instskip(SKIP_1) | instid1(VALU_DEP_2)
	v_and_b32_e32 v7, 7, v6
	v_bfe_u32 v13, v6, 3, 4
	v_clz_i32_u32_e32 v11, v7
	s_delay_alu instid0(VALU_DEP_2) | instskip(NEXT) | instid1(VALU_DEP_2)
	v_cmp_eq_u32_e32 vcc_lo, 0, v13
	v_min_u32_e32 v11, 32, v11
	s_delay_alu instid0(VALU_DEP_1) | instskip(NEXT) | instid1(VALU_DEP_1)
	v_subrev_nc_u32_e32 v12, 28, v11
	v_dual_lshlrev_b32 v6, v12, v6 :: v_dual_sub_nc_u32 v11, 29, v11
	s_delay_alu instid0(VALU_DEP_1) | instskip(NEXT) | instid1(VALU_DEP_2)
	v_and_b32_e32 v6, 7, v6
	v_dual_cndmask_b32 v11, v13, v11 :: v_dual_lshlrev_b32 v10, 24, v10
	s_delay_alu instid0(VALU_DEP_2) | instskip(NEXT) | instid1(VALU_DEP_2)
	v_cndmask_b32_e32 v6, v7, v6, vcc_lo
	v_and_b32_e32 v7, 0x80000000, v10
	s_delay_alu instid0(VALU_DEP_3) | instskip(NEXT) | instid1(VALU_DEP_3)
	v_lshl_add_u32 v10, v11, 23, 0x3b800000
	v_lshlrev_b32_e32 v6, 20, v6
	s_delay_alu instid0(VALU_DEP_1) | instskip(NEXT) | instid1(VALU_DEP_1)
	v_or3_b32 v6, v7, v10, v6
	v_cvt_f64_f32_e32 v[6:7], v6
.LBB8_1486:
	s_or_b32 exec_lo, exec_lo, s9
.LBB8_1487:
	s_mov_b32 s7, -1
.LBB8_1488:
	s_mov_b32 s9, 0
.LBB8_1489:
	s_delay_alu instid0(SALU_CYCLE_1)
	s_and_b32 vcc_lo, exec_lo, s9
	s_cbranch_vccz .LBB8_1522
; %bb.1490:
	s_cmp_gt_i32 s0, 22
	s_cbranch_scc0 .LBB8_1500
; %bb.1491:
	s_cmp_lt_i32 s0, 24
	s_cbranch_scc1 .LBB8_1503
; %bb.1492:
	s_cmp_gt_i32 s0, 24
	s_cbranch_scc0 .LBB8_1504
; %bb.1493:
	global_load_u8 v10, v[2:3], off
	s_mov_b32 s7, exec_lo
	s_wait_loadcnt 0x0
	v_cmpx_lt_i16_e32 0x7f, v10
	s_xor_b32 s7, exec_lo, s7
	s_cbranch_execz .LBB8_1516
; %bb.1494:
	s_mov_b32 s6, -1
	s_mov_b32 s9, exec_lo
	v_cmpx_eq_u16_e32 0x80, v10
; %bb.1495:
	s_xor_b32 s6, exec_lo, -1
; %bb.1496:
	s_or_b32 exec_lo, exec_lo, s9
	s_delay_alu instid0(SALU_CYCLE_1)
	s_and_b32 s6, s6, exec_lo
	s_or_saveexec_b32 s7, s7
	v_mov_b64_e32 v[6:7], 0x7ff8000020000000
	s_xor_b32 exec_lo, exec_lo, s7
	s_cbranch_execnz .LBB8_1517
.LBB8_1497:
	s_or_b32 exec_lo, exec_lo, s7
	s_and_saveexec_b32 s7, s6
	s_cbranch_execz .LBB8_1499
.LBB8_1498:
	v_and_b32_e32 v6, 0xffff, v10
	s_delay_alu instid0(VALU_DEP_1) | instskip(SKIP_1) | instid1(VALU_DEP_2)
	v_and_b32_e32 v7, 3, v6
	v_bfe_u32 v13, v6, 2, 5
	v_clz_i32_u32_e32 v11, v7
	s_delay_alu instid0(VALU_DEP_2) | instskip(NEXT) | instid1(VALU_DEP_2)
	v_cmp_eq_u32_e32 vcc_lo, 0, v13
	v_min_u32_e32 v11, 32, v11
	s_delay_alu instid0(VALU_DEP_1) | instskip(NEXT) | instid1(VALU_DEP_1)
	v_subrev_nc_u32_e32 v12, 29, v11
	v_dual_lshlrev_b32 v6, v12, v6 :: v_dual_sub_nc_u32 v11, 30, v11
	s_delay_alu instid0(VALU_DEP_1) | instskip(NEXT) | instid1(VALU_DEP_2)
	v_and_b32_e32 v6, 3, v6
	v_dual_cndmask_b32 v11, v13, v11 :: v_dual_lshlrev_b32 v10, 24, v10
	s_delay_alu instid0(VALU_DEP_2) | instskip(NEXT) | instid1(VALU_DEP_2)
	v_cndmask_b32_e32 v6, v7, v6, vcc_lo
	v_and_b32_e32 v7, 0x80000000, v10
	s_delay_alu instid0(VALU_DEP_3) | instskip(NEXT) | instid1(VALU_DEP_3)
	v_lshl_add_u32 v10, v11, 23, 0x37800000
	v_lshlrev_b32_e32 v6, 21, v6
	s_delay_alu instid0(VALU_DEP_1) | instskip(NEXT) | instid1(VALU_DEP_1)
	v_or3_b32 v6, v7, v10, v6
	v_cvt_f64_f32_e32 v[6:7], v6
.LBB8_1499:
	s_or_b32 exec_lo, exec_lo, s7
	s_mov_b32 s6, 0
	s_branch .LBB8_1505
.LBB8_1500:
	s_mov_b32 s6, -1
                                        ; implicit-def: $vgpr6_vgpr7
	s_branch .LBB8_1511
.LBB8_1501:
	s_or_saveexec_b32 s9, s9
	v_mov_b64_e32 v[6:7], 0x7ff8000020000000
	s_xor_b32 exec_lo, exec_lo, s9
	s_cbranch_execz .LBB8_1484
.LBB8_1502:
	v_cmp_ne_u16_e32 vcc_lo, 0, v10
	v_mov_b64_e32 v[6:7], 0
	s_and_not1_b32 s7, s7, exec_lo
	s_and_b32 s12, vcc_lo, exec_lo
	s_delay_alu instid0(SALU_CYCLE_1)
	s_or_b32 s7, s7, s12
	s_or_b32 exec_lo, exec_lo, s9
	s_and_saveexec_b32 s9, s7
	s_cbranch_execnz .LBB8_1485
	s_branch .LBB8_1486
.LBB8_1503:
	s_mov_b32 s6, -1
                                        ; implicit-def: $vgpr6_vgpr7
	s_branch .LBB8_1508
.LBB8_1504:
	s_mov_b32 s6, -1
                                        ; implicit-def: $vgpr6_vgpr7
.LBB8_1505:
	s_delay_alu instid0(SALU_CYCLE_1)
	s_and_b32 vcc_lo, exec_lo, s6
	s_cbranch_vccz .LBB8_1507
; %bb.1506:
	global_load_u8 v6, v[2:3], off
	s_wait_loadcnt 0x0
	v_lshlrev_b32_e32 v6, 24, v6
	s_delay_alu instid0(VALU_DEP_1) | instskip(NEXT) | instid1(VALU_DEP_1)
	v_and_b32_e32 v7, 0x7f000000, v6
	v_clz_i32_u32_e32 v10, v7
	v_cmp_ne_u32_e32 vcc_lo, 0, v7
	v_add_nc_u32_e32 v12, 0x1000000, v7
	s_delay_alu instid0(VALU_DEP_3) | instskip(NEXT) | instid1(VALU_DEP_1)
	v_min_u32_e32 v10, 32, v10
	v_sub_nc_u32_e64 v10, v10, 4 clamp
	s_delay_alu instid0(VALU_DEP_1) | instskip(NEXT) | instid1(VALU_DEP_1)
	v_dual_lshlrev_b32 v11, v10, v7 :: v_dual_lshlrev_b32 v10, 23, v10
	v_lshrrev_b32_e32 v11, 4, v11
	s_delay_alu instid0(VALU_DEP_1) | instskip(NEXT) | instid1(VALU_DEP_1)
	v_dual_sub_nc_u32 v10, v11, v10 :: v_dual_ashrrev_i32 v11, 8, v12
	v_add_nc_u32_e32 v10, 0x3c000000, v10
	s_delay_alu instid0(VALU_DEP_1) | instskip(NEXT) | instid1(VALU_DEP_1)
	v_and_or_b32 v10, 0x7f800000, v11, v10
	v_cndmask_b32_e32 v7, 0, v10, vcc_lo
	s_delay_alu instid0(VALU_DEP_1) | instskip(NEXT) | instid1(VALU_DEP_1)
	v_and_or_b32 v6, 0x80000000, v6, v7
	v_cvt_f64_f32_e32 v[6:7], v6
.LBB8_1507:
	s_mov_b32 s6, 0
.LBB8_1508:
	s_delay_alu instid0(SALU_CYCLE_1)
	s_and_not1_b32 vcc_lo, exec_lo, s6
	s_cbranch_vccnz .LBB8_1510
; %bb.1509:
	global_load_u8 v6, v[2:3], off
	s_wait_loadcnt 0x0
	v_lshlrev_b32_e32 v7, 25, v6
	v_lshlrev_b16 v6, 8, v6
	s_delay_alu instid0(VALU_DEP_1) | instskip(SKIP_1) | instid1(VALU_DEP_2)
	v_and_or_b32 v11, 0x7f00, v6, 0.5
	v_bfe_i32 v6, v6, 0, 16
	v_add_f32_e32 v11, -0.5, v11
	v_lshrrev_b32_e32 v10, 4, v7
	v_cmp_gt_u32_e32 vcc_lo, 0x8000000, v7
	s_delay_alu instid0(VALU_DEP_2) | instskip(NEXT) | instid1(VALU_DEP_1)
	v_or_b32_e32 v10, 0x70000000, v10
	v_mul_f32_e32 v10, 0x7800000, v10
	s_delay_alu instid0(VALU_DEP_1) | instskip(NEXT) | instid1(VALU_DEP_1)
	v_cndmask_b32_e32 v7, v10, v11, vcc_lo
	v_and_or_b32 v6, 0x80000000, v6, v7
	s_delay_alu instid0(VALU_DEP_1)
	v_cvt_f64_f32_e32 v[6:7], v6
.LBB8_1510:
	s_mov_b32 s6, 0
	s_mov_b32 s7, -1
.LBB8_1511:
	s_and_not1_b32 vcc_lo, exec_lo, s6
	s_mov_b32 s6, 0
	s_cbranch_vccnz .LBB8_1522
; %bb.1512:
	s_cmp_gt_i32 s0, 14
	s_cbranch_scc0 .LBB8_1515
; %bb.1513:
	s_cmp_eq_u32 s0, 15
	s_cbranch_scc0 .LBB8_1518
; %bb.1514:
	global_load_u16 v6, v[2:3], off
	s_mov_b32 s3, 0
	s_mov_b32 s7, -1
	s_wait_loadcnt 0x0
	v_lshlrev_b32_e32 v6, 16, v6
	s_delay_alu instid0(VALU_DEP_1)
	v_cvt_f64_f32_e32 v[6:7], v6
	s_branch .LBB8_1520
.LBB8_1515:
	s_mov_b32 s6, -1
	s_branch .LBB8_1519
.LBB8_1516:
	s_or_saveexec_b32 s7, s7
	v_mov_b64_e32 v[6:7], 0x7ff8000020000000
	s_xor_b32 exec_lo, exec_lo, s7
	s_cbranch_execz .LBB8_1497
.LBB8_1517:
	v_cmp_ne_u16_e32 vcc_lo, 0, v10
	v_mov_b64_e32 v[6:7], 0
	s_and_not1_b32 s6, s6, exec_lo
	s_and_b32 s9, vcc_lo, exec_lo
	s_delay_alu instid0(SALU_CYCLE_1)
	s_or_b32 s6, s6, s9
	s_or_b32 exec_lo, exec_lo, s7
	s_and_saveexec_b32 s7, s6
	s_cbranch_execnz .LBB8_1498
	s_branch .LBB8_1499
.LBB8_1518:
	s_mov_b32 s3, -1
.LBB8_1519:
                                        ; implicit-def: $vgpr6_vgpr7
.LBB8_1520:
	s_and_b32 vcc_lo, exec_lo, s6
	s_mov_b32 s6, 0
	s_cbranch_vccz .LBB8_1522
; %bb.1521:
	s_cmp_lg_u32 s0, 11
	s_mov_b32 s6, -1
	s_cselect_b32 s3, -1, 0
.LBB8_1522:
	s_delay_alu instid0(SALU_CYCLE_1)
	s_and_b32 vcc_lo, exec_lo, s3
	s_cbranch_vccnz .LBB8_2060
; %bb.1523:
	s_and_not1_b32 vcc_lo, exec_lo, s6
	s_cbranch_vccnz .LBB8_1525
.LBB8_1524:
	global_load_u8 v6, v[2:3], off
	s_mov_b32 s7, -1
	s_wait_loadcnt 0x0
	v_cmp_ne_u16_e32 vcc_lo, 0, v6
	v_mov_b32_e32 v6, 0
	v_cndmask_b32_e64 v7, 0, 0x3ff00000, vcc_lo
.LBB8_1525:
	s_mov_b32 s3, 0
.LBB8_1526:
	s_delay_alu instid0(SALU_CYCLE_1)
	s_and_b32 vcc_lo, exec_lo, s3
	s_cbranch_vccz .LBB8_1575
; %bb.1527:
	s_cmp_lt_i32 s0, 5
	s_cbranch_scc1 .LBB8_1532
; %bb.1528:
	s_cmp_lt_i32 s0, 8
	s_cbranch_scc1 .LBB8_1533
	;; [unrolled: 3-line block ×3, first 2 shown]
; %bb.1530:
	s_cmp_gt_i32 s0, 9
	s_cbranch_scc0 .LBB8_1535
; %bb.1531:
	global_load_b64 v[6:7], v[2:3], off
	s_mov_b32 s3, 0
	s_branch .LBB8_1536
.LBB8_1532:
	s_mov_b32 s3, -1
                                        ; implicit-def: $vgpr6_vgpr7
	s_branch .LBB8_1554
.LBB8_1533:
	s_mov_b32 s3, -1
                                        ; implicit-def: $vgpr6_vgpr7
	s_branch .LBB8_1542
.LBB8_1534:
	s_mov_b32 s3, -1
                                        ; implicit-def: $vgpr6_vgpr7
	s_branch .LBB8_1539
.LBB8_1535:
	s_mov_b32 s3, -1
                                        ; implicit-def: $vgpr6_vgpr7
.LBB8_1536:
	s_delay_alu instid0(SALU_CYCLE_1)
	s_and_not1_b32 vcc_lo, exec_lo, s3
	s_cbranch_vccnz .LBB8_1538
; %bb.1537:
	s_wait_loadcnt 0x0
	global_load_b32 v6, v[2:3], off
	s_wait_loadcnt 0x0
	v_cvt_f64_f32_e32 v[6:7], v6
.LBB8_1538:
	s_mov_b32 s3, 0
.LBB8_1539:
	s_delay_alu instid0(SALU_CYCLE_1)
	s_and_not1_b32 vcc_lo, exec_lo, s3
	s_cbranch_vccnz .LBB8_1541
; %bb.1540:
	s_wait_loadcnt 0x0
	global_load_b32 v6, v[2:3], off
	s_wait_loadcnt 0x0
	v_cvt_f32_f16_e32 v6, v6
	s_delay_alu instid0(VALU_DEP_1)
	v_cvt_f64_f32_e32 v[6:7], v6
.LBB8_1541:
	s_mov_b32 s3, 0
.LBB8_1542:
	s_delay_alu instid0(SALU_CYCLE_1)
	s_and_not1_b32 vcc_lo, exec_lo, s3
	s_cbranch_vccnz .LBB8_1553
; %bb.1543:
	s_cmp_lt_i32 s0, 6
	s_cbranch_scc1 .LBB8_1546
; %bb.1544:
	s_cmp_gt_i32 s0, 6
	s_cbranch_scc0 .LBB8_1547
; %bb.1545:
	s_wait_loadcnt 0x0
	global_load_b64 v[6:7], v[2:3], off
	s_mov_b32 s3, 0
	s_branch .LBB8_1548
.LBB8_1546:
	s_mov_b32 s3, -1
                                        ; implicit-def: $vgpr6_vgpr7
	s_branch .LBB8_1551
.LBB8_1547:
	s_mov_b32 s3, -1
                                        ; implicit-def: $vgpr6_vgpr7
.LBB8_1548:
	s_delay_alu instid0(SALU_CYCLE_1)
	s_and_not1_b32 vcc_lo, exec_lo, s3
	s_cbranch_vccnz .LBB8_1550
; %bb.1549:
	s_wait_loadcnt 0x0
	global_load_b32 v6, v[2:3], off
	s_wait_loadcnt 0x0
	v_cvt_f64_f32_e32 v[6:7], v6
.LBB8_1550:
	s_mov_b32 s3, 0
.LBB8_1551:
	s_delay_alu instid0(SALU_CYCLE_1)
	s_and_not1_b32 vcc_lo, exec_lo, s3
	s_cbranch_vccnz .LBB8_1553
; %bb.1552:
	s_wait_loadcnt 0x0
	global_load_u16 v6, v[2:3], off
	s_wait_loadcnt 0x0
	v_cvt_f32_f16_e32 v6, v6
	s_delay_alu instid0(VALU_DEP_1)
	v_cvt_f64_f32_e32 v[6:7], v6
.LBB8_1553:
	s_mov_b32 s3, 0
.LBB8_1554:
	s_delay_alu instid0(SALU_CYCLE_1)
	s_and_not1_b32 vcc_lo, exec_lo, s3
	s_cbranch_vccnz .LBB8_1574
; %bb.1555:
	s_cmp_lt_i32 s0, 2
	s_cbranch_scc1 .LBB8_1559
; %bb.1556:
	s_cmp_lt_i32 s0, 3
	s_cbranch_scc1 .LBB8_1560
; %bb.1557:
	s_cmp_gt_i32 s0, 3
	s_cbranch_scc0 .LBB8_1561
; %bb.1558:
	s_wait_loadcnt 0x0
	global_load_b64 v[6:7], v[2:3], off
	s_mov_b32 s3, 0
	s_wait_loadcnt 0x0
	v_cvt_f64_i32_e32 v[10:11], v7
	v_cvt_f64_u32_e32 v[6:7], v6
	s_delay_alu instid0(VALU_DEP_2) | instskip(NEXT) | instid1(VALU_DEP_1)
	v_ldexp_f64 v[10:11], v[10:11], 32
	v_add_f64_e32 v[6:7], v[10:11], v[6:7]
	s_branch .LBB8_1562
.LBB8_1559:
	s_mov_b32 s3, -1
                                        ; implicit-def: $vgpr6_vgpr7
	s_branch .LBB8_1568
.LBB8_1560:
	s_mov_b32 s3, -1
                                        ; implicit-def: $vgpr6_vgpr7
	s_branch .LBB8_1565
.LBB8_1561:
	s_mov_b32 s3, -1
                                        ; implicit-def: $vgpr6_vgpr7
.LBB8_1562:
	s_delay_alu instid0(SALU_CYCLE_1)
	s_and_not1_b32 vcc_lo, exec_lo, s3
	s_cbranch_vccnz .LBB8_1564
; %bb.1563:
	s_wait_loadcnt 0x0
	global_load_b32 v6, v[2:3], off
	s_wait_loadcnt 0x0
	v_cvt_f64_i32_e32 v[6:7], v6
.LBB8_1564:
	s_mov_b32 s3, 0
.LBB8_1565:
	s_delay_alu instid0(SALU_CYCLE_1)
	s_and_not1_b32 vcc_lo, exec_lo, s3
	s_cbranch_vccnz .LBB8_1567
; %bb.1566:
	s_wait_loadcnt 0x0
	global_load_i16 v6, v[2:3], off
	s_wait_loadcnt 0x0
	v_cvt_f64_i32_e32 v[6:7], v6
.LBB8_1567:
	s_mov_b32 s3, 0
.LBB8_1568:
	s_delay_alu instid0(SALU_CYCLE_1)
	s_and_not1_b32 vcc_lo, exec_lo, s3
	s_cbranch_vccnz .LBB8_1574
; %bb.1569:
	s_cmp_gt_i32 s0, 0
	s_mov_b32 s0, 0
	s_cbranch_scc0 .LBB8_1571
; %bb.1570:
	s_wait_loadcnt 0x0
	global_load_i8 v6, v[2:3], off
	s_wait_loadcnt 0x0
	v_cvt_f64_i32_e32 v[6:7], v6
	s_branch .LBB8_1572
.LBB8_1571:
	s_mov_b32 s0, -1
                                        ; implicit-def: $vgpr6_vgpr7
.LBB8_1572:
	s_delay_alu instid0(SALU_CYCLE_1)
	s_and_not1_b32 vcc_lo, exec_lo, s0
	s_cbranch_vccnz .LBB8_1574
; %bb.1573:
	global_load_u8 v2, v[2:3], off
	s_wait_loadcnt 0x0
	v_cvt_f64_u32_e32 v[6:7], v2
.LBB8_1574:
	s_mov_b32 s7, -1
.LBB8_1575:
	s_delay_alu instid0(SALU_CYCLE_1)
	s_and_not1_b32 vcc_lo, exec_lo, s7
	s_cbranch_vccnz .LBB8_1658
; %bb.1576:
	s_wait_loadcnt 0x0
	s_delay_alu instid0(VALU_DEP_1) | instskip(SKIP_2) | instid1(SALU_CYCLE_1)
	v_cmp_ge_f64_e64 s0, 0x40200000, |v[6:7]|
                                        ; implicit-def: $vgpr12_vgpr13
	s_wait_xcnt 0x0
	s_and_saveexec_b32 s3, s0
	s_xor_b32 s0, exec_lo, s3
	s_cbranch_execz .LBB8_1578
; %bb.1577:
	v_fma_f64 v[2:3], |v[6:7]|, 0.5, -2.0
	s_mov_b64 s[6:7], 0xbc545cb72134d0ef
	s_delay_alu instid0(VALU_DEP_1) | instid1(SALU_CYCLE_1)
	v_fmaak_f64 v[10:11], s[6:7], v[2:3], 0x3c833362977da589
	s_mov_b64 s[6:7], 0x3ff71547652b82fe
	s_delay_alu instid0(SALU_CYCLE_1) | instskip(SKIP_1) | instid1(VALU_DEP_2)
	v_mul_f64_e64 v[16:17], |v[6:7]|, s[6:7]
	s_mov_b64 s[6:7], 0xbfe62e42fefa39ef
	v_fmaak_f64 v[12:13], v[2:3], v[10:11], 0x3c545cb72134d0ef
	s_delay_alu instid0(VALU_DEP_1) | instskip(NEXT) | instid1(VALU_DEP_3)
	v_add_f64_e32 v[12:13], 0xbcb184eb721ebbb4, v[12:13]
	v_rndne_f64_e32 v[16:17], v[16:17]
	s_delay_alu instid0(VALU_DEP_2) | instskip(NEXT) | instid1(VALU_DEP_2)
	v_fma_f64 v[10:11], v[2:3], v[12:13], -v[10:11]
	v_fma_f64 v[6:7], v[16:17], s[6:7], |v[6:7]|
	s_mov_b64 s[6:7], 0x3e5ade156a5dcb37
	s_delay_alu instid0(VALU_DEP_2) | instskip(NEXT) | instid1(VALU_DEP_2)
	v_add_f64_e32 v[10:11], 0x3cdee6d893f65eba, v[10:11]
	v_fmamk_f64 v[6:7], v[16:17], 0xbc7abc9e3b39803f, v[6:7]
	s_delay_alu instid0(VALU_DEP_1) | instskip(NEXT) | instid1(VALU_DEP_3)
	v_fmaak_f64 v[18:19], s[6:7], v[6:7], 0x3e928af3fca7ab0c
	v_fma_f64 v[12:13], v[2:3], v[10:11], -v[12:13]
	s_delay_alu instid0(VALU_DEP_2) | instskip(NEXT) | instid1(VALU_DEP_1)
	v_fmaak_f64 v[18:19], v[6:7], v[18:19], 0x3ec71dee623fde64
	v_fmaak_f64 v[18:19], v[6:7], v[18:19], 0x3efa01997c89e6b0
	s_delay_alu instid0(VALU_DEP_1) | instskip(NEXT) | instid1(VALU_DEP_1)
	v_fmaak_f64 v[18:19], v[6:7], v[18:19], 0x3f2a01a014761f6e
	v_fmaak_f64 v[18:19], v[6:7], v[18:19], 0x3f56c16c1852b7b0
	v_add_f64_e32 v[12:13], 0xbd0a5022c297fbeb, v[12:13]
	s_delay_alu instid0(VALU_DEP_1) | instskip(NEXT) | instid1(VALU_DEP_1)
	v_fma_f64 v[10:11], v[2:3], v[12:13], -v[10:11]
	v_add_f64_e32 v[10:11], 0x3d359b464b262627, v[10:11]
	s_delay_alu instid0(VALU_DEP_1) | instskip(NEXT) | instid1(VALU_DEP_1)
	v_fma_f64 v[12:13], v[2:3], v[10:11], -v[12:13]
	v_add_f64_e32 v[12:13], 0xbd61164c62ee1af0, v[12:13]
	s_delay_alu instid0(VALU_DEP_1) | instskip(NEXT) | instid1(VALU_DEP_1)
	v_fma_f64 v[10:11], v[2:3], v[12:13], -v[10:11]
	v_add_f64_e32 v[10:11], 0x3d89fe2fe19bd324, v[10:11]
	s_delay_alu instid0(VALU_DEP_1) | instskip(NEXT) | instid1(VALU_DEP_1)
	v_fma_f64 v[12:13], v[2:3], v[10:11], -v[12:13]
	v_add_f64_e32 v[12:13], 0xbdb2fc957a946abc, v[12:13]
	s_delay_alu instid0(VALU_DEP_1) | instskip(NEXT) | instid1(VALU_DEP_1)
	v_fma_f64 v[10:11], v[2:3], v[12:13], -v[10:11]
	v_add_f64_e32 v[10:11], 0x3dda98becc743c10, v[10:11]
	s_delay_alu instid0(VALU_DEP_1) | instskip(NEXT) | instid1(VALU_DEP_1)
	v_fma_f64 v[12:13], v[2:3], v[10:11], -v[12:13]
	v_add_f64_e32 v[12:13], 0xbe01d4fe13ae9556, v[12:13]
	s_delay_alu instid0(VALU_DEP_1) | instskip(NEXT) | instid1(VALU_DEP_1)
	v_fma_f64 v[10:11], v[2:3], v[12:13], -v[10:11]
	v_add_f64_e32 v[10:11], 0x3e26d903a454cb34, v[10:11]
	s_delay_alu instid0(VALU_DEP_1) | instskip(NEXT) | instid1(VALU_DEP_1)
	v_fma_f64 v[12:13], v[2:3], v[10:11], -v[12:13]
	v_add_f64_e32 v[12:13], 0xbe4beaf68c0b30ab, v[12:13]
	s_delay_alu instid0(VALU_DEP_1) | instskip(NEXT) | instid1(VALU_DEP_1)
	v_fma_f64 v[10:11], v[2:3], v[12:13], -v[10:11]
	v_add_f64_e32 v[10:11], 0x3e703b769d4d6435, v[10:11]
	s_delay_alu instid0(VALU_DEP_1) | instskip(NEXT) | instid1(VALU_DEP_1)
	v_fma_f64 v[12:13], v[2:3], v[10:11], -v[12:13]
	v_add_f64_e32 v[12:13], 0xbe91ec638f227f8d, v[12:13]
	s_delay_alu instid0(VALU_DEP_1) | instskip(NEXT) | instid1(VALU_DEP_1)
	v_fma_f64 v[10:11], v[2:3], v[12:13], -v[10:11]
	v_add_f64_e32 v[10:11], 0x3eb2bf24978cf4ac, v[10:11]
	s_delay_alu instid0(VALU_DEP_1) | instskip(NEXT) | instid1(VALU_DEP_1)
	v_fma_f64 v[12:13], v[2:3], v[10:11], -v[12:13]
	v_add_f64_e32 v[12:13], 0xbed2866fcba56427, v[12:13]
	s_delay_alu instid0(VALU_DEP_1) | instskip(NEXT) | instid1(VALU_DEP_1)
	v_fma_f64 v[10:11], v[2:3], v[12:13], -v[10:11]
	v_add_f64_e32 v[10:11], 0x3ef13f58be9a2859, v[10:11]
	s_delay_alu instid0(VALU_DEP_1) | instskip(NEXT) | instid1(VALU_DEP_1)
	v_fma_f64 v[12:13], v[2:3], v[10:11], -v[12:13]
	v_add_f64_e32 v[12:13], 0xbf0e2b2659c41d5a, v[12:13]
	s_delay_alu instid0(VALU_DEP_1) | instskip(NEXT) | instid1(VALU_DEP_1)
	v_fma_f64 v[10:11], v[2:3], v[12:13], -v[10:11]
	v_add_f64_e32 v[10:11], 0x3f28b51b74107cab, v[10:11]
	s_delay_alu instid0(VALU_DEP_1) | instskip(NEXT) | instid1(VALU_DEP_1)
	v_fma_f64 v[12:13], v[2:3], v[10:11], -v[12:13]
	v_add_f64_e32 v[12:13], 0xbf42e2fd1f15eb52, v[12:13]
	s_delay_alu instid0(VALU_DEP_1) | instskip(NEXT) | instid1(VALU_DEP_1)
	v_fma_f64 v[10:11], v[2:3], v[12:13], -v[10:11]
	v_add_f64_e32 v[10:11], 0x3f5adc758a12100e, v[10:11]
	s_delay_alu instid0(VALU_DEP_1) | instskip(NEXT) | instid1(VALU_DEP_1)
	v_fma_f64 v[12:13], v[2:3], v[10:11], -v[12:13]
	v_add_f64_e32 v[12:13], 0xbf71b65e201aa849, v[12:13]
	s_delay_alu instid0(VALU_DEP_1) | instskip(NEXT) | instid1(VALU_DEP_1)
	v_fma_f64 v[10:11], v[2:3], v[12:13], -v[10:11]
	v_add_f64_e32 v[10:11], 0x3f859961f3dde3dd, v[10:11]
	s_delay_alu instid0(VALU_DEP_1) | instskip(NEXT) | instid1(VALU_DEP_1)
	v_fma_f64 v[12:13], v[2:3], v[10:11], -v[12:13]
	v_add_f64_e32 v[12:13], 0xbf984e9ef121b6f0, v[12:13]
	s_delay_alu instid0(VALU_DEP_1) | instskip(NEXT) | instid1(VALU_DEP_1)
	v_fma_f64 v[10:11], v[2:3], v[12:13], -v[10:11]
	v_add_f64_e32 v[10:11], 0x3fa93e8acea8a32d, v[10:11]
	s_delay_alu instid0(VALU_DEP_1) | instskip(NEXT) | instid1(VALU_DEP_1)
	v_fma_f64 v[12:13], v[2:3], v[10:11], -v[12:13]
	v_add_f64_e32 v[12:13], 0xbfb84b70342d06ea, v[12:13]
	s_delay_alu instid0(VALU_DEP_1) | instskip(NEXT) | instid1(VALU_DEP_1)
	v_fma_f64 v[10:11], v[2:3], v[12:13], -v[10:11]
	v_add_f64_e32 v[10:11], 0x3fc5f7ac77ac88c0, v[10:11]
	s_delay_alu instid0(VALU_DEP_1) | instskip(NEXT) | instid1(VALU_DEP_1)
	v_fma_f64 v[12:13], v[2:3], v[10:11], -v[12:13]
	v_add_f64_e32 v[12:13], 0xbfd37febc057cd8d, v[12:13]
	s_delay_alu instid0(VALU_DEP_1) | instskip(SKIP_1) | instid1(VALU_DEP_1)
	v_fma_f64 v[2:3], v[2:3], v[12:13], -v[10:11]
	v_fmaak_f64 v[12:13], v[6:7], v[18:19], 0x3f81111111122322
	v_fmaak_f64 v[12:13], v[6:7], v[12:13], 0x3fa55555555502a1
	s_delay_alu instid0(VALU_DEP_1) | instskip(NEXT) | instid1(VALU_DEP_1)
	v_fmaak_f64 v[12:13], v[6:7], v[12:13], 0x3fc5555555555511
	v_fmaak_f64 v[12:13], v[6:7], v[12:13], 0x3fe000000000000b
	s_delay_alu instid0(VALU_DEP_1) | instskip(SKIP_1) | instid1(VALU_DEP_2)
	v_fma_f64 v[12:13], v[6:7], v[12:13], 1.0
	v_add_f64_e32 v[2:3], 0x3fe5a84e9035a22a, v[2:3]
	v_fma_f64 v[6:7], v[6:7], v[12:13], 1.0
	v_cvt_i32_f64_e32 v12, v[16:17]
	s_delay_alu instid0(VALU_DEP_3) | instskip(NEXT) | instid1(VALU_DEP_2)
	v_add_f64_e64 v[2:3], v[2:3], -v[10:11]
	v_ldexp_f64 v[6:7], v[6:7], v12
	s_delay_alu instid0(VALU_DEP_2) | instskip(NEXT) | instid1(VALU_DEP_1)
	v_mul_f64_e32 v[2:3], 0.5, v[2:3]
	v_mul_f64_e32 v[12:13], v[6:7], v[2:3]
                                        ; implicit-def: $vgpr6_vgpr7
.LBB8_1578:
	s_and_not1_saveexec_b32 s0, s0
	s_cbranch_execz .LBB8_1580
; %bb.1579:
	v_and_b32_e32 v3, 0x7fffffff, v7
	v_mov_b32_e32 v2, v6
	v_cmp_gt_f64_e64 s3, 0x10000000, |v[6:7]|
	s_mov_b64 s[6:7], 0xbc60adb754ca8b19
	v_div_scale_f64 v[10:11], null, v[2:3], v[2:3], 0x40400000
	v_div_scale_f64 v[2:3], vcc_lo, 0x40400000, v[2:3], 0x40400000
	v_cndmask_b32_e64 v15, 0, 0x100, s3
	s_delay_alu instid0(VALU_DEP_3) | instskip(SKIP_1) | instid1(TRANS32_DEP_1)
	v_rcp_f64_e32 v[12:13], v[10:11]
	v_nop
	v_fma_f64 v[16:17], -v[10:11], v[12:13], 1.0
	s_delay_alu instid0(VALU_DEP_1) | instskip(NEXT) | instid1(VALU_DEP_1)
	v_fmac_f64_e32 v[12:13], v[12:13], v[16:17]
	v_fma_f64 v[16:17], -v[10:11], v[12:13], 1.0
	s_delay_alu instid0(VALU_DEP_1) | instskip(NEXT) | instid1(VALU_DEP_1)
	v_fmac_f64_e32 v[12:13], v[12:13], v[16:17]
	v_mul_f64_e32 v[16:17], v[2:3], v[12:13]
	s_delay_alu instid0(VALU_DEP_1) | instskip(NEXT) | instid1(VALU_DEP_1)
	v_fma_f64 v[2:3], -v[10:11], v[16:17], v[2:3]
	v_div_fmas_f64 v[2:3], v[2:3], v[12:13], v[16:17]
	v_ldexp_f64 v[16:17], |v[6:7]|, v15
	v_cmp_nlt_f64_e64 vcc_lo, 0x40900000, |v[6:7]|
	s_delay_alu instid0(VALU_DEP_3) | instskip(NEXT) | instid1(VALU_DEP_3)
	v_div_fixup_f64 v[2:3], v[2:3], |v[6:7]|, 0x40400000
	v_rsq_f64_e32 v[20:21], v[16:17]
	s_delay_alu instid0(VALU_DEP_1) | instskip(NEXT) | instid1(TRANS32_DEP_1)
	v_add_f64_e32 v[2:3], -2.0, v[2:3]
	v_mul_f64_e32 v[22:23], v[16:17], v[20:21]
	v_mul_f64_e32 v[20:21], 0.5, v[20:21]
	s_delay_alu instid0(VALU_DEP_3) | instskip(SKIP_1) | instid1(SALU_CYCLE_1)
	v_fmaak_f64 v[10:11], s[6:7], v[2:3], 0xbc5646da66119130
	s_mov_b64 s[6:7], 0x3ff71547652b82fe
	v_mul_f64_e64 v[18:19], |v[6:7]|, s[6:7]
	s_mov_b64 s[6:7], 0xbfe62e42fefa39ef
	s_delay_alu instid0(VALU_DEP_2) | instskip(NEXT) | instid1(VALU_DEP_4)
	v_fmaak_f64 v[12:13], v[2:3], v[10:11], 0x3c60adb754ca8b19
	v_fma_f64 v[26:27], -v[20:21], v[22:23], 0.5
	s_delay_alu instid0(VALU_DEP_2) | instskip(NEXT) | instid1(VALU_DEP_4)
	v_add_f64_e32 v[12:13], 0x3c89be1812d98421, v[12:13]
	v_rndne_f64_e32 v[18:19], v[18:19]
	s_delay_alu instid0(VALU_DEP_3) | instskip(SKIP_1) | instid1(VALU_DEP_4)
	v_fmac_f64_e32 v[22:23], v[22:23], v[26:27]
	v_fmac_f64_e32 v[20:21], v[20:21], v[26:27]
	v_fma_f64 v[10:11], v[2:3], v[12:13], -v[10:11]
	s_delay_alu instid0(VALU_DEP_4) | instskip(SKIP_3) | instid1(VALU_DEP_4)
	v_fma_f64 v[24:25], v[18:19], s[6:7], |v[6:7]|
	s_mov_b64 s[6:7], 0x3e5ade156a5dcb37
	v_cvt_i32_f64_e32 v15, v[18:19]
	v_fma_f64 v[26:27], -v[22:23], v[22:23], v[16:17]
	v_add_f64_e32 v[10:11], 0x3c83f3dd076041cd, v[10:11]
	s_delay_alu instid0(VALU_DEP_4) | instskip(NEXT) | instid1(VALU_DEP_3)
	v_fmamk_f64 v[24:25], v[18:19], 0xbc7abc9e3b39803f, v[24:25]
	v_fmac_f64_e32 v[22:23], v[26:27], v[20:21]
	s_delay_alu instid0(VALU_DEP_2) | instskip(NEXT) | instid1(VALU_DEP_4)
	v_fmaak_f64 v[28:29], s[6:7], v[24:25], 0x3e928af3fca7ab0c
	v_fma_f64 v[12:13], v[2:3], v[10:11], -v[12:13]
	s_delay_alu instid0(VALU_DEP_2) | instskip(NEXT) | instid1(VALU_DEP_1)
	v_fmaak_f64 v[28:29], v[24:25], v[28:29], 0x3ec71dee623fde64
	v_fmaak_f64 v[28:29], v[24:25], v[28:29], 0x3efa01997c89e6b0
	s_delay_alu instid0(VALU_DEP_1) | instskip(NEXT) | instid1(VALU_DEP_1)
	v_fmaak_f64 v[28:29], v[24:25], v[28:29], 0x3f2a01a014761f6e
	v_fmaak_f64 v[28:29], v[24:25], v[28:29], 0x3f56c16c1852b7b0
	v_fma_f64 v[18:19], -v[22:23], v[22:23], v[16:17]
	s_delay_alu instid0(VALU_DEP_2) | instskip(SKIP_1) | instid1(VALU_DEP_3)
	v_fmaak_f64 v[28:29], v[24:25], v[28:29], 0x3f81111111122322
	v_add_f64_e32 v[12:13], 0xbcb4600babd21fe4, v[12:13]
	v_fmac_f64_e32 v[22:23], v[18:19], v[20:21]
	s_delay_alu instid0(VALU_DEP_2) | instskip(NEXT) | instid1(VALU_DEP_1)
	v_fma_f64 v[10:11], v[2:3], v[12:13], -v[10:11]
	v_add_f64_e32 v[10:11], 0xbcb8aee7d908de38, v[10:11]
	s_delay_alu instid0(VALU_DEP_1) | instskip(NEXT) | instid1(VALU_DEP_1)
	v_fma_f64 v[12:13], v[2:3], v[10:11], -v[12:13]
	v_add_f64_e32 v[12:13], 0x3cdfee7da3eafb1f, v[12:13]
	s_delay_alu instid0(VALU_DEP_1) | instskip(NEXT) | instid1(VALU_DEP_1)
	;; [unrolled: 3-line block ×18, first 2 shown]
	v_fma_f64 v[10:11], v[2:3], v[12:13], -v[10:11]
	v_add_f64_e32 v[10:11], 0x3f6b998ca2e59049, v[10:11]
	s_delay_alu instid0(VALU_DEP_1) | instskip(SKIP_1) | instid1(VALU_DEP_1)
	v_fma_f64 v[2:3], v[2:3], v[10:11], -v[12:13]
	v_fmaak_f64 v[10:11], v[24:25], v[28:29], 0x3fa55555555502a1
	v_fmaak_f64 v[10:11], v[24:25], v[10:11], 0x3fc5555555555511
	s_delay_alu instid0(VALU_DEP_1) | instskip(NEXT) | instid1(VALU_DEP_1)
	v_fmaak_f64 v[10:11], v[24:25], v[10:11], 0x3fe000000000000b
	v_fma_f64 v[10:11], v[24:25], v[10:11], 1.0
	v_add_f64_e32 v[2:3], 0x3fe9be62aca809cb, v[2:3]
	s_delay_alu instid0(VALU_DEP_2) | instskip(NEXT) | instid1(VALU_DEP_2)
	v_fma_f64 v[10:11], v[24:25], v[10:11], 1.0
	v_add_f64_e64 v[2:3], v[2:3], -v[12:13]
	v_cndmask_b32_e64 v12, 0, 0xffffff80, s3
	s_delay_alu instid0(VALU_DEP_3) | instskip(NEXT) | instid1(VALU_DEP_1)
	v_ldexp_f64 v[10:11], v[10:11], v15
	v_cndmask_b32_e32 v7, 0x7ff00000, v11, vcc_lo
	s_delay_alu instid0(VALU_DEP_2) | instskip(NEXT) | instid1(VALU_DEP_4)
	v_cndmask_b32_e32 v6, 0, v10, vcc_lo
	v_ldexp_f64 v[10:11], v[22:23], v12
	v_cmp_class_f64_e64 vcc_lo, v[16:17], 0x260
	v_mul_f64_e32 v[2:3], 0.5, v[2:3]
	s_delay_alu instid0(VALU_DEP_1) | instskip(NEXT) | instid1(VALU_DEP_4)
	v_mul_f64_e32 v[2:3], v[6:7], v[2:3]
	v_dual_cndmask_b32 v7, v11, v17 :: v_dual_cndmask_b32 v6, v10, v16
	s_delay_alu instid0(VALU_DEP_1) | instskip(NEXT) | instid1(VALU_DEP_1)
	v_div_scale_f64 v[10:11], null, v[6:7], v[6:7], v[2:3]
	v_rcp_f64_e32 v[12:13], v[10:11]
	v_nop
	s_delay_alu instid0(TRANS32_DEP_1) | instskip(NEXT) | instid1(VALU_DEP_1)
	v_fma_f64 v[16:17], -v[10:11], v[12:13], 1.0
	v_fmac_f64_e32 v[12:13], v[12:13], v[16:17]
	s_delay_alu instid0(VALU_DEP_1) | instskip(NEXT) | instid1(VALU_DEP_1)
	v_fma_f64 v[16:17], -v[10:11], v[12:13], 1.0
	v_fmac_f64_e32 v[12:13], v[12:13], v[16:17]
	v_div_scale_f64 v[16:17], vcc_lo, v[2:3], v[6:7], v[2:3]
	s_delay_alu instid0(VALU_DEP_1) | instskip(NEXT) | instid1(VALU_DEP_1)
	v_mul_f64_e32 v[18:19], v[16:17], v[12:13]
	v_fma_f64 v[10:11], -v[10:11], v[18:19], v[16:17]
	s_delay_alu instid0(VALU_DEP_1) | instskip(NEXT) | instid1(VALU_DEP_1)
	v_div_fmas_f64 v[10:11], v[10:11], v[12:13], v[18:19]
	v_div_fixup_f64 v[12:13], v[10:11], v[6:7], v[2:3]
.LBB8_1580:
	s_or_b32 exec_lo, exec_lo, s0
	v_mul_lo_u32 v6, s2, v14
	s_and_b32 s12, s8, 0xff
	s_delay_alu instid0(SALU_CYCLE_1) | instskip(NEXT) | instid1(VALU_DEP_1)
	s_cmp_lt_i32 s12, 11
	v_ashrrev_i32_e32 v7, 31, v6
	s_delay_alu instid0(VALU_DEP_1)
	v_add_nc_u64_e32 v[10:11], s[4:5], v[6:7]
	s_cbranch_scc1 .LBB8_1703
; %bb.1581:
	s_and_b32 s3, 0xffff, s12
	s_mov_b32 s8, -1
	s_mov_b32 s6, 0
	s_cmp_gt_i32 s3, 25
	s_mov_b32 s7, 0
	s_mov_b32 s0, 0
	s_cbranch_scc0 .LBB8_1614
; %bb.1582:
	s_cmp_gt_i32 s3, 28
	s_cbranch_scc0 .LBB8_1597
; %bb.1583:
	s_cmp_gt_i32 s3, 43
	;; [unrolled: 3-line block ×3, first 2 shown]
	s_cbranch_scc0 .LBB8_1587
; %bb.1585:
	s_mov_b32 s0, -1
	s_mov_b32 s8, 0
	s_cmp_eq_u32 s3, 46
	s_cbranch_scc0 .LBB8_1587
; %bb.1586:
	v_cvt_f32_f64_e32 v2, v[0:1]
	s_mov_b32 s0, 0
	s_mov_b32 s7, -1
	s_delay_alu instid0(VALU_DEP_1) | instskip(SKIP_1) | instid1(VALU_DEP_2)
	v_bfe_u32 v3, v2, 16, 1
	v_cmp_o_f32_e32 vcc_lo, v2, v2
	v_add3_u32 v3, v2, v3, 0x7fff
	s_delay_alu instid0(VALU_DEP_1) | instskip(NEXT) | instid1(VALU_DEP_1)
	v_lshrrev_b32_e32 v3, 16, v3
	v_cndmask_b32_e32 v2, 0x7fc0, v3, vcc_lo
	global_store_b32 v[10:11], v2, off
.LBB8_1587:
	s_and_b32 vcc_lo, exec_lo, s8
	s_cbranch_vccz .LBB8_1592
; %bb.1588:
	s_cmp_eq_u32 s3, 44
	s_mov_b32 s0, -1
	s_cbranch_scc0 .LBB8_1592
; %bb.1589:
	s_wait_xcnt 0x0
	v_cvt_f32_f64_e32 v2, v[0:1]
	v_mov_b32_e32 v3, 0xff
	s_mov_b32 s7, exec_lo
	s_delay_alu instid0(VALU_DEP_2) | instskip(NEXT) | instid1(VALU_DEP_1)
	v_bfe_u32 v7, v2, 23, 8
	v_cmpx_ne_u32_e32 0xff, v7
	s_cbranch_execz .LBB8_1591
; %bb.1590:
	v_and_b32_e32 v3, 0x400000, v2
	v_and_or_b32 v7, 0x3fffff, v2, v7
	v_lshrrev_b32_e32 v2, 23, v2
	s_delay_alu instid0(VALU_DEP_3) | instskip(NEXT) | instid1(VALU_DEP_3)
	v_cmp_ne_u32_e32 vcc_lo, 0, v3
	v_cmp_ne_u32_e64 s0, 0, v7
	s_and_b32 s0, vcc_lo, s0
	s_delay_alu instid0(SALU_CYCLE_1) | instskip(NEXT) | instid1(VALU_DEP_1)
	v_cndmask_b32_e64 v3, 0, 1, s0
	v_add_nc_u32_e32 v3, v2, v3
.LBB8_1591:
	s_or_b32 exec_lo, exec_lo, s7
	s_mov_b32 s0, 0
	s_mov_b32 s7, -1
	global_store_b8 v[10:11], v3, off
.LBB8_1592:
	s_mov_b32 s8, 0
.LBB8_1593:
	s_delay_alu instid0(SALU_CYCLE_1)
	s_and_b32 vcc_lo, exec_lo, s8
	s_cbranch_vccz .LBB8_1596
; %bb.1594:
	s_cmp_eq_u32 s3, 29
	s_mov_b32 s0, -1
	s_cbranch_scc0 .LBB8_1596
; %bb.1595:
	s_wait_xcnt 0x0
	v_trunc_f64_e32 v[2:3], v[0:1]
	s_mov_b32 s0, 0
	s_mov_b32 s7, -1
	s_delay_alu instid0(VALU_DEP_1) | instskip(NEXT) | instid1(VALU_DEP_1)
	v_ldexp_f64 v[14:15], v[2:3], 0xffffffe0
	v_floor_f64_e32 v[14:15], v[14:15]
	s_delay_alu instid0(VALU_DEP_1) | instskip(SKIP_1) | instid1(VALU_DEP_2)
	v_fmamk_f64 v[2:3], v[14:15], 0xc1f00000, v[2:3]
	v_cvt_u32_f64_e32 v15, v[14:15]
	v_cvt_u32_f64_e32 v14, v[2:3]
	global_store_b64 v[10:11], v[14:15], off
.LBB8_1596:
	s_mov_b32 s8, 0
.LBB8_1597:
	s_delay_alu instid0(SALU_CYCLE_1)
	s_and_b32 vcc_lo, exec_lo, s8
	s_cbranch_vccz .LBB8_1613
; %bb.1598:
	s_cmp_lt_i32 s3, 27
	s_mov_b32 s7, -1
	s_cbranch_scc1 .LBB8_1604
; %bb.1599:
	s_wait_xcnt 0x0
	v_cvt_u32_f64_e32 v2, v[0:1]
	s_cmp_gt_i32 s3, 27
	s_cbranch_scc0 .LBB8_1601
; %bb.1600:
	s_mov_b32 s7, 0
	global_store_b32 v[10:11], v2, off
.LBB8_1601:
	s_and_not1_b32 vcc_lo, exec_lo, s7
	s_cbranch_vccnz .LBB8_1603
; %bb.1602:
	global_store_b16 v[10:11], v2, off
.LBB8_1603:
	s_mov_b32 s7, 0
.LBB8_1604:
	s_delay_alu instid0(SALU_CYCLE_1)
	s_and_not1_b32 vcc_lo, exec_lo, s7
	s_cbranch_vccnz .LBB8_1612
; %bb.1605:
	s_wait_xcnt 0x0
	v_cvt_f32_f64_e32 v2, v[0:1]
	v_mov_b32_e32 v7, 0x80
	s_mov_b32 s7, exec_lo
	s_delay_alu instid0(VALU_DEP_2) | instskip(NEXT) | instid1(VALU_DEP_1)
	v_and_b32_e32 v3, 0x7fffffff, v2
	v_cmpx_gt_u32_e32 0x43800000, v3
	s_cbranch_execz .LBB8_1611
; %bb.1606:
	v_cmp_lt_u32_e32 vcc_lo, 0x3bffffff, v3
	s_mov_b32 s8, 0
                                        ; implicit-def: $vgpr3
	s_and_saveexec_b32 s9, vcc_lo
	s_delay_alu instid0(SALU_CYCLE_1)
	s_xor_b32 s9, exec_lo, s9
	s_cbranch_execz .LBB8_2061
; %bb.1607:
	v_bfe_u32 v3, v2, 20, 1
	s_mov_b32 s8, exec_lo
	s_delay_alu instid0(VALU_DEP_1) | instskip(NEXT) | instid1(VALU_DEP_1)
	v_add3_u32 v3, v2, v3, 0x487ffff
	v_lshrrev_b32_e32 v3, 20, v3
	s_and_not1_saveexec_b32 s9, s9
	s_cbranch_execnz .LBB8_2062
.LBB8_1608:
	s_or_b32 exec_lo, exec_lo, s9
	v_mov_b32_e32 v7, 0
	s_and_saveexec_b32 s9, s8
.LBB8_1609:
	v_lshrrev_b32_e32 v2, 24, v2
	s_delay_alu instid0(VALU_DEP_1)
	v_and_or_b32 v7, 0x80, v2, v3
.LBB8_1610:
	s_or_b32 exec_lo, exec_lo, s9
.LBB8_1611:
	s_delay_alu instid0(SALU_CYCLE_1)
	s_or_b32 exec_lo, exec_lo, s7
	global_store_b8 v[10:11], v7, off
.LBB8_1612:
	s_mov_b32 s7, -1
.LBB8_1613:
	s_mov_b32 s8, 0
.LBB8_1614:
	s_delay_alu instid0(SALU_CYCLE_1)
	s_and_b32 vcc_lo, exec_lo, s8
	s_cbranch_vccz .LBB8_1654
; %bb.1615:
	s_cmp_gt_i32 s3, 22
	s_mov_b32 s6, -1
	s_cbranch_scc0 .LBB8_1647
; %bb.1616:
	s_cmp_lt_i32 s3, 24
	s_cbranch_scc1 .LBB8_1636
; %bb.1617:
	s_cmp_gt_i32 s3, 24
	s_cbranch_scc0 .LBB8_1625
; %bb.1618:
	s_wait_xcnt 0x0
	v_cvt_f32_f64_e32 v2, v[0:1]
	v_mov_b32_e32 v7, 0x80
	s_mov_b32 s6, exec_lo
	s_delay_alu instid0(VALU_DEP_2) | instskip(NEXT) | instid1(VALU_DEP_1)
	v_and_b32_e32 v3, 0x7fffffff, v2
	v_cmpx_gt_u32_e32 0x47800000, v3
	s_cbranch_execz .LBB8_1624
; %bb.1619:
	v_cmp_lt_u32_e32 vcc_lo, 0x37ffffff, v3
	s_mov_b32 s7, 0
                                        ; implicit-def: $vgpr3
	s_and_saveexec_b32 s8, vcc_lo
	s_delay_alu instid0(SALU_CYCLE_1)
	s_xor_b32 s8, exec_lo, s8
	s_cbranch_execz .LBB8_2064
; %bb.1620:
	v_bfe_u32 v3, v2, 21, 1
	s_mov_b32 s7, exec_lo
	s_delay_alu instid0(VALU_DEP_1) | instskip(NEXT) | instid1(VALU_DEP_1)
	v_add3_u32 v3, v2, v3, 0x88fffff
	v_lshrrev_b32_e32 v3, 21, v3
	s_and_not1_saveexec_b32 s8, s8
	s_cbranch_execnz .LBB8_2065
.LBB8_1621:
	s_or_b32 exec_lo, exec_lo, s8
	v_mov_b32_e32 v7, 0
	s_and_saveexec_b32 s8, s7
.LBB8_1622:
	v_lshrrev_b32_e32 v2, 24, v2
	s_delay_alu instid0(VALU_DEP_1)
	v_and_or_b32 v7, 0x80, v2, v3
.LBB8_1623:
	s_or_b32 exec_lo, exec_lo, s8
.LBB8_1624:
	s_delay_alu instid0(SALU_CYCLE_1)
	s_or_b32 exec_lo, exec_lo, s6
	s_mov_b32 s6, 0
	global_store_b8 v[10:11], v7, off
.LBB8_1625:
	s_and_b32 vcc_lo, exec_lo, s6
	s_cbranch_vccz .LBB8_1635
; %bb.1626:
	s_wait_xcnt 0x0
	v_cvt_f32_f64_e32 v2, v[0:1]
	s_mov_b32 s6, exec_lo
                                        ; implicit-def: $vgpr3
	s_delay_alu instid0(VALU_DEP_1) | instskip(NEXT) | instid1(VALU_DEP_1)
	v_and_b32_e32 v7, 0x7fffffff, v2
	v_cmpx_gt_u32_e32 0x43f00000, v7
	s_xor_b32 s6, exec_lo, s6
	s_cbranch_execz .LBB8_1632
; %bb.1627:
	s_mov_b32 s7, exec_lo
                                        ; implicit-def: $vgpr3
	v_cmpx_lt_u32_e32 0x3c7fffff, v7
	s_xor_b32 s7, exec_lo, s7
; %bb.1628:
	v_bfe_u32 v3, v2, 20, 1
	s_delay_alu instid0(VALU_DEP_1) | instskip(NEXT) | instid1(VALU_DEP_1)
	v_add3_u32 v3, v2, v3, 0x407ffff
	v_and_b32_e32 v7, 0xff00000, v3
	v_lshrrev_b32_e32 v3, 20, v3
	s_delay_alu instid0(VALU_DEP_2) | instskip(NEXT) | instid1(VALU_DEP_2)
	v_cmp_ne_u32_e32 vcc_lo, 0x7f00000, v7
	v_cndmask_b32_e32 v3, 0x7e, v3, vcc_lo
; %bb.1629:
	s_and_not1_saveexec_b32 s7, s7
; %bb.1630:
	v_add_f32_e64 v3, 0x46800000, |v2|
; %bb.1631:
	s_or_b32 exec_lo, exec_lo, s7
                                        ; implicit-def: $vgpr7
.LBB8_1632:
	s_and_not1_saveexec_b32 s6, s6
; %bb.1633:
	v_mov_b32_e32 v3, 0x7f
	v_cmp_lt_u32_e32 vcc_lo, 0x7f800000, v7
	s_delay_alu instid0(VALU_DEP_2)
	v_cndmask_b32_e32 v3, 0x7e, v3, vcc_lo
; %bb.1634:
	s_or_b32 exec_lo, exec_lo, s6
	v_lshrrev_b32_e32 v2, 24, v2
	s_delay_alu instid0(VALU_DEP_1)
	v_and_or_b32 v2, 0x80, v2, v3
	global_store_b8 v[10:11], v2, off
.LBB8_1635:
	s_mov_b32 s6, 0
.LBB8_1636:
	s_delay_alu instid0(SALU_CYCLE_1)
	s_and_not1_b32 vcc_lo, exec_lo, s6
	s_cbranch_vccnz .LBB8_1646
; %bb.1637:
	s_wait_xcnt 0x0
	v_cvt_f32_f64_e32 v2, v[0:1]
	s_mov_b32 s6, exec_lo
                                        ; implicit-def: $vgpr3
	s_delay_alu instid0(VALU_DEP_1) | instskip(NEXT) | instid1(VALU_DEP_1)
	v_and_b32_e32 v7, 0x7fffffff, v2
	v_cmpx_gt_u32_e32 0x47800000, v7
	s_xor_b32 s6, exec_lo, s6
	s_cbranch_execz .LBB8_1643
; %bb.1638:
	s_mov_b32 s7, exec_lo
                                        ; implicit-def: $vgpr3
	v_cmpx_lt_u32_e32 0x387fffff, v7
	s_xor_b32 s7, exec_lo, s7
; %bb.1639:
	v_bfe_u32 v3, v2, 21, 1
	s_delay_alu instid0(VALU_DEP_1) | instskip(NEXT) | instid1(VALU_DEP_1)
	v_add3_u32 v3, v2, v3, 0x80fffff
	v_lshrrev_b32_e32 v3, 21, v3
; %bb.1640:
	s_and_not1_saveexec_b32 s7, s7
; %bb.1641:
	v_add_f32_e64 v3, 0x43000000, |v2|
; %bb.1642:
	s_or_b32 exec_lo, exec_lo, s7
                                        ; implicit-def: $vgpr7
.LBB8_1643:
	s_and_not1_saveexec_b32 s6, s6
; %bb.1644:
	v_mov_b32_e32 v3, 0x7f
	v_cmp_lt_u32_e32 vcc_lo, 0x7f800000, v7
	s_delay_alu instid0(VALU_DEP_2)
	v_cndmask_b32_e32 v3, 0x7c, v3, vcc_lo
; %bb.1645:
	s_or_b32 exec_lo, exec_lo, s6
	v_lshrrev_b32_e32 v2, 24, v2
	s_delay_alu instid0(VALU_DEP_1)
	v_and_or_b32 v2, 0x80, v2, v3
	global_store_b8 v[10:11], v2, off
.LBB8_1646:
	s_mov_b32 s6, 0
	s_mov_b32 s7, -1
.LBB8_1647:
	s_and_not1_b32 vcc_lo, exec_lo, s6
	s_mov_b32 s6, 0
	s_cbranch_vccnz .LBB8_1654
; %bb.1648:
	s_cmp_gt_i32 s3, 14
	s_mov_b32 s6, -1
	s_cbranch_scc0 .LBB8_1652
; %bb.1649:
	s_cmp_eq_u32 s3, 15
	s_mov_b32 s0, -1
	s_cbranch_scc0 .LBB8_1651
; %bb.1650:
	s_wait_xcnt 0x0
	v_cvt_f32_f64_e32 v2, v[0:1]
	s_mov_b32 s0, 0
	s_mov_b32 s7, -1
	s_delay_alu instid0(VALU_DEP_1) | instskip(SKIP_1) | instid1(VALU_DEP_2)
	v_bfe_u32 v3, v2, 16, 1
	v_cmp_o_f32_e32 vcc_lo, v2, v2
	v_add3_u32 v3, v2, v3, 0x7fff
	s_delay_alu instid0(VALU_DEP_1) | instskip(NEXT) | instid1(VALU_DEP_1)
	v_lshrrev_b32_e32 v3, 16, v3
	v_cndmask_b32_e32 v2, 0x7fc0, v3, vcc_lo
	global_store_b16 v[10:11], v2, off
.LBB8_1651:
	s_mov_b32 s6, 0
.LBB8_1652:
	s_delay_alu instid0(SALU_CYCLE_1)
	s_and_b32 vcc_lo, exec_lo, s6
	s_mov_b32 s6, 0
	s_cbranch_vccz .LBB8_1654
; %bb.1653:
	s_cmp_lg_u32 s3, 11
	s_mov_b32 s6, -1
	s_cselect_b32 s0, -1, 0
.LBB8_1654:
	s_delay_alu instid0(SALU_CYCLE_1)
	s_and_b32 vcc_lo, exec_lo, s0
	s_cbranch_vccnz .LBB8_2063
; %bb.1655:
	s_and_not1_b32 vcc_lo, exec_lo, s6
	s_cbranch_vccnz .LBB8_1657
.LBB8_1656:
	v_cmp_neq_f64_e32 vcc_lo, 0, v[0:1]
	s_mov_b32 s7, -1
	s_wait_xcnt 0x0
	v_cndmask_b32_e64 v2, 0, 1, vcc_lo
	global_store_b8 v[10:11], v2, off
.LBB8_1657:
	s_mov_b32 s0, 0
	s_branch .LBB8_1704
.LBB8_1658:
	s_mov_b32 s0, 0
	s_mov_b32 s3, 0
                                        ; implicit-def: $sgpr12
                                        ; implicit-def: $vgpr0_vgpr1
                                        ; implicit-def: $vgpr12_vgpr13
.LBB8_1659:
	s_and_not1_b32 s2, s11, exec_lo
	s_and_b32 s4, s1, exec_lo
	s_and_b32 s0, s0, exec_lo
	s_and_b32 s1, s3, exec_lo
	s_or_b32 s11, s2, s4
.LBB8_1660:
	s_wait_xcnt 0x0
	s_or_b32 exec_lo, exec_lo, s10
	s_and_saveexec_b32 s2, s11
	s_cbranch_execz .LBB8_1663
; %bb.1661:
	; divergent unreachable
	s_or_b32 exec_lo, exec_lo, s2
	s_and_saveexec_b32 s2, s1
	s_delay_alu instid0(SALU_CYCLE_1)
	s_xor_b32 s1, exec_lo, s2
	s_cbranch_execnz .LBB8_1664
.LBB8_1662:
	s_or_b32 exec_lo, exec_lo, s1
	s_and_saveexec_b32 s1, s0
	s_cbranch_execnz .LBB8_1665
	s_branch .LBB8_1702
.LBB8_1663:
	s_or_b32 exec_lo, exec_lo, s2
	s_and_saveexec_b32 s2, s1
	s_delay_alu instid0(SALU_CYCLE_1)
	s_xor_b32 s1, exec_lo, s2
	s_cbranch_execz .LBB8_1662
.LBB8_1664:
	s_delay_alu instid0(VALU_DEP_4)
	v_cmp_neq_f64_e32 vcc_lo, 0, v[12:13]
	s_wait_loadcnt 0x0
	v_cndmask_b32_e64 v2, 0, 1, vcc_lo
	global_store_b8 v[0:1], v2, off
	s_wait_xcnt 0x0
	s_or_b32 exec_lo, exec_lo, s1
	s_and_saveexec_b32 s1, s0
	s_cbranch_execz .LBB8_1702
.LBB8_1665:
	s_sext_i32_i16 s1, s12
	s_mov_b32 s0, -1
	s_cmp_lt_i32 s1, 5
	s_cbranch_scc1 .LBB8_1686
; %bb.1666:
	s_cmp_lt_i32 s1, 8
	s_cbranch_scc1 .LBB8_1676
; %bb.1667:
	;; [unrolled: 3-line block ×3, first 2 shown]
	s_cmp_gt_i32 s1, 9
	s_cbranch_scc0 .LBB8_1670
; %bb.1669:
	v_mov_b32_e32 v14, 0
	s_mov_b32 s0, 0
	s_delay_alu instid0(VALU_DEP_1)
	v_mov_b32_e32 v15, v14
	global_store_b128 v[0:1], v[12:15], off
.LBB8_1670:
	s_and_not1_b32 vcc_lo, exec_lo, s0
	s_cbranch_vccnz .LBB8_1672
; %bb.1671:
	s_wait_loadcnt 0x0
	v_cvt_f32_f64_e32 v2, v[12:13]
	v_mov_b32_e32 v3, 0
	global_store_b64 v[0:1], v[2:3], off
.LBB8_1672:
	s_mov_b32 s0, 0
.LBB8_1673:
	s_delay_alu instid0(SALU_CYCLE_1)
	s_and_not1_b32 vcc_lo, exec_lo, s0
	s_cbranch_vccnz .LBB8_1675
; %bb.1674:
	s_wait_loadcnt 0x0
	v_and_or_b32 v2, 0x1ff, v13, v12
	v_lshrrev_b32_e32 v3, 8, v13
	v_bfe_u32 v4, v13, 20, 11
	s_delay_alu instid0(VALU_DEP_3) | instskip(NEXT) | instid1(VALU_DEP_2)
	v_cmp_ne_u32_e32 vcc_lo, 0, v2
	v_sub_nc_u32_e32 v5, 0x3f1, v4
	v_add_nc_u32_e32 v4, 0xfffffc10, v4
	v_cndmask_b32_e64 v2, 0, 1, vcc_lo
	s_delay_alu instid0(VALU_DEP_1) | instskip(NEXT) | instid1(VALU_DEP_4)
	v_and_or_b32 v2, 0xffe, v3, v2
	v_med3_i32 v3, v5, 0, 13
	s_delay_alu instid0(VALU_DEP_2) | instskip(NEXT) | instid1(VALU_DEP_1)
	v_or_b32_e32 v5, 0x1000, v2
	v_lshrrev_b32_e32 v6, v3, v5
	s_delay_alu instid0(VALU_DEP_1) | instskip(NEXT) | instid1(VALU_DEP_1)
	v_lshlrev_b32_e32 v3, v3, v6
	v_cmp_ne_u32_e32 vcc_lo, v3, v5
	v_lshl_or_b32 v5, v4, 12, v2
	v_cndmask_b32_e64 v3, 0, 1, vcc_lo
	v_cmp_gt_i32_e32 vcc_lo, 1, v4
	s_delay_alu instid0(VALU_DEP_2) | instskip(NEXT) | instid1(VALU_DEP_1)
	v_or_b32_e32 v3, v6, v3
	v_cndmask_b32_e32 v3, v5, v3, vcc_lo
	s_delay_alu instid0(VALU_DEP_1) | instskip(NEXT) | instid1(VALU_DEP_1)
	v_dual_lshrrev_b32 v3, 2, v3 :: v_dual_bitop2_b32 v5, 7, v3 bitop3:0x40
	v_cmp_lt_i32_e32 vcc_lo, 5, v5
	v_cndmask_b32_e64 v6, 0, 1, vcc_lo
	v_cmp_eq_u32_e32 vcc_lo, 3, v5
	v_cndmask_b32_e64 v5, 0, 1, vcc_lo
	v_cmp_ne_u32_e32 vcc_lo, 0, v2
	s_delay_alu instid0(VALU_DEP_2) | instskip(NEXT) | instid1(VALU_DEP_1)
	v_or_b32_e32 v5, v5, v6
	v_dual_mov_b32 v6, 0x7e00 :: v_dual_add_nc_u32 v3, v3, v5
	s_delay_alu instid0(VALU_DEP_1) | instskip(SKIP_2) | instid1(VALU_DEP_4)
	v_cndmask_b32_e32 v2, 0x7c00, v6, vcc_lo
	v_cmp_gt_i32_e32 vcc_lo, 31, v4
	v_lshrrev_b32_e32 v5, 16, v13
	v_cndmask_b32_e32 v3, 0x7c00, v3, vcc_lo
	v_cmp_eq_u32_e32 vcc_lo, 0x40f, v4
	s_delay_alu instid0(VALU_DEP_2) | instskip(NEXT) | instid1(VALU_DEP_4)
	v_cndmask_b32_e32 v2, v3, v2, vcc_lo
	v_and_b32_e32 v3, 0x8000, v5
	s_delay_alu instid0(VALU_DEP_1)
	v_bitop3_b32 v2, v3, 0xffff, v2 bitop3:0xc8
	global_store_b32 v[0:1], v2, off
.LBB8_1675:
	s_mov_b32 s0, 0
.LBB8_1676:
	s_delay_alu instid0(SALU_CYCLE_1)
	s_and_not1_b32 vcc_lo, exec_lo, s0
	s_cbranch_vccnz .LBB8_1685
; %bb.1677:
	s_sext_i32_i16 s1, s12
	s_mov_b32 s0, -1
	s_cmp_lt_i32 s1, 6
	s_cbranch_scc1 .LBB8_1683
; %bb.1678:
	s_cmp_gt_i32 s1, 6
	s_cbranch_scc0 .LBB8_1680
; %bb.1679:
	s_mov_b32 s0, 0
	global_store_b64 v[0:1], v[12:13], off
.LBB8_1680:
	s_and_not1_b32 vcc_lo, exec_lo, s0
	s_cbranch_vccnz .LBB8_1682
; %bb.1681:
	s_wait_loadcnt 0x0
	v_cvt_f32_f64_e32 v2, v[12:13]
	global_store_b32 v[0:1], v2, off
.LBB8_1682:
	s_mov_b32 s0, 0
.LBB8_1683:
	s_delay_alu instid0(SALU_CYCLE_1)
	s_and_not1_b32 vcc_lo, exec_lo, s0
	s_cbranch_vccnz .LBB8_1685
; %bb.1684:
	s_wait_loadcnt 0x0
	v_and_or_b32 v2, 0x1ff, v13, v12
	v_lshrrev_b32_e32 v3, 8, v13
	v_bfe_u32 v4, v13, 20, 11
	s_delay_alu instid0(VALU_DEP_3) | instskip(NEXT) | instid1(VALU_DEP_2)
	v_cmp_ne_u32_e32 vcc_lo, 0, v2
	v_sub_nc_u32_e32 v5, 0x3f1, v4
	v_add_nc_u32_e32 v4, 0xfffffc10, v4
	v_cndmask_b32_e64 v2, 0, 1, vcc_lo
	s_delay_alu instid0(VALU_DEP_1) | instskip(NEXT) | instid1(VALU_DEP_4)
	v_and_or_b32 v2, 0xffe, v3, v2
	v_med3_i32 v3, v5, 0, 13
	s_delay_alu instid0(VALU_DEP_2) | instskip(NEXT) | instid1(VALU_DEP_1)
	v_or_b32_e32 v5, 0x1000, v2
	v_lshrrev_b32_e32 v6, v3, v5
	s_delay_alu instid0(VALU_DEP_1) | instskip(NEXT) | instid1(VALU_DEP_1)
	v_lshlrev_b32_e32 v3, v3, v6
	v_cmp_ne_u32_e32 vcc_lo, v3, v5
	v_lshl_or_b32 v5, v4, 12, v2
	v_cndmask_b32_e64 v3, 0, 1, vcc_lo
	v_cmp_gt_i32_e32 vcc_lo, 1, v4
	s_delay_alu instid0(VALU_DEP_2) | instskip(NEXT) | instid1(VALU_DEP_1)
	v_or_b32_e32 v3, v6, v3
	v_cndmask_b32_e32 v3, v5, v3, vcc_lo
	s_delay_alu instid0(VALU_DEP_1) | instskip(NEXT) | instid1(VALU_DEP_1)
	v_dual_lshrrev_b32 v3, 2, v3 :: v_dual_bitop2_b32 v5, 7, v3 bitop3:0x40
	v_cmp_lt_i32_e32 vcc_lo, 5, v5
	v_cndmask_b32_e64 v6, 0, 1, vcc_lo
	v_cmp_eq_u32_e32 vcc_lo, 3, v5
	v_cndmask_b32_e64 v5, 0, 1, vcc_lo
	v_cmp_ne_u32_e32 vcc_lo, 0, v2
	s_delay_alu instid0(VALU_DEP_2) | instskip(NEXT) | instid1(VALU_DEP_1)
	v_or_b32_e32 v5, v5, v6
	v_dual_mov_b32 v6, 0x7e00 :: v_dual_add_nc_u32 v3, v3, v5
	s_delay_alu instid0(VALU_DEP_1) | instskip(SKIP_1) | instid1(VALU_DEP_3)
	v_cndmask_b32_e32 v2, 0x7c00, v6, vcc_lo
	v_cmp_gt_i32_e32 vcc_lo, 31, v4
	v_cndmask_b32_e32 v3, 0x7c00, v3, vcc_lo
	v_cmp_eq_u32_e32 vcc_lo, 0x40f, v4
	s_delay_alu instid0(VALU_DEP_2) | instskip(NEXT) | instid1(VALU_DEP_1)
	v_dual_cndmask_b32 v2, v3, v2 :: v_dual_lshrrev_b32 v3, 16, v13
	v_and_or_b32 v2, 0x8000, v3, v2
	global_store_b16 v[0:1], v2, off
.LBB8_1685:
	s_mov_b32 s0, 0
.LBB8_1686:
	s_delay_alu instid0(SALU_CYCLE_1)
	s_and_not1_b32 vcc_lo, exec_lo, s0
	s_cbranch_vccnz .LBB8_1702
; %bb.1687:
	s_sext_i32_i16 s1, s12
	s_mov_b32 s0, -1
	s_cmp_lt_i32 s1, 2
	s_cbranch_scc1 .LBB8_1697
; %bb.1688:
	s_cmp_lt_i32 s1, 3
	s_cbranch_scc1 .LBB8_1694
; %bb.1689:
	s_cmp_gt_i32 s1, 3
	s_cbranch_scc0 .LBB8_1691
; %bb.1690:
	s_wait_loadcnt 0x0
	v_trunc_f64_e32 v[2:3], v[12:13]
	s_mov_b32 s0, 0
	s_delay_alu instid0(VALU_DEP_1) | instskip(NEXT) | instid1(VALU_DEP_1)
	v_ldexp_f64 v[4:5], v[2:3], 0xffffffe0
	v_floor_f64_e32 v[4:5], v[4:5]
	s_delay_alu instid0(VALU_DEP_1) | instskip(SKIP_1) | instid1(VALU_DEP_2)
	v_fmamk_f64 v[2:3], v[4:5], 0xc1f00000, v[2:3]
	v_cvt_i32_f64_e32 v5, v[4:5]
	v_cvt_u32_f64_e32 v4, v[2:3]
	global_store_b64 v[0:1], v[4:5], off
.LBB8_1691:
	s_and_not1_b32 vcc_lo, exec_lo, s0
	s_cbranch_vccnz .LBB8_1693
; %bb.1692:
	s_wait_loadcnt 0x0
	v_cvt_i32_f64_e32 v2, v[12:13]
	global_store_b32 v[0:1], v2, off
.LBB8_1693:
	s_mov_b32 s0, 0
.LBB8_1694:
	s_delay_alu instid0(SALU_CYCLE_1)
	s_and_not1_b32 vcc_lo, exec_lo, s0
	s_cbranch_vccnz .LBB8_1696
; %bb.1695:
	s_wait_loadcnt 0x0
	v_cvt_i32_f64_e32 v2, v[12:13]
	global_store_b16 v[0:1], v2, off
.LBB8_1696:
	s_mov_b32 s0, 0
.LBB8_1697:
	s_delay_alu instid0(SALU_CYCLE_1)
	s_and_not1_b32 vcc_lo, exec_lo, s0
	s_cbranch_vccnz .LBB8_1702
; %bb.1698:
	s_sext_i32_i16 s0, s12
	s_delay_alu instid0(SALU_CYCLE_1)
	s_cmp_gt_i32 s0, 0
	s_mov_b32 s0, -1
	s_cbranch_scc0 .LBB8_1700
; %bb.1699:
	s_wait_loadcnt 0x0
	v_cvt_i32_f64_e32 v2, v[12:13]
	s_mov_b32 s0, 0
	global_store_b8 v[0:1], v2, off
.LBB8_1700:
	s_and_not1_b32 vcc_lo, exec_lo, s0
	s_cbranch_vccnz .LBB8_1702
; %bb.1701:
	s_wait_loadcnt 0x0
	v_trunc_f64_e32 v[2:3], v[12:13]
	s_delay_alu instid0(VALU_DEP_1) | instskip(NEXT) | instid1(VALU_DEP_1)
	v_ldexp_f64 v[4:5], v[2:3], 0xffffffe0
	v_floor_f64_e32 v[4:5], v[4:5]
	s_delay_alu instid0(VALU_DEP_1) | instskip(NEXT) | instid1(VALU_DEP_1)
	v_fmamk_f64 v[2:3], v[4:5], 0xc1f00000, v[2:3]
	v_cvt_u32_f64_e32 v2, v[2:3]
	global_store_b8 v[0:1], v2, off
	s_endpgm
.LBB8_1702:
	s_endpgm
.LBB8_1703:
	s_mov_b32 s0, -1
	s_mov_b32 s7, 0
.LBB8_1704:
	s_and_b32 vcc_lo, exec_lo, s0
	s_cbranch_vccz .LBB8_1743
; %bb.1705:
	s_and_b32 s0, 0xffff, s12
	s_mov_b32 s3, -1
	s_cmp_lt_i32 s0, 5
	s_cbranch_scc1 .LBB8_1726
; %bb.1706:
	s_cmp_lt_i32 s0, 8
	s_cbranch_scc1 .LBB8_1716
; %bb.1707:
	s_cmp_lt_i32 s0, 9
	s_cbranch_scc1 .LBB8_1713
; %bb.1708:
	s_cmp_gt_i32 s0, 9
	s_cbranch_scc0 .LBB8_1710
; %bb.1709:
	s_wait_xcnt 0x0
	v_mov_b32_e32 v2, 0
	s_mov_b32 s3, 0
	s_delay_alu instid0(VALU_DEP_1)
	v_mov_b32_e32 v3, v2
	global_store_b128 v[10:11], v[0:3], off
.LBB8_1710:
	s_and_not1_b32 vcc_lo, exec_lo, s3
	s_cbranch_vccnz .LBB8_1712
; %bb.1711:
	s_wait_xcnt 0x0
	v_cvt_f32_f64_e32 v2, v[0:1]
	v_mov_b32_e32 v3, 0
	global_store_b64 v[10:11], v[2:3], off
.LBB8_1712:
	s_mov_b32 s3, 0
.LBB8_1713:
	s_delay_alu instid0(SALU_CYCLE_1)
	s_and_not1_b32 vcc_lo, exec_lo, s3
	s_cbranch_vccnz .LBB8_1715
; %bb.1714:
	s_wait_xcnt 0x0
	v_and_or_b32 v2, 0x1ff, v1, v0
	v_lshrrev_b32_e32 v3, 8, v1
	v_bfe_u32 v7, v1, 20, 11
	s_delay_alu instid0(VALU_DEP_3) | instskip(NEXT) | instid1(VALU_DEP_2)
	v_cmp_ne_u32_e32 vcc_lo, 0, v2
	v_sub_nc_u32_e32 v14, 0x3f1, v7
	v_add_nc_u32_e32 v7, 0xfffffc10, v7
	v_cndmask_b32_e64 v2, 0, 1, vcc_lo
	s_delay_alu instid0(VALU_DEP_1) | instskip(NEXT) | instid1(VALU_DEP_4)
	v_and_or_b32 v2, 0xffe, v3, v2
	v_med3_i32 v3, v14, 0, 13
	s_delay_alu instid0(VALU_DEP_2) | instskip(NEXT) | instid1(VALU_DEP_1)
	v_or_b32_e32 v14, 0x1000, v2
	v_lshrrev_b32_e32 v15, v3, v14
	s_delay_alu instid0(VALU_DEP_1) | instskip(NEXT) | instid1(VALU_DEP_1)
	v_lshlrev_b32_e32 v3, v3, v15
	v_cmp_ne_u32_e32 vcc_lo, v3, v14
	v_lshl_or_b32 v14, v7, 12, v2
	v_cndmask_b32_e64 v3, 0, 1, vcc_lo
	v_cmp_gt_i32_e32 vcc_lo, 1, v7
	s_delay_alu instid0(VALU_DEP_2) | instskip(NEXT) | instid1(VALU_DEP_1)
	v_or_b32_e32 v3, v15, v3
	v_cndmask_b32_e32 v3, v14, v3, vcc_lo
	s_delay_alu instid0(VALU_DEP_1) | instskip(NEXT) | instid1(VALU_DEP_1)
	v_dual_lshrrev_b32 v3, 2, v3 :: v_dual_bitop2_b32 v14, 7, v3 bitop3:0x40
	v_cmp_lt_i32_e32 vcc_lo, 5, v14
	v_cndmask_b32_e64 v15, 0, 1, vcc_lo
	v_cmp_eq_u32_e32 vcc_lo, 3, v14
	v_cndmask_b32_e64 v14, 0, 1, vcc_lo
	v_cmp_ne_u32_e32 vcc_lo, 0, v2
	s_delay_alu instid0(VALU_DEP_2) | instskip(SKIP_1) | instid1(VALU_DEP_1)
	v_or_b32_e32 v14, v14, v15
	v_mov_b32_e32 v15, 0x7e00
	v_dual_cndmask_b32 v2, 0x7c00, v15 :: v_dual_add_nc_u32 v3, v3, v14
	v_cmp_gt_i32_e32 vcc_lo, 31, v7
	s_delay_alu instid0(VALU_DEP_2) | instskip(SKIP_1) | instid1(VALU_DEP_2)
	v_dual_cndmask_b32 v3, 0x7c00, v3 :: v_dual_lshrrev_b32 v14, 16, v1
	v_cmp_eq_u32_e32 vcc_lo, 0x40f, v7
	v_cndmask_b32_e32 v2, v3, v2, vcc_lo
	s_delay_alu instid0(VALU_DEP_3) | instskip(NEXT) | instid1(VALU_DEP_1)
	v_and_b32_e32 v3, 0x8000, v14
	v_bitop3_b32 v2, v3, 0xffff, v2 bitop3:0xc8
	global_store_b32 v[10:11], v2, off
.LBB8_1715:
	s_mov_b32 s3, 0
.LBB8_1716:
	s_delay_alu instid0(SALU_CYCLE_1)
	s_and_not1_b32 vcc_lo, exec_lo, s3
	s_cbranch_vccnz .LBB8_1725
; %bb.1717:
	s_cmp_lt_i32 s0, 6
	s_mov_b32 s3, -1
	s_cbranch_scc1 .LBB8_1723
; %bb.1718:
	s_cmp_gt_i32 s0, 6
	s_cbranch_scc0 .LBB8_1720
; %bb.1719:
	s_mov_b32 s3, 0
	global_store_b64 v[10:11], v[0:1], off
.LBB8_1720:
	s_and_not1_b32 vcc_lo, exec_lo, s3
	s_cbranch_vccnz .LBB8_1722
; %bb.1721:
	s_wait_xcnt 0x0
	v_cvt_f32_f64_e32 v2, v[0:1]
	global_store_b32 v[10:11], v2, off
.LBB8_1722:
	s_mov_b32 s3, 0
.LBB8_1723:
	s_delay_alu instid0(SALU_CYCLE_1)
	s_and_not1_b32 vcc_lo, exec_lo, s3
	s_cbranch_vccnz .LBB8_1725
; %bb.1724:
	s_wait_xcnt 0x0
	v_and_or_b32 v2, 0x1ff, v1, v0
	v_lshrrev_b32_e32 v3, 8, v1
	v_bfe_u32 v7, v1, 20, 11
	s_delay_alu instid0(VALU_DEP_3) | instskip(NEXT) | instid1(VALU_DEP_2)
	v_cmp_ne_u32_e32 vcc_lo, 0, v2
	v_sub_nc_u32_e32 v14, 0x3f1, v7
	v_add_nc_u32_e32 v7, 0xfffffc10, v7
	v_cndmask_b32_e64 v2, 0, 1, vcc_lo
	s_delay_alu instid0(VALU_DEP_1) | instskip(NEXT) | instid1(VALU_DEP_4)
	v_and_or_b32 v2, 0xffe, v3, v2
	v_med3_i32 v3, v14, 0, 13
	s_delay_alu instid0(VALU_DEP_2) | instskip(NEXT) | instid1(VALU_DEP_1)
	v_or_b32_e32 v14, 0x1000, v2
	v_lshrrev_b32_e32 v15, v3, v14
	s_delay_alu instid0(VALU_DEP_1) | instskip(NEXT) | instid1(VALU_DEP_1)
	v_lshlrev_b32_e32 v3, v3, v15
	v_cmp_ne_u32_e32 vcc_lo, v3, v14
	v_lshl_or_b32 v14, v7, 12, v2
	v_cndmask_b32_e64 v3, 0, 1, vcc_lo
	v_cmp_gt_i32_e32 vcc_lo, 1, v7
	s_delay_alu instid0(VALU_DEP_2) | instskip(NEXT) | instid1(VALU_DEP_1)
	v_or_b32_e32 v3, v15, v3
	v_cndmask_b32_e32 v3, v14, v3, vcc_lo
	s_delay_alu instid0(VALU_DEP_1) | instskip(NEXT) | instid1(VALU_DEP_1)
	v_dual_lshrrev_b32 v3, 2, v3 :: v_dual_bitop2_b32 v14, 7, v3 bitop3:0x40
	v_cmp_lt_i32_e32 vcc_lo, 5, v14
	v_cndmask_b32_e64 v15, 0, 1, vcc_lo
	v_cmp_eq_u32_e32 vcc_lo, 3, v14
	v_cndmask_b32_e64 v14, 0, 1, vcc_lo
	v_cmp_ne_u32_e32 vcc_lo, 0, v2
	s_delay_alu instid0(VALU_DEP_2) | instskip(SKIP_1) | instid1(VALU_DEP_1)
	v_or_b32_e32 v14, v14, v15
	v_mov_b32_e32 v15, 0x7e00
	v_dual_cndmask_b32 v2, 0x7c00, v15 :: v_dual_add_nc_u32 v3, v3, v14
	v_cmp_gt_i32_e32 vcc_lo, 31, v7
	s_delay_alu instid0(VALU_DEP_2) | instskip(SKIP_1) | instid1(VALU_DEP_2)
	v_cndmask_b32_e32 v3, 0x7c00, v3, vcc_lo
	v_cmp_eq_u32_e32 vcc_lo, 0x40f, v7
	v_dual_cndmask_b32 v2, v3, v2 :: v_dual_lshrrev_b32 v3, 16, v1
	s_delay_alu instid0(VALU_DEP_1)
	v_and_or_b32 v2, 0x8000, v3, v2
	global_store_b16 v[10:11], v2, off
.LBB8_1725:
	s_mov_b32 s3, 0
.LBB8_1726:
	s_delay_alu instid0(SALU_CYCLE_1)
	s_and_not1_b32 vcc_lo, exec_lo, s3
	s_cbranch_vccnz .LBB8_1742
; %bb.1727:
	s_cmp_lt_i32 s0, 2
	s_mov_b32 s3, -1
	s_cbranch_scc1 .LBB8_1737
; %bb.1728:
	s_cmp_lt_i32 s0, 3
	s_cbranch_scc1 .LBB8_1734
; %bb.1729:
	s_cmp_gt_i32 s0, 3
	s_cbranch_scc0 .LBB8_1731
; %bb.1730:
	s_wait_xcnt 0x0
	v_trunc_f64_e32 v[2:3], v[0:1]
	s_mov_b32 s3, 0
	s_delay_alu instid0(VALU_DEP_1) | instskip(NEXT) | instid1(VALU_DEP_1)
	v_ldexp_f64 v[14:15], v[2:3], 0xffffffe0
	v_floor_f64_e32 v[14:15], v[14:15]
	s_delay_alu instid0(VALU_DEP_1) | instskip(SKIP_1) | instid1(VALU_DEP_2)
	v_fmamk_f64 v[2:3], v[14:15], 0xc1f00000, v[2:3]
	v_cvt_i32_f64_e32 v15, v[14:15]
	v_cvt_u32_f64_e32 v14, v[2:3]
	global_store_b64 v[10:11], v[14:15], off
.LBB8_1731:
	s_and_not1_b32 vcc_lo, exec_lo, s3
	s_cbranch_vccnz .LBB8_1733
; %bb.1732:
	s_wait_xcnt 0x0
	v_cvt_i32_f64_e32 v2, v[0:1]
	global_store_b32 v[10:11], v2, off
.LBB8_1733:
	s_mov_b32 s3, 0
.LBB8_1734:
	s_delay_alu instid0(SALU_CYCLE_1)
	s_and_not1_b32 vcc_lo, exec_lo, s3
	s_cbranch_vccnz .LBB8_1736
; %bb.1735:
	s_wait_xcnt 0x0
	v_cvt_i32_f64_e32 v2, v[0:1]
	global_store_b16 v[10:11], v2, off
.LBB8_1736:
	s_mov_b32 s3, 0
.LBB8_1737:
	s_delay_alu instid0(SALU_CYCLE_1)
	s_and_not1_b32 vcc_lo, exec_lo, s3
	s_cbranch_vccnz .LBB8_1742
; %bb.1738:
	s_cmp_gt_i32 s0, 0
	s_mov_b32 s0, -1
	s_cbranch_scc0 .LBB8_1740
; %bb.1739:
	s_wait_xcnt 0x0
	v_cvt_i32_f64_e32 v2, v[0:1]
	s_mov_b32 s0, 0
	global_store_b8 v[10:11], v2, off
.LBB8_1740:
	s_and_not1_b32 vcc_lo, exec_lo, s0
	s_cbranch_vccnz .LBB8_1742
; %bb.1741:
	s_wait_xcnt 0x0
	v_trunc_f64_e32 v[0:1], v[0:1]
	s_delay_alu instid0(VALU_DEP_1) | instskip(NEXT) | instid1(VALU_DEP_1)
	v_ldexp_f64 v[2:3], v[0:1], 0xffffffe0
	v_floor_f64_e32 v[2:3], v[2:3]
	s_delay_alu instid0(VALU_DEP_1) | instskip(NEXT) | instid1(VALU_DEP_1)
	v_fmamk_f64 v[0:1], v[2:3], 0xc1f00000, v[0:1]
	v_cvt_u32_f64_e32 v0, v[0:1]
	global_store_b8 v[10:11], v0, off
.LBB8_1742:
	s_mov_b32 s7, -1
.LBB8_1743:
	s_delay_alu instid0(SALU_CYCLE_1)
	s_and_not1_b32 vcc_lo, exec_lo, s7
	s_cbranch_vccnz .LBB8_2058
; %bb.1744:
	s_lshl_b32 s2, s2, 7
	s_cmp_lt_i32 s12, 11
	s_wait_xcnt 0x0
	v_add_nc_u32_e32 v0, s2, v6
	s_delay_alu instid0(VALU_DEP_1) | instskip(NEXT) | instid1(VALU_DEP_1)
	v_ashrrev_i32_e32 v1, 31, v0
	v_add_nc_u64_e32 v[2:3], s[4:5], v[0:1]
	s_cbranch_scc1 .LBB8_1822
; %bb.1745:
	s_and_b32 s3, 0xffff, s12
	s_mov_b32 s8, -1
	s_mov_b32 s6, 0
	s_cmp_gt_i32 s3, 25
	s_mov_b32 s7, 0
	s_mov_b32 s0, 0
	s_cbranch_scc0 .LBB8_1778
; %bb.1746:
	s_cmp_gt_i32 s3, 28
	s_cbranch_scc0 .LBB8_1761
; %bb.1747:
	s_cmp_gt_i32 s3, 43
	;; [unrolled: 3-line block ×3, first 2 shown]
	s_cbranch_scc0 .LBB8_1751
; %bb.1749:
	s_mov_b32 s0, -1
	s_mov_b32 s8, 0
	s_cmp_eq_u32 s3, 46
	s_cbranch_scc0 .LBB8_1751
; %bb.1750:
	v_cvt_f32_f64_e32 v1, v[4:5]
	s_mov_b32 s0, 0
	s_mov_b32 s7, -1
	s_delay_alu instid0(VALU_DEP_1) | instskip(SKIP_1) | instid1(VALU_DEP_2)
	v_bfe_u32 v6, v1, 16, 1
	v_cmp_o_f32_e32 vcc_lo, v1, v1
	v_add3_u32 v6, v1, v6, 0x7fff
	s_delay_alu instid0(VALU_DEP_1) | instskip(NEXT) | instid1(VALU_DEP_1)
	v_lshrrev_b32_e32 v6, 16, v6
	v_cndmask_b32_e32 v1, 0x7fc0, v6, vcc_lo
	global_store_b32 v[2:3], v1, off
.LBB8_1751:
	s_and_b32 vcc_lo, exec_lo, s8
	s_cbranch_vccz .LBB8_1756
; %bb.1752:
	s_cmp_eq_u32 s3, 44
	s_mov_b32 s0, -1
	s_cbranch_scc0 .LBB8_1756
; %bb.1753:
	s_wait_xcnt 0x0
	v_cvt_f32_f64_e32 v1, v[4:5]
	v_mov_b32_e32 v6, 0xff
	s_mov_b32 s7, exec_lo
	s_delay_alu instid0(VALU_DEP_2) | instskip(NEXT) | instid1(VALU_DEP_1)
	v_bfe_u32 v7, v1, 23, 8
	v_cmpx_ne_u32_e32 0xff, v7
	s_cbranch_execz .LBB8_1755
; %bb.1754:
	v_and_b32_e32 v6, 0x400000, v1
	v_and_or_b32 v7, 0x3fffff, v1, v7
	v_lshrrev_b32_e32 v1, 23, v1
	s_delay_alu instid0(VALU_DEP_3) | instskip(NEXT) | instid1(VALU_DEP_3)
	v_cmp_ne_u32_e32 vcc_lo, 0, v6
	v_cmp_ne_u32_e64 s0, 0, v7
	s_and_b32 s0, vcc_lo, s0
	s_delay_alu instid0(SALU_CYCLE_1) | instskip(NEXT) | instid1(VALU_DEP_1)
	v_cndmask_b32_e64 v6, 0, 1, s0
	v_add_nc_u32_e32 v6, v1, v6
.LBB8_1755:
	s_or_b32 exec_lo, exec_lo, s7
	s_mov_b32 s0, 0
	s_mov_b32 s7, -1
	global_store_b8 v[2:3], v6, off
.LBB8_1756:
	s_mov_b32 s8, 0
.LBB8_1757:
	s_delay_alu instid0(SALU_CYCLE_1)
	s_and_b32 vcc_lo, exec_lo, s8
	s_cbranch_vccz .LBB8_1760
; %bb.1758:
	s_cmp_eq_u32 s3, 29
	s_mov_b32 s0, -1
	s_cbranch_scc0 .LBB8_1760
; %bb.1759:
	s_wait_xcnt 0x0
	v_trunc_f64_e32 v[6:7], v[4:5]
	s_mov_b32 s0, 0
	s_mov_b32 s7, -1
	s_delay_alu instid0(VALU_DEP_1) | instskip(NEXT) | instid1(VALU_DEP_1)
	v_ldexp_f64 v[10:11], v[6:7], 0xffffffe0
	v_floor_f64_e32 v[10:11], v[10:11]
	s_delay_alu instid0(VALU_DEP_1) | instskip(SKIP_1) | instid1(VALU_DEP_2)
	v_fmamk_f64 v[6:7], v[10:11], 0xc1f00000, v[6:7]
	v_cvt_u32_f64_e32 v11, v[10:11]
	v_cvt_u32_f64_e32 v10, v[6:7]
	global_store_b64 v[2:3], v[10:11], off
.LBB8_1760:
	s_mov_b32 s8, 0
.LBB8_1761:
	s_delay_alu instid0(SALU_CYCLE_1)
	s_and_b32 vcc_lo, exec_lo, s8
	s_cbranch_vccz .LBB8_1777
; %bb.1762:
	s_cmp_lt_i32 s3, 27
	s_mov_b32 s7, -1
	s_cbranch_scc1 .LBB8_1768
; %bb.1763:
	s_wait_xcnt 0x0
	v_cvt_u32_f64_e32 v1, v[4:5]
	s_cmp_gt_i32 s3, 27
	s_cbranch_scc0 .LBB8_1765
; %bb.1764:
	s_mov_b32 s7, 0
	global_store_b32 v[2:3], v1, off
.LBB8_1765:
	s_and_not1_b32 vcc_lo, exec_lo, s7
	s_cbranch_vccnz .LBB8_1767
; %bb.1766:
	global_store_b16 v[2:3], v1, off
.LBB8_1767:
	s_mov_b32 s7, 0
.LBB8_1768:
	s_delay_alu instid0(SALU_CYCLE_1)
	s_and_not1_b32 vcc_lo, exec_lo, s7
	s_cbranch_vccnz .LBB8_1776
; %bb.1769:
	s_wait_xcnt 0x0
	v_cvt_f32_f64_e32 v1, v[4:5]
	v_mov_b32_e32 v7, 0x80
	s_mov_b32 s7, exec_lo
	s_delay_alu instid0(VALU_DEP_2) | instskip(NEXT) | instid1(VALU_DEP_1)
	v_and_b32_e32 v6, 0x7fffffff, v1
	v_cmpx_gt_u32_e32 0x43800000, v6
	s_cbranch_execz .LBB8_1775
; %bb.1770:
	v_cmp_lt_u32_e32 vcc_lo, 0x3bffffff, v6
	s_mov_b32 s8, 0
                                        ; implicit-def: $vgpr6
	s_and_saveexec_b32 s9, vcc_lo
	s_delay_alu instid0(SALU_CYCLE_1)
	s_xor_b32 s9, exec_lo, s9
	s_cbranch_execz .LBB8_2066
; %bb.1771:
	v_bfe_u32 v6, v1, 20, 1
	s_mov_b32 s8, exec_lo
	s_delay_alu instid0(VALU_DEP_1) | instskip(NEXT) | instid1(VALU_DEP_1)
	v_add3_u32 v6, v1, v6, 0x487ffff
	v_lshrrev_b32_e32 v6, 20, v6
	s_and_not1_saveexec_b32 s9, s9
	s_cbranch_execnz .LBB8_2067
.LBB8_1772:
	s_or_b32 exec_lo, exec_lo, s9
	v_mov_b32_e32 v7, 0
	s_and_saveexec_b32 s9, s8
.LBB8_1773:
	v_lshrrev_b32_e32 v1, 24, v1
	s_delay_alu instid0(VALU_DEP_1)
	v_and_or_b32 v7, 0x80, v1, v6
.LBB8_1774:
	s_or_b32 exec_lo, exec_lo, s9
.LBB8_1775:
	s_delay_alu instid0(SALU_CYCLE_1)
	s_or_b32 exec_lo, exec_lo, s7
	global_store_b8 v[2:3], v7, off
.LBB8_1776:
	s_mov_b32 s7, -1
.LBB8_1777:
	s_mov_b32 s8, 0
.LBB8_1778:
	s_delay_alu instid0(SALU_CYCLE_1)
	s_and_b32 vcc_lo, exec_lo, s8
	s_cbranch_vccz .LBB8_1818
; %bb.1779:
	s_cmp_gt_i32 s3, 22
	s_mov_b32 s6, -1
	s_cbranch_scc0 .LBB8_1811
; %bb.1780:
	s_cmp_lt_i32 s3, 24
	s_cbranch_scc1 .LBB8_1800
; %bb.1781:
	s_cmp_gt_i32 s3, 24
	s_cbranch_scc0 .LBB8_1789
; %bb.1782:
	s_wait_xcnt 0x0
	v_cvt_f32_f64_e32 v1, v[4:5]
	v_mov_b32_e32 v7, 0x80
	s_mov_b32 s6, exec_lo
	s_delay_alu instid0(VALU_DEP_2) | instskip(NEXT) | instid1(VALU_DEP_1)
	v_and_b32_e32 v6, 0x7fffffff, v1
	v_cmpx_gt_u32_e32 0x47800000, v6
	s_cbranch_execz .LBB8_1788
; %bb.1783:
	v_cmp_lt_u32_e32 vcc_lo, 0x37ffffff, v6
	s_mov_b32 s7, 0
                                        ; implicit-def: $vgpr6
	s_and_saveexec_b32 s8, vcc_lo
	s_delay_alu instid0(SALU_CYCLE_1)
	s_xor_b32 s8, exec_lo, s8
	s_cbranch_execz .LBB8_2069
; %bb.1784:
	v_bfe_u32 v6, v1, 21, 1
	s_mov_b32 s7, exec_lo
	s_delay_alu instid0(VALU_DEP_1) | instskip(NEXT) | instid1(VALU_DEP_1)
	v_add3_u32 v6, v1, v6, 0x88fffff
	v_lshrrev_b32_e32 v6, 21, v6
	s_and_not1_saveexec_b32 s8, s8
	s_cbranch_execnz .LBB8_2070
.LBB8_1785:
	s_or_b32 exec_lo, exec_lo, s8
	v_mov_b32_e32 v7, 0
	s_and_saveexec_b32 s8, s7
.LBB8_1786:
	v_lshrrev_b32_e32 v1, 24, v1
	s_delay_alu instid0(VALU_DEP_1)
	v_and_or_b32 v7, 0x80, v1, v6
.LBB8_1787:
	s_or_b32 exec_lo, exec_lo, s8
.LBB8_1788:
	s_delay_alu instid0(SALU_CYCLE_1)
	s_or_b32 exec_lo, exec_lo, s6
	s_mov_b32 s6, 0
	global_store_b8 v[2:3], v7, off
.LBB8_1789:
	s_and_b32 vcc_lo, exec_lo, s6
	s_cbranch_vccz .LBB8_1799
; %bb.1790:
	s_wait_xcnt 0x0
	v_cvt_f32_f64_e32 v1, v[4:5]
	s_mov_b32 s6, exec_lo
                                        ; implicit-def: $vgpr6
	s_delay_alu instid0(VALU_DEP_1) | instskip(NEXT) | instid1(VALU_DEP_1)
	v_and_b32_e32 v7, 0x7fffffff, v1
	v_cmpx_gt_u32_e32 0x43f00000, v7
	s_xor_b32 s6, exec_lo, s6
	s_cbranch_execz .LBB8_1796
; %bb.1791:
	s_mov_b32 s7, exec_lo
                                        ; implicit-def: $vgpr6
	v_cmpx_lt_u32_e32 0x3c7fffff, v7
	s_xor_b32 s7, exec_lo, s7
; %bb.1792:
	v_bfe_u32 v6, v1, 20, 1
	s_delay_alu instid0(VALU_DEP_1) | instskip(NEXT) | instid1(VALU_DEP_1)
	v_add3_u32 v6, v1, v6, 0x407ffff
	v_and_b32_e32 v7, 0xff00000, v6
	v_lshrrev_b32_e32 v6, 20, v6
	s_delay_alu instid0(VALU_DEP_2) | instskip(NEXT) | instid1(VALU_DEP_2)
	v_cmp_ne_u32_e32 vcc_lo, 0x7f00000, v7
	v_cndmask_b32_e32 v6, 0x7e, v6, vcc_lo
; %bb.1793:
	s_and_not1_saveexec_b32 s7, s7
; %bb.1794:
	v_add_f32_e64 v6, 0x46800000, |v1|
; %bb.1795:
	s_or_b32 exec_lo, exec_lo, s7
                                        ; implicit-def: $vgpr7
.LBB8_1796:
	s_and_not1_saveexec_b32 s6, s6
; %bb.1797:
	v_mov_b32_e32 v6, 0x7f
	v_cmp_lt_u32_e32 vcc_lo, 0x7f800000, v7
	s_delay_alu instid0(VALU_DEP_2)
	v_cndmask_b32_e32 v6, 0x7e, v6, vcc_lo
; %bb.1798:
	s_or_b32 exec_lo, exec_lo, s6
	v_lshrrev_b32_e32 v1, 24, v1
	s_delay_alu instid0(VALU_DEP_1)
	v_and_or_b32 v1, 0x80, v1, v6
	global_store_b8 v[2:3], v1, off
.LBB8_1799:
	s_mov_b32 s6, 0
.LBB8_1800:
	s_delay_alu instid0(SALU_CYCLE_1)
	s_and_not1_b32 vcc_lo, exec_lo, s6
	s_cbranch_vccnz .LBB8_1810
; %bb.1801:
	s_wait_xcnt 0x0
	v_cvt_f32_f64_e32 v1, v[4:5]
	s_mov_b32 s6, exec_lo
                                        ; implicit-def: $vgpr6
	s_delay_alu instid0(VALU_DEP_1) | instskip(NEXT) | instid1(VALU_DEP_1)
	v_and_b32_e32 v7, 0x7fffffff, v1
	v_cmpx_gt_u32_e32 0x47800000, v7
	s_xor_b32 s6, exec_lo, s6
	s_cbranch_execz .LBB8_1807
; %bb.1802:
	s_mov_b32 s7, exec_lo
                                        ; implicit-def: $vgpr6
	v_cmpx_lt_u32_e32 0x387fffff, v7
	s_xor_b32 s7, exec_lo, s7
; %bb.1803:
	v_bfe_u32 v6, v1, 21, 1
	s_delay_alu instid0(VALU_DEP_1) | instskip(NEXT) | instid1(VALU_DEP_1)
	v_add3_u32 v6, v1, v6, 0x80fffff
	v_lshrrev_b32_e32 v6, 21, v6
; %bb.1804:
	s_and_not1_saveexec_b32 s7, s7
; %bb.1805:
	v_add_f32_e64 v6, 0x43000000, |v1|
; %bb.1806:
	s_or_b32 exec_lo, exec_lo, s7
                                        ; implicit-def: $vgpr7
.LBB8_1807:
	s_and_not1_saveexec_b32 s6, s6
; %bb.1808:
	v_mov_b32_e32 v6, 0x7f
	v_cmp_lt_u32_e32 vcc_lo, 0x7f800000, v7
	s_delay_alu instid0(VALU_DEP_2)
	v_cndmask_b32_e32 v6, 0x7c, v6, vcc_lo
; %bb.1809:
	s_or_b32 exec_lo, exec_lo, s6
	v_lshrrev_b32_e32 v1, 24, v1
	s_delay_alu instid0(VALU_DEP_1)
	v_and_or_b32 v1, 0x80, v1, v6
	global_store_b8 v[2:3], v1, off
.LBB8_1810:
	s_mov_b32 s6, 0
	s_mov_b32 s7, -1
.LBB8_1811:
	s_and_not1_b32 vcc_lo, exec_lo, s6
	s_mov_b32 s6, 0
	s_cbranch_vccnz .LBB8_1818
; %bb.1812:
	s_cmp_gt_i32 s3, 14
	s_mov_b32 s6, -1
	s_cbranch_scc0 .LBB8_1816
; %bb.1813:
	s_cmp_eq_u32 s3, 15
	s_mov_b32 s0, -1
	s_cbranch_scc0 .LBB8_1815
; %bb.1814:
	s_wait_xcnt 0x0
	v_cvt_f32_f64_e32 v1, v[4:5]
	s_mov_b32 s0, 0
	s_mov_b32 s7, -1
	s_delay_alu instid0(VALU_DEP_1) | instskip(SKIP_1) | instid1(VALU_DEP_2)
	v_bfe_u32 v6, v1, 16, 1
	v_cmp_o_f32_e32 vcc_lo, v1, v1
	v_add3_u32 v6, v1, v6, 0x7fff
	s_delay_alu instid0(VALU_DEP_1) | instskip(NEXT) | instid1(VALU_DEP_1)
	v_lshrrev_b32_e32 v6, 16, v6
	v_cndmask_b32_e32 v1, 0x7fc0, v6, vcc_lo
	global_store_b16 v[2:3], v1, off
.LBB8_1815:
	s_mov_b32 s6, 0
.LBB8_1816:
	s_delay_alu instid0(SALU_CYCLE_1)
	s_and_b32 vcc_lo, exec_lo, s6
	s_mov_b32 s6, 0
	s_cbranch_vccz .LBB8_1818
; %bb.1817:
	s_cmp_lg_u32 s3, 11
	s_mov_b32 s6, -1
	s_cselect_b32 s0, -1, 0
.LBB8_1818:
	s_delay_alu instid0(SALU_CYCLE_1)
	s_and_b32 vcc_lo, exec_lo, s0
	s_cbranch_vccnz .LBB8_2068
; %bb.1819:
	s_and_not1_b32 vcc_lo, exec_lo, s6
	s_cbranch_vccnz .LBB8_1821
.LBB8_1820:
	v_cmp_neq_f64_e32 vcc_lo, 0, v[4:5]
	s_mov_b32 s7, -1
	s_wait_xcnt 0x0
	v_cndmask_b32_e64 v1, 0, 1, vcc_lo
	global_store_b8 v[2:3], v1, off
.LBB8_1821:
	s_mov_b32 s0, 0
	s_branch .LBB8_1823
.LBB8_1822:
	s_mov_b32 s0, -1
	s_mov_b32 s7, 0
.LBB8_1823:
	s_and_b32 vcc_lo, exec_lo, s0
	s_cbranch_vccz .LBB8_1862
; %bb.1824:
	s_and_b32 s0, 0xffff, s12
	s_mov_b32 s3, -1
	s_cmp_lt_i32 s0, 5
	s_cbranch_scc1 .LBB8_1845
; %bb.1825:
	s_cmp_lt_i32 s0, 8
	s_cbranch_scc1 .LBB8_1835
; %bb.1826:
	;; [unrolled: 3-line block ×3, first 2 shown]
	s_cmp_gt_i32 s0, 9
	s_cbranch_scc0 .LBB8_1829
; %bb.1828:
	s_wait_xcnt 0x0
	v_mov_b32_e32 v6, 0
	s_mov_b32 s3, 0
	s_delay_alu instid0(VALU_DEP_1)
	v_mov_b32_e32 v7, v6
	global_store_b128 v[2:3], v[4:7], off
.LBB8_1829:
	s_and_not1_b32 vcc_lo, exec_lo, s3
	s_cbranch_vccnz .LBB8_1831
; %bb.1830:
	s_wait_xcnt 0x0
	v_cvt_f32_f64_e32 v6, v[4:5]
	v_mov_b32_e32 v7, 0
	global_store_b64 v[2:3], v[6:7], off
.LBB8_1831:
	s_mov_b32 s3, 0
.LBB8_1832:
	s_delay_alu instid0(SALU_CYCLE_1)
	s_and_not1_b32 vcc_lo, exec_lo, s3
	s_cbranch_vccnz .LBB8_1834
; %bb.1833:
	s_wait_xcnt 0x0
	v_and_or_b32 v1, 0x1ff, v5, v4
	v_lshrrev_b32_e32 v6, 8, v5
	v_bfe_u32 v7, v5, 20, 11
	s_delay_alu instid0(VALU_DEP_3) | instskip(NEXT) | instid1(VALU_DEP_2)
	v_cmp_ne_u32_e32 vcc_lo, 0, v1
	v_sub_nc_u32_e32 v10, 0x3f1, v7
	v_cndmask_b32_e64 v1, 0, 1, vcc_lo
	s_delay_alu instid0(VALU_DEP_1) | instskip(NEXT) | instid1(VALU_DEP_3)
	v_and_or_b32 v1, 0xffe, v6, v1
	v_med3_i32 v6, v10, 0, 13
	s_delay_alu instid0(VALU_DEP_2) | instskip(NEXT) | instid1(VALU_DEP_1)
	v_or_b32_e32 v10, 0x1000, v1
	v_lshrrev_b32_e32 v11, v6, v10
	s_delay_alu instid0(VALU_DEP_1) | instskip(NEXT) | instid1(VALU_DEP_1)
	v_lshlrev_b32_e32 v6, v6, v11
	v_cmp_ne_u32_e32 vcc_lo, v6, v10
	v_cndmask_b32_e64 v6, 0, 1, vcc_lo
	s_delay_alu instid0(VALU_DEP_1) | instskip(SKIP_1) | instid1(VALU_DEP_1)
	v_or_b32_e32 v6, v11, v6
	v_add_nc_u32_e32 v7, 0xfffffc10, v7
	v_lshl_or_b32 v10, v7, 12, v1
	v_cmp_gt_i32_e32 vcc_lo, 1, v7
	s_delay_alu instid0(VALU_DEP_2) | instskip(NEXT) | instid1(VALU_DEP_1)
	v_cndmask_b32_e32 v6, v10, v6, vcc_lo
	v_dual_lshrrev_b32 v6, 2, v6 :: v_dual_bitop2_b32 v10, 7, v6 bitop3:0x40
	s_delay_alu instid0(VALU_DEP_1) | instskip(SKIP_4) | instid1(VALU_DEP_2)
	v_cmp_lt_i32_e32 vcc_lo, 5, v10
	v_cndmask_b32_e64 v11, 0, 1, vcc_lo
	v_cmp_eq_u32_e32 vcc_lo, 3, v10
	v_cndmask_b32_e64 v10, 0, 1, vcc_lo
	v_cmp_ne_u32_e32 vcc_lo, 0, v1
	v_or_b32_e32 v10, v10, v11
	s_delay_alu instid0(VALU_DEP_1) | instskip(NEXT) | instid1(VALU_DEP_1)
	v_dual_mov_b32 v11, 0x7e00 :: v_dual_add_nc_u32 v6, v6, v10
	v_cndmask_b32_e32 v1, 0x7c00, v11, vcc_lo
	v_cmp_gt_i32_e32 vcc_lo, 31, v7
	v_lshrrev_b32_e32 v10, 16, v5
	s_delay_alu instid0(VALU_DEP_4) | instskip(SKIP_1) | instid1(VALU_DEP_2)
	v_cndmask_b32_e32 v6, 0x7c00, v6, vcc_lo
	v_cmp_eq_u32_e32 vcc_lo, 0x40f, v7
	v_cndmask_b32_e32 v1, v6, v1, vcc_lo
	s_delay_alu instid0(VALU_DEP_4) | instskip(NEXT) | instid1(VALU_DEP_1)
	v_and_b32_e32 v6, 0x8000, v10
	v_bitop3_b32 v1, v6, 0xffff, v1 bitop3:0xc8
	global_store_b32 v[2:3], v1, off
.LBB8_1834:
	s_mov_b32 s3, 0
.LBB8_1835:
	s_delay_alu instid0(SALU_CYCLE_1)
	s_and_not1_b32 vcc_lo, exec_lo, s3
	s_cbranch_vccnz .LBB8_1844
; %bb.1836:
	s_cmp_lt_i32 s0, 6
	s_mov_b32 s3, -1
	s_cbranch_scc1 .LBB8_1842
; %bb.1837:
	s_cmp_gt_i32 s0, 6
	s_cbranch_scc0 .LBB8_1839
; %bb.1838:
	s_mov_b32 s3, 0
	global_store_b64 v[2:3], v[4:5], off
.LBB8_1839:
	s_and_not1_b32 vcc_lo, exec_lo, s3
	s_cbranch_vccnz .LBB8_1841
; %bb.1840:
	s_wait_xcnt 0x0
	v_cvt_f32_f64_e32 v1, v[4:5]
	global_store_b32 v[2:3], v1, off
.LBB8_1841:
	s_mov_b32 s3, 0
.LBB8_1842:
	s_delay_alu instid0(SALU_CYCLE_1)
	s_and_not1_b32 vcc_lo, exec_lo, s3
	s_cbranch_vccnz .LBB8_1844
; %bb.1843:
	s_wait_xcnt 0x0
	v_and_or_b32 v1, 0x1ff, v5, v4
	v_lshrrev_b32_e32 v6, 8, v5
	v_bfe_u32 v7, v5, 20, 11
	s_delay_alu instid0(VALU_DEP_3) | instskip(NEXT) | instid1(VALU_DEP_2)
	v_cmp_ne_u32_e32 vcc_lo, 0, v1
	v_sub_nc_u32_e32 v10, 0x3f1, v7
	v_cndmask_b32_e64 v1, 0, 1, vcc_lo
	s_delay_alu instid0(VALU_DEP_1) | instskip(NEXT) | instid1(VALU_DEP_3)
	v_and_or_b32 v1, 0xffe, v6, v1
	v_med3_i32 v6, v10, 0, 13
	s_delay_alu instid0(VALU_DEP_2) | instskip(NEXT) | instid1(VALU_DEP_1)
	v_or_b32_e32 v10, 0x1000, v1
	v_lshrrev_b32_e32 v11, v6, v10
	s_delay_alu instid0(VALU_DEP_1) | instskip(NEXT) | instid1(VALU_DEP_1)
	v_lshlrev_b32_e32 v6, v6, v11
	v_cmp_ne_u32_e32 vcc_lo, v6, v10
	v_cndmask_b32_e64 v6, 0, 1, vcc_lo
	s_delay_alu instid0(VALU_DEP_1) | instskip(SKIP_1) | instid1(VALU_DEP_1)
	v_or_b32_e32 v6, v11, v6
	v_add_nc_u32_e32 v7, 0xfffffc10, v7
	v_lshl_or_b32 v10, v7, 12, v1
	v_cmp_gt_i32_e32 vcc_lo, 1, v7
	s_delay_alu instid0(VALU_DEP_2) | instskip(NEXT) | instid1(VALU_DEP_1)
	v_cndmask_b32_e32 v6, v10, v6, vcc_lo
	v_dual_lshrrev_b32 v6, 2, v6 :: v_dual_bitop2_b32 v10, 7, v6 bitop3:0x40
	s_delay_alu instid0(VALU_DEP_1) | instskip(SKIP_4) | instid1(VALU_DEP_2)
	v_cmp_lt_i32_e32 vcc_lo, 5, v10
	v_cndmask_b32_e64 v11, 0, 1, vcc_lo
	v_cmp_eq_u32_e32 vcc_lo, 3, v10
	v_cndmask_b32_e64 v10, 0, 1, vcc_lo
	v_cmp_ne_u32_e32 vcc_lo, 0, v1
	v_or_b32_e32 v10, v10, v11
	s_delay_alu instid0(VALU_DEP_1) | instskip(NEXT) | instid1(VALU_DEP_1)
	v_dual_mov_b32 v11, 0x7e00 :: v_dual_add_nc_u32 v6, v6, v10
	v_cndmask_b32_e32 v1, 0x7c00, v11, vcc_lo
	v_cmp_gt_i32_e32 vcc_lo, 31, v7
	s_delay_alu instid0(VALU_DEP_3) | instskip(SKIP_1) | instid1(VALU_DEP_2)
	v_cndmask_b32_e32 v6, 0x7c00, v6, vcc_lo
	v_cmp_eq_u32_e32 vcc_lo, 0x40f, v7
	v_cndmask_b32_e32 v1, v6, v1, vcc_lo
	v_lshrrev_b32_e32 v6, 16, v5
	s_delay_alu instid0(VALU_DEP_1)
	v_and_or_b32 v1, 0x8000, v6, v1
	global_store_b16 v[2:3], v1, off
.LBB8_1844:
	s_mov_b32 s3, 0
.LBB8_1845:
	s_delay_alu instid0(SALU_CYCLE_1)
	s_and_not1_b32 vcc_lo, exec_lo, s3
	s_cbranch_vccnz .LBB8_1861
; %bb.1846:
	s_cmp_lt_i32 s0, 2
	s_mov_b32 s3, -1
	s_cbranch_scc1 .LBB8_1856
; %bb.1847:
	s_cmp_lt_i32 s0, 3
	s_cbranch_scc1 .LBB8_1853
; %bb.1848:
	s_cmp_gt_i32 s0, 3
	s_cbranch_scc0 .LBB8_1850
; %bb.1849:
	s_wait_xcnt 0x0
	v_trunc_f64_e32 v[6:7], v[4:5]
	s_mov_b32 s3, 0
	s_delay_alu instid0(VALU_DEP_1) | instskip(NEXT) | instid1(VALU_DEP_1)
	v_ldexp_f64 v[10:11], v[6:7], 0xffffffe0
	v_floor_f64_e32 v[10:11], v[10:11]
	s_delay_alu instid0(VALU_DEP_1) | instskip(SKIP_1) | instid1(VALU_DEP_2)
	v_fmamk_f64 v[6:7], v[10:11], 0xc1f00000, v[6:7]
	v_cvt_i32_f64_e32 v11, v[10:11]
	v_cvt_u32_f64_e32 v10, v[6:7]
	global_store_b64 v[2:3], v[10:11], off
.LBB8_1850:
	s_and_not1_b32 vcc_lo, exec_lo, s3
	s_cbranch_vccnz .LBB8_1852
; %bb.1851:
	s_wait_xcnt 0x0
	v_cvt_i32_f64_e32 v1, v[4:5]
	global_store_b32 v[2:3], v1, off
.LBB8_1852:
	s_mov_b32 s3, 0
.LBB8_1853:
	s_delay_alu instid0(SALU_CYCLE_1)
	s_and_not1_b32 vcc_lo, exec_lo, s3
	s_cbranch_vccnz .LBB8_1855
; %bb.1854:
	s_wait_xcnt 0x0
	v_cvt_i32_f64_e32 v1, v[4:5]
	global_store_b16 v[2:3], v1, off
.LBB8_1855:
	s_mov_b32 s3, 0
.LBB8_1856:
	s_delay_alu instid0(SALU_CYCLE_1)
	s_and_not1_b32 vcc_lo, exec_lo, s3
	s_cbranch_vccnz .LBB8_1861
; %bb.1857:
	s_cmp_gt_i32 s0, 0
	s_mov_b32 s0, -1
	s_cbranch_scc0 .LBB8_1859
; %bb.1858:
	s_wait_xcnt 0x0
	v_cvt_i32_f64_e32 v1, v[4:5]
	s_mov_b32 s0, 0
	global_store_b8 v[2:3], v1, off
.LBB8_1859:
	s_and_not1_b32 vcc_lo, exec_lo, s0
	s_cbranch_vccnz .LBB8_1861
; %bb.1860:
	s_wait_xcnt 0x0
	v_trunc_f64_e32 v[4:5], v[4:5]
	s_delay_alu instid0(VALU_DEP_1) | instskip(NEXT) | instid1(VALU_DEP_1)
	v_ldexp_f64 v[6:7], v[4:5], 0xffffffe0
	v_floor_f64_e32 v[6:7], v[6:7]
	s_delay_alu instid0(VALU_DEP_1) | instskip(NEXT) | instid1(VALU_DEP_1)
	v_fmamk_f64 v[4:5], v[6:7], 0xc1f00000, v[4:5]
	v_cvt_u32_f64_e32 v1, v[4:5]
	global_store_b8 v[2:3], v1, off
.LBB8_1861:
	s_mov_b32 s7, -1
.LBB8_1862:
	s_delay_alu instid0(SALU_CYCLE_1)
	s_and_not1_b32 vcc_lo, exec_lo, s7
	s_cbranch_vccnz .LBB8_2058
; %bb.1863:
	v_add_nc_u32_e32 v0, s2, v0
	s_cmp_lt_i32 s12, 11
	s_wait_xcnt 0x0
	s_delay_alu instid0(VALU_DEP_1) | instskip(NEXT) | instid1(VALU_DEP_1)
	v_ashrrev_i32_e32 v1, 31, v0
	v_add_nc_u64_e32 v[2:3], s[4:5], v[0:1]
	s_cbranch_scc1 .LBB8_1941
; %bb.1864:
	s_and_b32 s3, 0xffff, s12
	s_mov_b32 s8, -1
	s_mov_b32 s6, 0
	s_cmp_gt_i32 s3, 25
	s_mov_b32 s7, 0
	s_mov_b32 s0, 0
	s_cbranch_scc0 .LBB8_1897
; %bb.1865:
	s_cmp_gt_i32 s3, 28
	s_cbranch_scc0 .LBB8_1880
; %bb.1866:
	s_cmp_gt_i32 s3, 43
	;; [unrolled: 3-line block ×3, first 2 shown]
	s_cbranch_scc0 .LBB8_1870
; %bb.1868:
	s_mov_b32 s0, -1
	s_mov_b32 s8, 0
	s_cmp_eq_u32 s3, 46
	s_cbranch_scc0 .LBB8_1870
; %bb.1869:
	v_cvt_f32_f64_e32 v1, v[8:9]
	s_mov_b32 s0, 0
	s_mov_b32 s7, -1
	s_delay_alu instid0(VALU_DEP_1) | instskip(SKIP_1) | instid1(VALU_DEP_2)
	v_bfe_u32 v4, v1, 16, 1
	v_cmp_o_f32_e32 vcc_lo, v1, v1
	v_add3_u32 v4, v1, v4, 0x7fff
	s_delay_alu instid0(VALU_DEP_1) | instskip(NEXT) | instid1(VALU_DEP_1)
	v_lshrrev_b32_e32 v4, 16, v4
	v_cndmask_b32_e32 v1, 0x7fc0, v4, vcc_lo
	global_store_b32 v[2:3], v1, off
.LBB8_1870:
	s_and_b32 vcc_lo, exec_lo, s8
	s_cbranch_vccz .LBB8_1875
; %bb.1871:
	s_cmp_eq_u32 s3, 44
	s_mov_b32 s0, -1
	s_cbranch_scc0 .LBB8_1875
; %bb.1872:
	s_wait_xcnt 0x0
	v_cvt_f32_f64_e32 v1, v[8:9]
	v_mov_b32_e32 v4, 0xff
	s_mov_b32 s7, exec_lo
	s_delay_alu instid0(VALU_DEP_2) | instskip(NEXT) | instid1(VALU_DEP_1)
	v_bfe_u32 v5, v1, 23, 8
	v_cmpx_ne_u32_e32 0xff, v5
	s_cbranch_execz .LBB8_1874
; %bb.1873:
	v_and_b32_e32 v4, 0x400000, v1
	v_and_or_b32 v5, 0x3fffff, v1, v5
	v_lshrrev_b32_e32 v1, 23, v1
	s_delay_alu instid0(VALU_DEP_3) | instskip(NEXT) | instid1(VALU_DEP_3)
	v_cmp_ne_u32_e32 vcc_lo, 0, v4
	v_cmp_ne_u32_e64 s0, 0, v5
	s_and_b32 s0, vcc_lo, s0
	s_delay_alu instid0(SALU_CYCLE_1) | instskip(NEXT) | instid1(VALU_DEP_1)
	v_cndmask_b32_e64 v4, 0, 1, s0
	v_add_nc_u32_e32 v4, v1, v4
.LBB8_1874:
	s_or_b32 exec_lo, exec_lo, s7
	s_mov_b32 s0, 0
	s_mov_b32 s7, -1
	global_store_b8 v[2:3], v4, off
.LBB8_1875:
	s_mov_b32 s8, 0
.LBB8_1876:
	s_delay_alu instid0(SALU_CYCLE_1)
	s_and_b32 vcc_lo, exec_lo, s8
	s_cbranch_vccz .LBB8_1879
; %bb.1877:
	s_cmp_eq_u32 s3, 29
	s_mov_b32 s0, -1
	s_cbranch_scc0 .LBB8_1879
; %bb.1878:
	s_wait_xcnt 0x0
	v_trunc_f64_e32 v[4:5], v[8:9]
	s_mov_b32 s0, 0
	s_mov_b32 s7, -1
	s_delay_alu instid0(VALU_DEP_1) | instskip(NEXT) | instid1(VALU_DEP_1)
	v_ldexp_f64 v[6:7], v[4:5], 0xffffffe0
	v_floor_f64_e32 v[6:7], v[6:7]
	s_delay_alu instid0(VALU_DEP_1) | instskip(SKIP_1) | instid1(VALU_DEP_2)
	v_fmamk_f64 v[4:5], v[6:7], 0xc1f00000, v[4:5]
	v_cvt_u32_f64_e32 v7, v[6:7]
	v_cvt_u32_f64_e32 v6, v[4:5]
	global_store_b64 v[2:3], v[6:7], off
.LBB8_1879:
	s_mov_b32 s8, 0
.LBB8_1880:
	s_delay_alu instid0(SALU_CYCLE_1)
	s_and_b32 vcc_lo, exec_lo, s8
	s_cbranch_vccz .LBB8_1896
; %bb.1881:
	s_cmp_lt_i32 s3, 27
	s_mov_b32 s7, -1
	s_cbranch_scc1 .LBB8_1887
; %bb.1882:
	s_wait_xcnt 0x0
	v_cvt_u32_f64_e32 v1, v[8:9]
	s_cmp_gt_i32 s3, 27
	s_cbranch_scc0 .LBB8_1884
; %bb.1883:
	s_mov_b32 s7, 0
	global_store_b32 v[2:3], v1, off
.LBB8_1884:
	s_and_not1_b32 vcc_lo, exec_lo, s7
	s_cbranch_vccnz .LBB8_1886
; %bb.1885:
	global_store_b16 v[2:3], v1, off
.LBB8_1886:
	s_mov_b32 s7, 0
.LBB8_1887:
	s_delay_alu instid0(SALU_CYCLE_1)
	s_and_not1_b32 vcc_lo, exec_lo, s7
	s_cbranch_vccnz .LBB8_1895
; %bb.1888:
	s_wait_xcnt 0x0
	v_cvt_f32_f64_e32 v1, v[8:9]
	v_mov_b32_e32 v5, 0x80
	s_mov_b32 s7, exec_lo
	s_delay_alu instid0(VALU_DEP_2) | instskip(NEXT) | instid1(VALU_DEP_1)
	v_and_b32_e32 v4, 0x7fffffff, v1
	v_cmpx_gt_u32_e32 0x43800000, v4
	s_cbranch_execz .LBB8_1894
; %bb.1889:
	v_cmp_lt_u32_e32 vcc_lo, 0x3bffffff, v4
	s_mov_b32 s8, 0
                                        ; implicit-def: $vgpr4
	s_and_saveexec_b32 s9, vcc_lo
	s_delay_alu instid0(SALU_CYCLE_1)
	s_xor_b32 s9, exec_lo, s9
	s_cbranch_execz .LBB8_2071
; %bb.1890:
	v_bfe_u32 v4, v1, 20, 1
	s_mov_b32 s8, exec_lo
	s_delay_alu instid0(VALU_DEP_1) | instskip(NEXT) | instid1(VALU_DEP_1)
	v_add3_u32 v4, v1, v4, 0x487ffff
	v_lshrrev_b32_e32 v4, 20, v4
	s_and_not1_saveexec_b32 s9, s9
	s_cbranch_execnz .LBB8_2072
.LBB8_1891:
	s_or_b32 exec_lo, exec_lo, s9
	v_mov_b32_e32 v5, 0
	s_and_saveexec_b32 s9, s8
.LBB8_1892:
	v_lshrrev_b32_e32 v1, 24, v1
	s_delay_alu instid0(VALU_DEP_1)
	v_and_or_b32 v5, 0x80, v1, v4
.LBB8_1893:
	s_or_b32 exec_lo, exec_lo, s9
.LBB8_1894:
	s_delay_alu instid0(SALU_CYCLE_1)
	s_or_b32 exec_lo, exec_lo, s7
	global_store_b8 v[2:3], v5, off
.LBB8_1895:
	s_mov_b32 s7, -1
.LBB8_1896:
	s_mov_b32 s8, 0
.LBB8_1897:
	s_delay_alu instid0(SALU_CYCLE_1)
	s_and_b32 vcc_lo, exec_lo, s8
	s_cbranch_vccz .LBB8_1937
; %bb.1898:
	s_cmp_gt_i32 s3, 22
	s_mov_b32 s6, -1
	s_cbranch_scc0 .LBB8_1930
; %bb.1899:
	s_cmp_lt_i32 s3, 24
	s_cbranch_scc1 .LBB8_1919
; %bb.1900:
	s_cmp_gt_i32 s3, 24
	s_cbranch_scc0 .LBB8_1908
; %bb.1901:
	s_wait_xcnt 0x0
	v_cvt_f32_f64_e32 v1, v[8:9]
	v_mov_b32_e32 v5, 0x80
	s_mov_b32 s6, exec_lo
	s_delay_alu instid0(VALU_DEP_2) | instskip(NEXT) | instid1(VALU_DEP_1)
	v_and_b32_e32 v4, 0x7fffffff, v1
	v_cmpx_gt_u32_e32 0x47800000, v4
	s_cbranch_execz .LBB8_1907
; %bb.1902:
	v_cmp_lt_u32_e32 vcc_lo, 0x37ffffff, v4
	s_mov_b32 s7, 0
                                        ; implicit-def: $vgpr4
	s_and_saveexec_b32 s8, vcc_lo
	s_delay_alu instid0(SALU_CYCLE_1)
	s_xor_b32 s8, exec_lo, s8
	s_cbranch_execz .LBB8_2074
; %bb.1903:
	v_bfe_u32 v4, v1, 21, 1
	s_mov_b32 s7, exec_lo
	s_delay_alu instid0(VALU_DEP_1) | instskip(NEXT) | instid1(VALU_DEP_1)
	v_add3_u32 v4, v1, v4, 0x88fffff
	v_lshrrev_b32_e32 v4, 21, v4
	s_and_not1_saveexec_b32 s8, s8
	s_cbranch_execnz .LBB8_2075
.LBB8_1904:
	s_or_b32 exec_lo, exec_lo, s8
	v_mov_b32_e32 v5, 0
	s_and_saveexec_b32 s8, s7
.LBB8_1905:
	v_lshrrev_b32_e32 v1, 24, v1
	s_delay_alu instid0(VALU_DEP_1)
	v_and_or_b32 v5, 0x80, v1, v4
.LBB8_1906:
	s_or_b32 exec_lo, exec_lo, s8
.LBB8_1907:
	s_delay_alu instid0(SALU_CYCLE_1)
	s_or_b32 exec_lo, exec_lo, s6
	s_mov_b32 s6, 0
	global_store_b8 v[2:3], v5, off
.LBB8_1908:
	s_and_b32 vcc_lo, exec_lo, s6
	s_cbranch_vccz .LBB8_1918
; %bb.1909:
	s_wait_xcnt 0x0
	v_cvt_f32_f64_e32 v1, v[8:9]
	s_mov_b32 s6, exec_lo
                                        ; implicit-def: $vgpr4
	s_delay_alu instid0(VALU_DEP_1) | instskip(NEXT) | instid1(VALU_DEP_1)
	v_and_b32_e32 v5, 0x7fffffff, v1
	v_cmpx_gt_u32_e32 0x43f00000, v5
	s_xor_b32 s6, exec_lo, s6
	s_cbranch_execz .LBB8_1915
; %bb.1910:
	s_mov_b32 s7, exec_lo
                                        ; implicit-def: $vgpr4
	v_cmpx_lt_u32_e32 0x3c7fffff, v5
	s_xor_b32 s7, exec_lo, s7
; %bb.1911:
	v_bfe_u32 v4, v1, 20, 1
	s_delay_alu instid0(VALU_DEP_1) | instskip(NEXT) | instid1(VALU_DEP_1)
	v_add3_u32 v4, v1, v4, 0x407ffff
	v_and_b32_e32 v5, 0xff00000, v4
	v_lshrrev_b32_e32 v4, 20, v4
	s_delay_alu instid0(VALU_DEP_2) | instskip(NEXT) | instid1(VALU_DEP_2)
	v_cmp_ne_u32_e32 vcc_lo, 0x7f00000, v5
	v_cndmask_b32_e32 v4, 0x7e, v4, vcc_lo
; %bb.1912:
	s_and_not1_saveexec_b32 s7, s7
; %bb.1913:
	v_add_f32_e64 v4, 0x46800000, |v1|
; %bb.1914:
	s_or_b32 exec_lo, exec_lo, s7
                                        ; implicit-def: $vgpr5
.LBB8_1915:
	s_and_not1_saveexec_b32 s6, s6
; %bb.1916:
	v_mov_b32_e32 v4, 0x7f
	v_cmp_lt_u32_e32 vcc_lo, 0x7f800000, v5
	s_delay_alu instid0(VALU_DEP_2)
	v_cndmask_b32_e32 v4, 0x7e, v4, vcc_lo
; %bb.1917:
	s_or_b32 exec_lo, exec_lo, s6
	v_lshrrev_b32_e32 v1, 24, v1
	s_delay_alu instid0(VALU_DEP_1)
	v_and_or_b32 v1, 0x80, v1, v4
	global_store_b8 v[2:3], v1, off
.LBB8_1918:
	s_mov_b32 s6, 0
.LBB8_1919:
	s_delay_alu instid0(SALU_CYCLE_1)
	s_and_not1_b32 vcc_lo, exec_lo, s6
	s_cbranch_vccnz .LBB8_1929
; %bb.1920:
	s_wait_xcnt 0x0
	v_cvt_f32_f64_e32 v1, v[8:9]
	s_mov_b32 s6, exec_lo
                                        ; implicit-def: $vgpr4
	s_delay_alu instid0(VALU_DEP_1) | instskip(NEXT) | instid1(VALU_DEP_1)
	v_and_b32_e32 v5, 0x7fffffff, v1
	v_cmpx_gt_u32_e32 0x47800000, v5
	s_xor_b32 s6, exec_lo, s6
	s_cbranch_execz .LBB8_1926
; %bb.1921:
	s_mov_b32 s7, exec_lo
                                        ; implicit-def: $vgpr4
	v_cmpx_lt_u32_e32 0x387fffff, v5
	s_xor_b32 s7, exec_lo, s7
; %bb.1922:
	v_bfe_u32 v4, v1, 21, 1
	s_delay_alu instid0(VALU_DEP_1) | instskip(NEXT) | instid1(VALU_DEP_1)
	v_add3_u32 v4, v1, v4, 0x80fffff
	v_lshrrev_b32_e32 v4, 21, v4
; %bb.1923:
	s_and_not1_saveexec_b32 s7, s7
; %bb.1924:
	v_add_f32_e64 v4, 0x43000000, |v1|
; %bb.1925:
	s_or_b32 exec_lo, exec_lo, s7
                                        ; implicit-def: $vgpr5
.LBB8_1926:
	s_and_not1_saveexec_b32 s6, s6
; %bb.1927:
	v_mov_b32_e32 v4, 0x7f
	v_cmp_lt_u32_e32 vcc_lo, 0x7f800000, v5
	s_delay_alu instid0(VALU_DEP_2)
	v_cndmask_b32_e32 v4, 0x7c, v4, vcc_lo
; %bb.1928:
	s_or_b32 exec_lo, exec_lo, s6
	v_lshrrev_b32_e32 v1, 24, v1
	s_delay_alu instid0(VALU_DEP_1)
	v_and_or_b32 v1, 0x80, v1, v4
	global_store_b8 v[2:3], v1, off
.LBB8_1929:
	s_mov_b32 s6, 0
	s_mov_b32 s7, -1
.LBB8_1930:
	s_and_not1_b32 vcc_lo, exec_lo, s6
	s_mov_b32 s6, 0
	s_cbranch_vccnz .LBB8_1937
; %bb.1931:
	s_cmp_gt_i32 s3, 14
	s_mov_b32 s6, -1
	s_cbranch_scc0 .LBB8_1935
; %bb.1932:
	s_cmp_eq_u32 s3, 15
	s_mov_b32 s0, -1
	s_cbranch_scc0 .LBB8_1934
; %bb.1933:
	s_wait_xcnt 0x0
	v_cvt_f32_f64_e32 v1, v[8:9]
	s_mov_b32 s0, 0
	s_mov_b32 s7, -1
	s_delay_alu instid0(VALU_DEP_1) | instskip(SKIP_1) | instid1(VALU_DEP_2)
	v_bfe_u32 v4, v1, 16, 1
	v_cmp_o_f32_e32 vcc_lo, v1, v1
	v_add3_u32 v4, v1, v4, 0x7fff
	s_delay_alu instid0(VALU_DEP_1) | instskip(NEXT) | instid1(VALU_DEP_1)
	v_lshrrev_b32_e32 v4, 16, v4
	v_cndmask_b32_e32 v1, 0x7fc0, v4, vcc_lo
	global_store_b16 v[2:3], v1, off
.LBB8_1934:
	s_mov_b32 s6, 0
.LBB8_1935:
	s_delay_alu instid0(SALU_CYCLE_1)
	s_and_b32 vcc_lo, exec_lo, s6
	s_mov_b32 s6, 0
	s_cbranch_vccz .LBB8_1937
; %bb.1936:
	s_cmp_lg_u32 s3, 11
	s_mov_b32 s6, -1
	s_cselect_b32 s0, -1, 0
.LBB8_1937:
	s_delay_alu instid0(SALU_CYCLE_1)
	s_and_b32 vcc_lo, exec_lo, s0
	s_cbranch_vccnz .LBB8_2073
; %bb.1938:
	s_and_not1_b32 vcc_lo, exec_lo, s6
	s_cbranch_vccnz .LBB8_1940
.LBB8_1939:
	v_cmp_neq_f64_e32 vcc_lo, 0, v[8:9]
	s_mov_b32 s7, -1
	s_wait_xcnt 0x0
	v_cndmask_b32_e64 v1, 0, 1, vcc_lo
	global_store_b8 v[2:3], v1, off
.LBB8_1940:
	s_mov_b32 s0, 0
	s_branch .LBB8_1942
.LBB8_1941:
	s_mov_b32 s0, -1
	s_mov_b32 s7, 0
.LBB8_1942:
	s_and_b32 vcc_lo, exec_lo, s0
	s_cbranch_vccz .LBB8_1981
; %bb.1943:
	s_and_b32 s0, 0xffff, s12
	s_mov_b32 s3, -1
	s_cmp_lt_i32 s0, 5
	s_cbranch_scc1 .LBB8_1964
; %bb.1944:
	s_cmp_lt_i32 s0, 8
	s_cbranch_scc1 .LBB8_1954
; %bb.1945:
	;; [unrolled: 3-line block ×3, first 2 shown]
	s_cmp_gt_i32 s0, 9
	s_cbranch_scc0 .LBB8_1948
; %bb.1947:
	v_mov_b32_e32 v10, 0
	s_mov_b32 s3, 0
	s_delay_alu instid0(VALU_DEP_1)
	v_mov_b32_e32 v11, v10
	global_store_b128 v[2:3], v[8:11], off
.LBB8_1948:
	s_and_not1_b32 vcc_lo, exec_lo, s3
	s_cbranch_vccnz .LBB8_1950
; %bb.1949:
	s_wait_xcnt 0x0
	v_cvt_f32_f64_e32 v4, v[8:9]
	v_mov_b32_e32 v5, 0
	global_store_b64 v[2:3], v[4:5], off
.LBB8_1950:
	s_mov_b32 s3, 0
.LBB8_1951:
	s_delay_alu instid0(SALU_CYCLE_1)
	s_and_not1_b32 vcc_lo, exec_lo, s3
	s_cbranch_vccnz .LBB8_1953
; %bb.1952:
	s_wait_xcnt 0x0
	v_and_or_b32 v1, 0x1ff, v9, v8
	v_lshrrev_b32_e32 v4, 8, v9
	v_bfe_u32 v5, v9, 20, 11
	s_delay_alu instid0(VALU_DEP_3) | instskip(NEXT) | instid1(VALU_DEP_2)
	v_cmp_ne_u32_e32 vcc_lo, 0, v1
	v_sub_nc_u32_e32 v6, 0x3f1, v5
	v_add_nc_u32_e32 v5, 0xfffffc10, v5
	v_cndmask_b32_e64 v1, 0, 1, vcc_lo
	s_delay_alu instid0(VALU_DEP_1) | instskip(NEXT) | instid1(VALU_DEP_4)
	v_and_or_b32 v1, 0xffe, v4, v1
	v_med3_i32 v4, v6, 0, 13
	s_delay_alu instid0(VALU_DEP_2) | instskip(NEXT) | instid1(VALU_DEP_1)
	v_or_b32_e32 v6, 0x1000, v1
	v_lshrrev_b32_e32 v7, v4, v6
	s_delay_alu instid0(VALU_DEP_1) | instskip(NEXT) | instid1(VALU_DEP_1)
	v_lshlrev_b32_e32 v4, v4, v7
	v_cmp_ne_u32_e32 vcc_lo, v4, v6
	v_lshl_or_b32 v6, v5, 12, v1
	v_cndmask_b32_e64 v4, 0, 1, vcc_lo
	v_cmp_gt_i32_e32 vcc_lo, 1, v5
	s_delay_alu instid0(VALU_DEP_2) | instskip(NEXT) | instid1(VALU_DEP_1)
	v_or_b32_e32 v4, v7, v4
	v_cndmask_b32_e32 v4, v6, v4, vcc_lo
	s_delay_alu instid0(VALU_DEP_1) | instskip(NEXT) | instid1(VALU_DEP_1)
	v_dual_lshrrev_b32 v4, 2, v4 :: v_dual_bitop2_b32 v6, 7, v4 bitop3:0x40
	v_cmp_lt_i32_e32 vcc_lo, 5, v6
	v_cndmask_b32_e64 v7, 0, 1, vcc_lo
	v_cmp_eq_u32_e32 vcc_lo, 3, v6
	v_cndmask_b32_e64 v6, 0, 1, vcc_lo
	v_cmp_ne_u32_e32 vcc_lo, 0, v1
	s_delay_alu instid0(VALU_DEP_2) | instskip(NEXT) | instid1(VALU_DEP_1)
	v_or_b32_e32 v6, v6, v7
	v_dual_mov_b32 v7, 0x7e00 :: v_dual_add_nc_u32 v4, v4, v6
	s_delay_alu instid0(VALU_DEP_1) | instskip(SKIP_2) | instid1(VALU_DEP_4)
	v_cndmask_b32_e32 v1, 0x7c00, v7, vcc_lo
	v_cmp_gt_i32_e32 vcc_lo, 31, v5
	v_lshrrev_b32_e32 v6, 16, v9
	v_cndmask_b32_e32 v4, 0x7c00, v4, vcc_lo
	v_cmp_eq_u32_e32 vcc_lo, 0x40f, v5
	s_delay_alu instid0(VALU_DEP_2) | instskip(NEXT) | instid1(VALU_DEP_4)
	v_cndmask_b32_e32 v1, v4, v1, vcc_lo
	v_and_b32_e32 v4, 0x8000, v6
	s_delay_alu instid0(VALU_DEP_1)
	v_bitop3_b32 v1, v4, 0xffff, v1 bitop3:0xc8
	global_store_b32 v[2:3], v1, off
.LBB8_1953:
	s_mov_b32 s3, 0
.LBB8_1954:
	s_delay_alu instid0(SALU_CYCLE_1)
	s_and_not1_b32 vcc_lo, exec_lo, s3
	s_cbranch_vccnz .LBB8_1963
; %bb.1955:
	s_cmp_lt_i32 s0, 6
	s_mov_b32 s3, -1
	s_cbranch_scc1 .LBB8_1961
; %bb.1956:
	s_cmp_gt_i32 s0, 6
	s_cbranch_scc0 .LBB8_1958
; %bb.1957:
	s_mov_b32 s3, 0
	global_store_b64 v[2:3], v[8:9], off
.LBB8_1958:
	s_and_not1_b32 vcc_lo, exec_lo, s3
	s_cbranch_vccnz .LBB8_1960
; %bb.1959:
	s_wait_xcnt 0x0
	v_cvt_f32_f64_e32 v1, v[8:9]
	global_store_b32 v[2:3], v1, off
.LBB8_1960:
	s_mov_b32 s3, 0
.LBB8_1961:
	s_delay_alu instid0(SALU_CYCLE_1)
	s_and_not1_b32 vcc_lo, exec_lo, s3
	s_cbranch_vccnz .LBB8_1963
; %bb.1962:
	s_wait_xcnt 0x0
	v_and_or_b32 v1, 0x1ff, v9, v8
	v_lshrrev_b32_e32 v4, 8, v9
	v_bfe_u32 v5, v9, 20, 11
	s_delay_alu instid0(VALU_DEP_3) | instskip(NEXT) | instid1(VALU_DEP_2)
	v_cmp_ne_u32_e32 vcc_lo, 0, v1
	v_sub_nc_u32_e32 v6, 0x3f1, v5
	v_add_nc_u32_e32 v5, 0xfffffc10, v5
	v_cndmask_b32_e64 v1, 0, 1, vcc_lo
	s_delay_alu instid0(VALU_DEP_1) | instskip(NEXT) | instid1(VALU_DEP_4)
	v_and_or_b32 v1, 0xffe, v4, v1
	v_med3_i32 v4, v6, 0, 13
	s_delay_alu instid0(VALU_DEP_2) | instskip(NEXT) | instid1(VALU_DEP_1)
	v_or_b32_e32 v6, 0x1000, v1
	v_lshrrev_b32_e32 v7, v4, v6
	s_delay_alu instid0(VALU_DEP_1) | instskip(NEXT) | instid1(VALU_DEP_1)
	v_lshlrev_b32_e32 v4, v4, v7
	v_cmp_ne_u32_e32 vcc_lo, v4, v6
	v_lshl_or_b32 v6, v5, 12, v1
	v_cndmask_b32_e64 v4, 0, 1, vcc_lo
	v_cmp_gt_i32_e32 vcc_lo, 1, v5
	s_delay_alu instid0(VALU_DEP_2) | instskip(NEXT) | instid1(VALU_DEP_1)
	v_or_b32_e32 v4, v7, v4
	v_cndmask_b32_e32 v4, v6, v4, vcc_lo
	s_delay_alu instid0(VALU_DEP_1) | instskip(NEXT) | instid1(VALU_DEP_1)
	v_dual_lshrrev_b32 v4, 2, v4 :: v_dual_bitop2_b32 v6, 7, v4 bitop3:0x40
	v_cmp_lt_i32_e32 vcc_lo, 5, v6
	v_cndmask_b32_e64 v7, 0, 1, vcc_lo
	v_cmp_eq_u32_e32 vcc_lo, 3, v6
	v_cndmask_b32_e64 v6, 0, 1, vcc_lo
	v_cmp_ne_u32_e32 vcc_lo, 0, v1
	s_delay_alu instid0(VALU_DEP_2) | instskip(NEXT) | instid1(VALU_DEP_1)
	v_or_b32_e32 v6, v6, v7
	v_dual_mov_b32 v7, 0x7e00 :: v_dual_add_nc_u32 v4, v4, v6
	s_delay_alu instid0(VALU_DEP_1) | instskip(SKIP_1) | instid1(VALU_DEP_3)
	v_cndmask_b32_e32 v1, 0x7c00, v7, vcc_lo
	v_cmp_gt_i32_e32 vcc_lo, 31, v5
	v_cndmask_b32_e32 v4, 0x7c00, v4, vcc_lo
	v_cmp_eq_u32_e32 vcc_lo, 0x40f, v5
	s_delay_alu instid0(VALU_DEP_2) | instskip(SKIP_1) | instid1(VALU_DEP_1)
	v_cndmask_b32_e32 v1, v4, v1, vcc_lo
	v_lshrrev_b32_e32 v4, 16, v9
	v_and_or_b32 v1, 0x8000, v4, v1
	global_store_b16 v[2:3], v1, off
.LBB8_1963:
	s_mov_b32 s3, 0
.LBB8_1964:
	s_delay_alu instid0(SALU_CYCLE_1)
	s_and_not1_b32 vcc_lo, exec_lo, s3
	s_cbranch_vccnz .LBB8_1980
; %bb.1965:
	s_cmp_lt_i32 s0, 2
	s_mov_b32 s3, -1
	s_cbranch_scc1 .LBB8_1975
; %bb.1966:
	s_cmp_lt_i32 s0, 3
	s_cbranch_scc1 .LBB8_1972
; %bb.1967:
	s_cmp_gt_i32 s0, 3
	s_cbranch_scc0 .LBB8_1969
; %bb.1968:
	s_wait_xcnt 0x0
	v_trunc_f64_e32 v[4:5], v[8:9]
	s_mov_b32 s3, 0
	s_delay_alu instid0(VALU_DEP_1) | instskip(NEXT) | instid1(VALU_DEP_1)
	v_ldexp_f64 v[6:7], v[4:5], 0xffffffe0
	v_floor_f64_e32 v[6:7], v[6:7]
	s_delay_alu instid0(VALU_DEP_1) | instskip(SKIP_1) | instid1(VALU_DEP_2)
	v_fmamk_f64 v[4:5], v[6:7], 0xc1f00000, v[4:5]
	v_cvt_i32_f64_e32 v7, v[6:7]
	v_cvt_u32_f64_e32 v6, v[4:5]
	global_store_b64 v[2:3], v[6:7], off
.LBB8_1969:
	s_and_not1_b32 vcc_lo, exec_lo, s3
	s_cbranch_vccnz .LBB8_1971
; %bb.1970:
	s_wait_xcnt 0x0
	v_cvt_i32_f64_e32 v1, v[8:9]
	global_store_b32 v[2:3], v1, off
.LBB8_1971:
	s_mov_b32 s3, 0
.LBB8_1972:
	s_delay_alu instid0(SALU_CYCLE_1)
	s_and_not1_b32 vcc_lo, exec_lo, s3
	s_cbranch_vccnz .LBB8_1974
; %bb.1973:
	s_wait_xcnt 0x0
	v_cvt_i32_f64_e32 v1, v[8:9]
	global_store_b16 v[2:3], v1, off
.LBB8_1974:
	s_mov_b32 s3, 0
.LBB8_1975:
	s_delay_alu instid0(SALU_CYCLE_1)
	s_and_not1_b32 vcc_lo, exec_lo, s3
	s_cbranch_vccnz .LBB8_1980
; %bb.1976:
	s_cmp_gt_i32 s0, 0
	s_mov_b32 s0, -1
	s_cbranch_scc0 .LBB8_1978
; %bb.1977:
	s_wait_xcnt 0x0
	v_cvt_i32_f64_e32 v1, v[8:9]
	s_mov_b32 s0, 0
	global_store_b8 v[2:3], v1, off
.LBB8_1978:
	s_and_not1_b32 vcc_lo, exec_lo, s0
	s_cbranch_vccnz .LBB8_1980
; %bb.1979:
	s_wait_xcnt 0x0
	v_trunc_f64_e32 v[4:5], v[8:9]
	s_delay_alu instid0(VALU_DEP_1) | instskip(NEXT) | instid1(VALU_DEP_1)
	v_ldexp_f64 v[6:7], v[4:5], 0xffffffe0
	v_floor_f64_e32 v[6:7], v[6:7]
	s_delay_alu instid0(VALU_DEP_1) | instskip(NEXT) | instid1(VALU_DEP_1)
	v_fmamk_f64 v[4:5], v[6:7], 0xc1f00000, v[4:5]
	v_cvt_u32_f64_e32 v1, v[4:5]
	global_store_b8 v[2:3], v1, off
.LBB8_1980:
	s_mov_b32 s7, -1
.LBB8_1981:
	s_delay_alu instid0(SALU_CYCLE_1)
	s_and_not1_b32 vcc_lo, exec_lo, s7
	s_cbranch_vccnz .LBB8_2058
; %bb.1982:
	v_add_nc_u32_e32 v0, s2, v0
	s_cmp_lt_i32 s12, 11
	s_wait_xcnt 0x0
	s_delay_alu instid0(VALU_DEP_1) | instskip(NEXT) | instid1(VALU_DEP_1)
	v_ashrrev_i32_e32 v1, 31, v0
	v_add_nc_u64_e32 v[0:1], s[4:5], v[0:1]
	s_cbranch_scc1 .LBB8_2059
; %bb.1983:
	s_and_b32 s2, 0xffff, s12
	s_mov_b32 s4, -1
	s_mov_b32 s3, 0
	s_cmp_gt_i32 s2, 25
	s_mov_b32 s0, 0
	s_cbranch_scc0 .LBB8_2016
; %bb.1984:
	s_cmp_gt_i32 s2, 28
	s_cbranch_scc0 .LBB8_2000
; %bb.1985:
	s_cmp_gt_i32 s2, 43
	;; [unrolled: 3-line block ×3, first 2 shown]
	s_cbranch_scc0 .LBB8_1990
; %bb.1987:
	s_cmp_eq_u32 s2, 46
	s_mov_b32 s0, -1
	s_cbranch_scc0 .LBB8_1989
; %bb.1988:
	v_cvt_f32_f64_e32 v2, v[12:13]
	s_mov_b32 s0, 0
	s_delay_alu instid0(VALU_DEP_1) | instskip(SKIP_1) | instid1(VALU_DEP_2)
	v_bfe_u32 v3, v2, 16, 1
	v_cmp_o_f32_e32 vcc_lo, v2, v2
	v_add3_u32 v3, v2, v3, 0x7fff
	s_delay_alu instid0(VALU_DEP_1) | instskip(NEXT) | instid1(VALU_DEP_1)
	v_lshrrev_b32_e32 v3, 16, v3
	v_cndmask_b32_e32 v2, 0x7fc0, v3, vcc_lo
	global_store_b32 v[0:1], v2, off
.LBB8_1989:
	s_mov_b32 s4, 0
.LBB8_1990:
	s_delay_alu instid0(SALU_CYCLE_1)
	s_and_b32 vcc_lo, exec_lo, s4
	s_cbranch_vccz .LBB8_1995
; %bb.1991:
	s_cmp_eq_u32 s2, 44
	s_mov_b32 s0, -1
	s_cbranch_scc0 .LBB8_1995
; %bb.1992:
	s_wait_xcnt 0x0
	v_cvt_f32_f64_e32 v2, v[12:13]
	v_mov_b32_e32 v3, 0xff
	s_mov_b32 s4, exec_lo
	s_delay_alu instid0(VALU_DEP_2) | instskip(NEXT) | instid1(VALU_DEP_1)
	v_bfe_u32 v4, v2, 23, 8
	v_cmpx_ne_u32_e32 0xff, v4
	s_cbranch_execz .LBB8_1994
; %bb.1993:
	v_and_b32_e32 v3, 0x400000, v2
	v_and_or_b32 v4, 0x3fffff, v2, v4
	v_lshrrev_b32_e32 v2, 23, v2
	s_delay_alu instid0(VALU_DEP_3) | instskip(NEXT) | instid1(VALU_DEP_3)
	v_cmp_ne_u32_e32 vcc_lo, 0, v3
	v_cmp_ne_u32_e64 s0, 0, v4
	s_and_b32 s0, vcc_lo, s0
	s_delay_alu instid0(SALU_CYCLE_1) | instskip(NEXT) | instid1(VALU_DEP_1)
	v_cndmask_b32_e64 v3, 0, 1, s0
	v_add_nc_u32_e32 v3, v2, v3
.LBB8_1994:
	s_or_b32 exec_lo, exec_lo, s4
	s_mov_b32 s0, 0
	global_store_b8 v[0:1], v3, off
.LBB8_1995:
	s_mov_b32 s4, 0
.LBB8_1996:
	s_delay_alu instid0(SALU_CYCLE_1)
	s_and_b32 vcc_lo, exec_lo, s4
	s_cbranch_vccz .LBB8_1999
; %bb.1997:
	s_cmp_eq_u32 s2, 29
	s_mov_b32 s0, -1
	s_cbranch_scc0 .LBB8_1999
; %bb.1998:
	s_wait_xcnt 0x0
	v_trunc_f64_e32 v[2:3], v[12:13]
	s_mov_b32 s0, 0
	s_delay_alu instid0(VALU_DEP_1) | instskip(NEXT) | instid1(VALU_DEP_1)
	v_ldexp_f64 v[4:5], v[2:3], 0xffffffe0
	v_floor_f64_e32 v[4:5], v[4:5]
	s_delay_alu instid0(VALU_DEP_1) | instskip(SKIP_1) | instid1(VALU_DEP_2)
	v_fmamk_f64 v[2:3], v[4:5], 0xc1f00000, v[2:3]
	v_cvt_u32_f64_e32 v5, v[4:5]
	v_cvt_u32_f64_e32 v4, v[2:3]
	global_store_b64 v[0:1], v[4:5], off
.LBB8_1999:
	s_mov_b32 s4, 0
.LBB8_2000:
	s_delay_alu instid0(SALU_CYCLE_1)
	s_and_b32 vcc_lo, exec_lo, s4
	s_cbranch_vccz .LBB8_2015
; %bb.2001:
	s_cmp_lt_i32 s2, 27
	s_mov_b32 s4, -1
	s_cbranch_scc1 .LBB8_2007
; %bb.2002:
	s_wait_xcnt 0x0
	v_cvt_u32_f64_e32 v2, v[12:13]
	s_cmp_gt_i32 s2, 27
	s_cbranch_scc0 .LBB8_2004
; %bb.2003:
	s_mov_b32 s4, 0
	global_store_b32 v[0:1], v2, off
.LBB8_2004:
	s_and_not1_b32 vcc_lo, exec_lo, s4
	s_cbranch_vccnz .LBB8_2006
; %bb.2005:
	global_store_b16 v[0:1], v2, off
.LBB8_2006:
	s_mov_b32 s4, 0
.LBB8_2007:
	s_delay_alu instid0(SALU_CYCLE_1)
	s_and_not1_b32 vcc_lo, exec_lo, s4
	s_cbranch_vccnz .LBB8_2015
; %bb.2008:
	s_wait_xcnt 0x0
	v_cvt_f32_f64_e32 v2, v[12:13]
	v_mov_b32_e32 v4, 0x80
	s_mov_b32 s4, exec_lo
	s_delay_alu instid0(VALU_DEP_2) | instskip(NEXT) | instid1(VALU_DEP_1)
	v_and_b32_e32 v3, 0x7fffffff, v2
	v_cmpx_gt_u32_e32 0x43800000, v3
	s_cbranch_execz .LBB8_2014
; %bb.2009:
	v_cmp_lt_u32_e32 vcc_lo, 0x3bffffff, v3
	s_mov_b32 s5, 0
                                        ; implicit-def: $vgpr3
	s_and_saveexec_b32 s6, vcc_lo
	s_delay_alu instid0(SALU_CYCLE_1)
	s_xor_b32 s6, exec_lo, s6
	s_cbranch_execz .LBB8_2076
; %bb.2010:
	v_bfe_u32 v3, v2, 20, 1
	s_mov_b32 s5, exec_lo
	s_delay_alu instid0(VALU_DEP_1) | instskip(NEXT) | instid1(VALU_DEP_1)
	v_add3_u32 v3, v2, v3, 0x487ffff
	v_lshrrev_b32_e32 v3, 20, v3
	s_and_not1_saveexec_b32 s6, s6
	s_cbranch_execnz .LBB8_2077
.LBB8_2011:
	s_or_b32 exec_lo, exec_lo, s6
	v_mov_b32_e32 v4, 0
	s_and_saveexec_b32 s6, s5
.LBB8_2012:
	v_lshrrev_b32_e32 v2, 24, v2
	s_delay_alu instid0(VALU_DEP_1)
	v_and_or_b32 v4, 0x80, v2, v3
.LBB8_2013:
	s_or_b32 exec_lo, exec_lo, s6
.LBB8_2014:
	s_delay_alu instid0(SALU_CYCLE_1)
	s_or_b32 exec_lo, exec_lo, s4
	global_store_b8 v[0:1], v4, off
.LBB8_2015:
	s_mov_b32 s4, 0
.LBB8_2016:
	s_delay_alu instid0(SALU_CYCLE_1)
	s_and_b32 vcc_lo, exec_lo, s4
	s_cbranch_vccz .LBB8_2056
; %bb.2017:
	s_cmp_gt_i32 s2, 22
	s_mov_b32 s3, -1
	s_cbranch_scc0 .LBB8_2049
; %bb.2018:
	s_cmp_lt_i32 s2, 24
	s_cbranch_scc1 .LBB8_2038
; %bb.2019:
	s_cmp_gt_i32 s2, 24
	s_cbranch_scc0 .LBB8_2027
; %bb.2020:
	s_wait_xcnt 0x0
	v_cvt_f32_f64_e32 v2, v[12:13]
	v_mov_b32_e32 v4, 0x80
	s_mov_b32 s3, exec_lo
	s_delay_alu instid0(VALU_DEP_2) | instskip(NEXT) | instid1(VALU_DEP_1)
	v_and_b32_e32 v3, 0x7fffffff, v2
	v_cmpx_gt_u32_e32 0x47800000, v3
	s_cbranch_execz .LBB8_2026
; %bb.2021:
	v_cmp_lt_u32_e32 vcc_lo, 0x37ffffff, v3
	s_mov_b32 s4, 0
                                        ; implicit-def: $vgpr3
	s_and_saveexec_b32 s5, vcc_lo
	s_delay_alu instid0(SALU_CYCLE_1)
	s_xor_b32 s5, exec_lo, s5
	s_cbranch_execz .LBB8_2079
; %bb.2022:
	v_bfe_u32 v3, v2, 21, 1
	s_mov_b32 s4, exec_lo
	s_delay_alu instid0(VALU_DEP_1) | instskip(NEXT) | instid1(VALU_DEP_1)
	v_add3_u32 v3, v2, v3, 0x88fffff
	v_lshrrev_b32_e32 v3, 21, v3
	s_and_not1_saveexec_b32 s5, s5
	s_cbranch_execnz .LBB8_2080
.LBB8_2023:
	s_or_b32 exec_lo, exec_lo, s5
	v_mov_b32_e32 v4, 0
	s_and_saveexec_b32 s5, s4
.LBB8_2024:
	v_lshrrev_b32_e32 v2, 24, v2
	s_delay_alu instid0(VALU_DEP_1)
	v_and_or_b32 v4, 0x80, v2, v3
.LBB8_2025:
	s_or_b32 exec_lo, exec_lo, s5
.LBB8_2026:
	s_delay_alu instid0(SALU_CYCLE_1)
	s_or_b32 exec_lo, exec_lo, s3
	s_mov_b32 s3, 0
	global_store_b8 v[0:1], v4, off
.LBB8_2027:
	s_and_b32 vcc_lo, exec_lo, s3
	s_cbranch_vccz .LBB8_2037
; %bb.2028:
	s_wait_xcnt 0x0
	v_cvt_f32_f64_e32 v2, v[12:13]
	s_mov_b32 s3, exec_lo
                                        ; implicit-def: $vgpr3
	s_delay_alu instid0(VALU_DEP_1) | instskip(NEXT) | instid1(VALU_DEP_1)
	v_and_b32_e32 v4, 0x7fffffff, v2
	v_cmpx_gt_u32_e32 0x43f00000, v4
	s_xor_b32 s3, exec_lo, s3
	s_cbranch_execz .LBB8_2034
; %bb.2029:
	s_mov_b32 s4, exec_lo
                                        ; implicit-def: $vgpr3
	v_cmpx_lt_u32_e32 0x3c7fffff, v4
	s_xor_b32 s4, exec_lo, s4
; %bb.2030:
	v_bfe_u32 v3, v2, 20, 1
	s_delay_alu instid0(VALU_DEP_1) | instskip(NEXT) | instid1(VALU_DEP_1)
	v_add3_u32 v3, v2, v3, 0x407ffff
	v_and_b32_e32 v4, 0xff00000, v3
	v_lshrrev_b32_e32 v3, 20, v3
	s_delay_alu instid0(VALU_DEP_2) | instskip(NEXT) | instid1(VALU_DEP_2)
	v_cmp_ne_u32_e32 vcc_lo, 0x7f00000, v4
	v_cndmask_b32_e32 v3, 0x7e, v3, vcc_lo
; %bb.2031:
	s_and_not1_saveexec_b32 s4, s4
; %bb.2032:
	v_add_f32_e64 v3, 0x46800000, |v2|
; %bb.2033:
	s_or_b32 exec_lo, exec_lo, s4
                                        ; implicit-def: $vgpr4
.LBB8_2034:
	s_and_not1_saveexec_b32 s3, s3
; %bb.2035:
	v_mov_b32_e32 v3, 0x7f
	v_cmp_lt_u32_e32 vcc_lo, 0x7f800000, v4
	s_delay_alu instid0(VALU_DEP_2)
	v_cndmask_b32_e32 v3, 0x7e, v3, vcc_lo
; %bb.2036:
	s_or_b32 exec_lo, exec_lo, s3
	v_lshrrev_b32_e32 v2, 24, v2
	s_delay_alu instid0(VALU_DEP_1)
	v_and_or_b32 v2, 0x80, v2, v3
	global_store_b8 v[0:1], v2, off
.LBB8_2037:
	s_mov_b32 s3, 0
.LBB8_2038:
	s_delay_alu instid0(SALU_CYCLE_1)
	s_and_not1_b32 vcc_lo, exec_lo, s3
	s_cbranch_vccnz .LBB8_2048
; %bb.2039:
	s_wait_xcnt 0x0
	v_cvt_f32_f64_e32 v2, v[12:13]
	s_mov_b32 s3, exec_lo
                                        ; implicit-def: $vgpr3
	s_delay_alu instid0(VALU_DEP_1) | instskip(NEXT) | instid1(VALU_DEP_1)
	v_and_b32_e32 v4, 0x7fffffff, v2
	v_cmpx_gt_u32_e32 0x47800000, v4
	s_xor_b32 s3, exec_lo, s3
	s_cbranch_execz .LBB8_2045
; %bb.2040:
	s_mov_b32 s4, exec_lo
                                        ; implicit-def: $vgpr3
	v_cmpx_lt_u32_e32 0x387fffff, v4
	s_xor_b32 s4, exec_lo, s4
; %bb.2041:
	v_bfe_u32 v3, v2, 21, 1
	s_delay_alu instid0(VALU_DEP_1) | instskip(NEXT) | instid1(VALU_DEP_1)
	v_add3_u32 v3, v2, v3, 0x80fffff
	v_lshrrev_b32_e32 v3, 21, v3
; %bb.2042:
	s_and_not1_saveexec_b32 s4, s4
; %bb.2043:
	v_add_f32_e64 v3, 0x43000000, |v2|
; %bb.2044:
	s_or_b32 exec_lo, exec_lo, s4
                                        ; implicit-def: $vgpr4
.LBB8_2045:
	s_and_not1_saveexec_b32 s3, s3
; %bb.2046:
	v_mov_b32_e32 v3, 0x7f
	v_cmp_lt_u32_e32 vcc_lo, 0x7f800000, v4
	s_delay_alu instid0(VALU_DEP_2)
	v_cndmask_b32_e32 v3, 0x7c, v3, vcc_lo
; %bb.2047:
	s_or_b32 exec_lo, exec_lo, s3
	v_lshrrev_b32_e32 v2, 24, v2
	s_delay_alu instid0(VALU_DEP_1)
	v_and_or_b32 v2, 0x80, v2, v3
	global_store_b8 v[0:1], v2, off
.LBB8_2048:
	s_mov_b32 s3, 0
.LBB8_2049:
	s_delay_alu instid0(SALU_CYCLE_1)
	s_and_not1_b32 vcc_lo, exec_lo, s3
	s_mov_b32 s3, 0
	s_cbranch_vccnz .LBB8_2056
; %bb.2050:
	s_cmp_gt_i32 s2, 14
	s_mov_b32 s3, -1
	s_cbranch_scc0 .LBB8_2054
; %bb.2051:
	s_cmp_eq_u32 s2, 15
	s_mov_b32 s0, -1
	s_cbranch_scc0 .LBB8_2053
; %bb.2052:
	s_wait_xcnt 0x0
	v_cvt_f32_f64_e32 v2, v[12:13]
	s_mov_b32 s0, 0
	s_delay_alu instid0(VALU_DEP_1) | instskip(SKIP_1) | instid1(VALU_DEP_2)
	v_bfe_u32 v3, v2, 16, 1
	v_cmp_o_f32_e32 vcc_lo, v2, v2
	v_add3_u32 v3, v2, v3, 0x7fff
	s_delay_alu instid0(VALU_DEP_1) | instskip(NEXT) | instid1(VALU_DEP_1)
	v_lshrrev_b32_e32 v3, 16, v3
	v_cndmask_b32_e32 v2, 0x7fc0, v3, vcc_lo
	global_store_b16 v[0:1], v2, off
.LBB8_2053:
	s_mov_b32 s3, 0
.LBB8_2054:
	s_delay_alu instid0(SALU_CYCLE_1)
	s_and_b32 vcc_lo, exec_lo, s3
	s_mov_b32 s3, 0
	s_cbranch_vccz .LBB8_2056
; %bb.2055:
	s_cmp_lg_u32 s2, 11
	s_mov_b32 s3, -1
	s_cselect_b32 s0, -1, 0
.LBB8_2056:
	s_delay_alu instid0(SALU_CYCLE_1)
	s_and_b32 vcc_lo, exec_lo, s0
	s_cbranch_vccnz .LBB8_2078
.LBB8_2057:
	s_mov_b32 s0, 0
	s_branch .LBB8_1659
.LBB8_2058:
	s_mov_b32 s0, 0
	s_mov_b32 s3, 0
                                        ; implicit-def: $sgpr12
                                        ; implicit-def: $vgpr0_vgpr1
	s_branch .LBB8_1659
.LBB8_2059:
	s_mov_b32 s3, 0
	s_mov_b32 s0, -1
	s_branch .LBB8_1659
.LBB8_2060:
	s_or_b32 s1, s1, exec_lo
	s_trap 2
	s_cbranch_execz .LBB8_1524
	s_branch .LBB8_1525
.LBB8_2061:
	s_and_not1_saveexec_b32 s9, s9
	s_cbranch_execz .LBB8_1608
.LBB8_2062:
	v_add_f32_e64 v3, 0x46000000, |v2|
	s_and_not1_b32 s8, s8, exec_lo
	s_delay_alu instid0(VALU_DEP_1) | instskip(NEXT) | instid1(VALU_DEP_1)
	v_and_b32_e32 v3, 0xff, v3
	v_cmp_ne_u32_e32 vcc_lo, 0, v3
	s_and_b32 s13, vcc_lo, exec_lo
	s_delay_alu instid0(SALU_CYCLE_1)
	s_or_b32 s8, s8, s13
	s_or_b32 exec_lo, exec_lo, s9
	v_mov_b32_e32 v7, 0
	s_and_saveexec_b32 s9, s8
	s_cbranch_execnz .LBB8_1609
	s_branch .LBB8_1610
.LBB8_2063:
	s_or_b32 s1, s1, exec_lo
	s_trap 2
	s_cbranch_execz .LBB8_1656
	s_branch .LBB8_1657
.LBB8_2064:
	s_and_not1_saveexec_b32 s8, s8
	s_cbranch_execz .LBB8_1621
.LBB8_2065:
	v_add_f32_e64 v3, 0x42800000, |v2|
	s_and_not1_b32 s7, s7, exec_lo
	s_delay_alu instid0(VALU_DEP_1) | instskip(NEXT) | instid1(VALU_DEP_1)
	v_and_b32_e32 v3, 0xff, v3
	v_cmp_ne_u32_e32 vcc_lo, 0, v3
	s_and_b32 s9, vcc_lo, exec_lo
	s_delay_alu instid0(SALU_CYCLE_1)
	s_or_b32 s7, s7, s9
	s_or_b32 exec_lo, exec_lo, s8
	v_mov_b32_e32 v7, 0
	s_and_saveexec_b32 s8, s7
	s_cbranch_execnz .LBB8_1622
	s_branch .LBB8_1623
.LBB8_2066:
	s_and_not1_saveexec_b32 s9, s9
	s_cbranch_execz .LBB8_1772
.LBB8_2067:
	v_add_f32_e64 v6, 0x46000000, |v1|
	s_and_not1_b32 s8, s8, exec_lo
	s_delay_alu instid0(VALU_DEP_1) | instskip(NEXT) | instid1(VALU_DEP_1)
	v_and_b32_e32 v6, 0xff, v6
	v_cmp_ne_u32_e32 vcc_lo, 0, v6
	s_and_b32 s13, vcc_lo, exec_lo
	s_delay_alu instid0(SALU_CYCLE_1)
	s_or_b32 s8, s8, s13
	s_or_b32 exec_lo, exec_lo, s9
	v_mov_b32_e32 v7, 0
	s_and_saveexec_b32 s9, s8
	s_cbranch_execnz .LBB8_1773
	s_branch .LBB8_1774
.LBB8_2068:
	s_or_b32 s1, s1, exec_lo
	s_trap 2
	s_cbranch_execz .LBB8_1820
	s_branch .LBB8_1821
.LBB8_2069:
	s_and_not1_saveexec_b32 s8, s8
	s_cbranch_execz .LBB8_1785
.LBB8_2070:
	v_add_f32_e64 v6, 0x42800000, |v1|
	s_and_not1_b32 s7, s7, exec_lo
	s_delay_alu instid0(VALU_DEP_1) | instskip(NEXT) | instid1(VALU_DEP_1)
	v_and_b32_e32 v6, 0xff, v6
	v_cmp_ne_u32_e32 vcc_lo, 0, v6
	s_and_b32 s9, vcc_lo, exec_lo
	s_delay_alu instid0(SALU_CYCLE_1)
	s_or_b32 s7, s7, s9
	s_or_b32 exec_lo, exec_lo, s8
	v_mov_b32_e32 v7, 0
	s_and_saveexec_b32 s8, s7
	s_cbranch_execnz .LBB8_1786
	s_branch .LBB8_1787
.LBB8_2071:
	s_and_not1_saveexec_b32 s9, s9
	s_cbranch_execz .LBB8_1891
.LBB8_2072:
	v_add_f32_e64 v4, 0x46000000, |v1|
	s_and_not1_b32 s8, s8, exec_lo
	s_delay_alu instid0(VALU_DEP_1) | instskip(NEXT) | instid1(VALU_DEP_1)
	v_and_b32_e32 v4, 0xff, v4
	v_cmp_ne_u32_e32 vcc_lo, 0, v4
	s_and_b32 s13, vcc_lo, exec_lo
	s_delay_alu instid0(SALU_CYCLE_1)
	s_or_b32 s8, s8, s13
	s_or_b32 exec_lo, exec_lo, s9
	v_mov_b32_e32 v5, 0
	s_and_saveexec_b32 s9, s8
	s_cbranch_execnz .LBB8_1892
	s_branch .LBB8_1893
.LBB8_2073:
	s_or_b32 s1, s1, exec_lo
	s_trap 2
	s_cbranch_execz .LBB8_1939
	s_branch .LBB8_1940
.LBB8_2074:
	s_and_not1_saveexec_b32 s8, s8
	s_cbranch_execz .LBB8_1904
.LBB8_2075:
	v_add_f32_e64 v4, 0x42800000, |v1|
	s_and_not1_b32 s7, s7, exec_lo
	s_delay_alu instid0(VALU_DEP_1) | instskip(NEXT) | instid1(VALU_DEP_1)
	v_and_b32_e32 v4, 0xff, v4
	v_cmp_ne_u32_e32 vcc_lo, 0, v4
	s_and_b32 s9, vcc_lo, exec_lo
	s_delay_alu instid0(SALU_CYCLE_1)
	s_or_b32 s7, s7, s9
	s_or_b32 exec_lo, exec_lo, s8
	v_mov_b32_e32 v5, 0
	s_and_saveexec_b32 s8, s7
	s_cbranch_execnz .LBB8_1905
	s_branch .LBB8_1906
.LBB8_2076:
	s_and_not1_saveexec_b32 s6, s6
	s_cbranch_execz .LBB8_2011
.LBB8_2077:
	v_add_f32_e64 v3, 0x46000000, |v2|
	s_and_not1_b32 s5, s5, exec_lo
	s_delay_alu instid0(VALU_DEP_1) | instskip(NEXT) | instid1(VALU_DEP_1)
	v_and_b32_e32 v3, 0xff, v3
	v_cmp_ne_u32_e32 vcc_lo, 0, v3
	s_and_b32 s7, vcc_lo, exec_lo
	s_delay_alu instid0(SALU_CYCLE_1)
	s_or_b32 s5, s5, s7
	s_or_b32 exec_lo, exec_lo, s6
	v_mov_b32_e32 v4, 0
	s_and_saveexec_b32 s6, s5
	s_cbranch_execnz .LBB8_2012
	s_branch .LBB8_2013
.LBB8_2078:
	s_mov_b32 s3, 0
	s_or_b32 s1, s1, exec_lo
	s_trap 2
	s_branch .LBB8_2057
.LBB8_2079:
	s_and_not1_saveexec_b32 s5, s5
	s_cbranch_execz .LBB8_2023
.LBB8_2080:
	v_add_f32_e64 v3, 0x42800000, |v2|
	s_and_not1_b32 s4, s4, exec_lo
	s_delay_alu instid0(VALU_DEP_1) | instskip(NEXT) | instid1(VALU_DEP_1)
	v_and_b32_e32 v3, 0xff, v3
	v_cmp_ne_u32_e32 vcc_lo, 0, v3
	s_and_b32 s6, vcc_lo, exec_lo
	s_delay_alu instid0(SALU_CYCLE_1)
	s_or_b32 s4, s4, s6
	s_or_b32 exec_lo, exec_lo, s5
	v_mov_b32_e32 v4, 0
	s_and_saveexec_b32 s5, s4
	s_cbranch_execnz .LBB8_2024
	s_branch .LBB8_2025
	.section	.rodata,"a",@progbits
	.p2align	6, 0x0
	.amdhsa_kernel _ZN2at6native32elementwise_kernel_manual_unrollILi128ELi4EZNS0_15gpu_kernel_implIZZZNS0_12_GLOBAL__N_130modified_bessel_i0_kernel_cudaERNS_18TensorIteratorBaseEENKUlvE_clEvENKUlvE_clEvEUldE_EEvS5_RKT_EUlibE_EEviT1_
		.amdhsa_group_segment_fixed_size 0
		.amdhsa_private_segment_fixed_size 0
		.amdhsa_kernarg_size 40
		.amdhsa_user_sgpr_count 2
		.amdhsa_user_sgpr_dispatch_ptr 0
		.amdhsa_user_sgpr_queue_ptr 0
		.amdhsa_user_sgpr_kernarg_segment_ptr 1
		.amdhsa_user_sgpr_dispatch_id 0
		.amdhsa_user_sgpr_kernarg_preload_length 0
		.amdhsa_user_sgpr_kernarg_preload_offset 0
		.amdhsa_user_sgpr_private_segment_size 0
		.amdhsa_wavefront_size32 1
		.amdhsa_uses_dynamic_stack 0
		.amdhsa_enable_private_segment 0
		.amdhsa_system_sgpr_workgroup_id_x 1
		.amdhsa_system_sgpr_workgroup_id_y 0
		.amdhsa_system_sgpr_workgroup_id_z 0
		.amdhsa_system_sgpr_workgroup_info 0
		.amdhsa_system_vgpr_workitem_id 0
		.amdhsa_next_free_vgpr 30
		.amdhsa_next_free_sgpr 26
		.amdhsa_named_barrier_count 0
		.amdhsa_reserve_vcc 1
		.amdhsa_float_round_mode_32 0
		.amdhsa_float_round_mode_16_64 0
		.amdhsa_float_denorm_mode_32 3
		.amdhsa_float_denorm_mode_16_64 3
		.amdhsa_fp16_overflow 0
		.amdhsa_memory_ordered 1
		.amdhsa_forward_progress 1
		.amdhsa_inst_pref_size 255
		.amdhsa_round_robin_scheduling 0
		.amdhsa_exception_fp_ieee_invalid_op 0
		.amdhsa_exception_fp_denorm_src 0
		.amdhsa_exception_fp_ieee_div_zero 0
		.amdhsa_exception_fp_ieee_overflow 0
		.amdhsa_exception_fp_ieee_underflow 0
		.amdhsa_exception_fp_ieee_inexact 0
		.amdhsa_exception_int_div_zero 0
	.end_amdhsa_kernel
	.section	.text._ZN2at6native32elementwise_kernel_manual_unrollILi128ELi4EZNS0_15gpu_kernel_implIZZZNS0_12_GLOBAL__N_130modified_bessel_i0_kernel_cudaERNS_18TensorIteratorBaseEENKUlvE_clEvENKUlvE_clEvEUldE_EEvS5_RKT_EUlibE_EEviT1_,"axG",@progbits,_ZN2at6native32elementwise_kernel_manual_unrollILi128ELi4EZNS0_15gpu_kernel_implIZZZNS0_12_GLOBAL__N_130modified_bessel_i0_kernel_cudaERNS_18TensorIteratorBaseEENKUlvE_clEvENKUlvE_clEvEUldE_EEvS5_RKT_EUlibE_EEviT1_,comdat
.Lfunc_end8:
	.size	_ZN2at6native32elementwise_kernel_manual_unrollILi128ELi4EZNS0_15gpu_kernel_implIZZZNS0_12_GLOBAL__N_130modified_bessel_i0_kernel_cudaERNS_18TensorIteratorBaseEENKUlvE_clEvENKUlvE_clEvEUldE_EEvS5_RKT_EUlibE_EEviT1_, .Lfunc_end8-_ZN2at6native32elementwise_kernel_manual_unrollILi128ELi4EZNS0_15gpu_kernel_implIZZZNS0_12_GLOBAL__N_130modified_bessel_i0_kernel_cudaERNS_18TensorIteratorBaseEENKUlvE_clEvENKUlvE_clEvEUldE_EEvS5_RKT_EUlibE_EEviT1_
                                        ; -- End function
	.set _ZN2at6native32elementwise_kernel_manual_unrollILi128ELi4EZNS0_15gpu_kernel_implIZZZNS0_12_GLOBAL__N_130modified_bessel_i0_kernel_cudaERNS_18TensorIteratorBaseEENKUlvE_clEvENKUlvE_clEvEUldE_EEvS5_RKT_EUlibE_EEviT1_.num_vgpr, 30
	.set _ZN2at6native32elementwise_kernel_manual_unrollILi128ELi4EZNS0_15gpu_kernel_implIZZZNS0_12_GLOBAL__N_130modified_bessel_i0_kernel_cudaERNS_18TensorIteratorBaseEENKUlvE_clEvENKUlvE_clEvEUldE_EEvS5_RKT_EUlibE_EEviT1_.num_agpr, 0
	.set _ZN2at6native32elementwise_kernel_manual_unrollILi128ELi4EZNS0_15gpu_kernel_implIZZZNS0_12_GLOBAL__N_130modified_bessel_i0_kernel_cudaERNS_18TensorIteratorBaseEENKUlvE_clEvENKUlvE_clEvEUldE_EEvS5_RKT_EUlibE_EEviT1_.numbered_sgpr, 26
	.set _ZN2at6native32elementwise_kernel_manual_unrollILi128ELi4EZNS0_15gpu_kernel_implIZZZNS0_12_GLOBAL__N_130modified_bessel_i0_kernel_cudaERNS_18TensorIteratorBaseEENKUlvE_clEvENKUlvE_clEvEUldE_EEvS5_RKT_EUlibE_EEviT1_.num_named_barrier, 0
	.set _ZN2at6native32elementwise_kernel_manual_unrollILi128ELi4EZNS0_15gpu_kernel_implIZZZNS0_12_GLOBAL__N_130modified_bessel_i0_kernel_cudaERNS_18TensorIteratorBaseEENKUlvE_clEvENKUlvE_clEvEUldE_EEvS5_RKT_EUlibE_EEviT1_.private_seg_size, 0
	.set _ZN2at6native32elementwise_kernel_manual_unrollILi128ELi4EZNS0_15gpu_kernel_implIZZZNS0_12_GLOBAL__N_130modified_bessel_i0_kernel_cudaERNS_18TensorIteratorBaseEENKUlvE_clEvENKUlvE_clEvEUldE_EEvS5_RKT_EUlibE_EEviT1_.uses_vcc, 1
	.set _ZN2at6native32elementwise_kernel_manual_unrollILi128ELi4EZNS0_15gpu_kernel_implIZZZNS0_12_GLOBAL__N_130modified_bessel_i0_kernel_cudaERNS_18TensorIteratorBaseEENKUlvE_clEvENKUlvE_clEvEUldE_EEvS5_RKT_EUlibE_EEviT1_.uses_flat_scratch, 0
	.set _ZN2at6native32elementwise_kernel_manual_unrollILi128ELi4EZNS0_15gpu_kernel_implIZZZNS0_12_GLOBAL__N_130modified_bessel_i0_kernel_cudaERNS_18TensorIteratorBaseEENKUlvE_clEvENKUlvE_clEvEUldE_EEvS5_RKT_EUlibE_EEviT1_.has_dyn_sized_stack, 0
	.set _ZN2at6native32elementwise_kernel_manual_unrollILi128ELi4EZNS0_15gpu_kernel_implIZZZNS0_12_GLOBAL__N_130modified_bessel_i0_kernel_cudaERNS_18TensorIteratorBaseEENKUlvE_clEvENKUlvE_clEvEUldE_EEvS5_RKT_EUlibE_EEviT1_.has_recursion, 0
	.set _ZN2at6native32elementwise_kernel_manual_unrollILi128ELi4EZNS0_15gpu_kernel_implIZZZNS0_12_GLOBAL__N_130modified_bessel_i0_kernel_cudaERNS_18TensorIteratorBaseEENKUlvE_clEvENKUlvE_clEvEUldE_EEvS5_RKT_EUlibE_EEviT1_.has_indirect_call, 0
	.section	.AMDGPU.csdata,"",@progbits
; Kernel info:
; codeLenInByte = 59632
; TotalNumSgprs: 28
; NumVgprs: 30
; ScratchSize: 0
; MemoryBound: 1
; FloatMode: 240
; IeeeMode: 1
; LDSByteSize: 0 bytes/workgroup (compile time only)
; SGPRBlocks: 0
; VGPRBlocks: 1
; NumSGPRsForWavesPerEU: 28
; NumVGPRsForWavesPerEU: 30
; NamedBarCnt: 0
; Occupancy: 16
; WaveLimiterHint : 0
; COMPUTE_PGM_RSRC2:SCRATCH_EN: 0
; COMPUTE_PGM_RSRC2:USER_SGPR: 2
; COMPUTE_PGM_RSRC2:TRAP_HANDLER: 0
; COMPUTE_PGM_RSRC2:TGID_X_EN: 1
; COMPUTE_PGM_RSRC2:TGID_Y_EN: 0
; COMPUTE_PGM_RSRC2:TGID_Z_EN: 0
; COMPUTE_PGM_RSRC2:TIDIG_COMP_CNT: 0
	.section	.text._ZN2at6native32elementwise_kernel_manual_unrollILi128ELi4EZNS0_15gpu_kernel_implIZZZNS0_12_GLOBAL__N_130modified_bessel_i0_kernel_cudaERNS_18TensorIteratorBaseEENKUlvE_clEvENKUlvE_clEvEUldE_EEvS5_RKT_EUlibE0_EEviT1_,"axG",@progbits,_ZN2at6native32elementwise_kernel_manual_unrollILi128ELi4EZNS0_15gpu_kernel_implIZZZNS0_12_GLOBAL__N_130modified_bessel_i0_kernel_cudaERNS_18TensorIteratorBaseEENKUlvE_clEvENKUlvE_clEvEUldE_EEvS5_RKT_EUlibE0_EEviT1_,comdat
	.globl	_ZN2at6native32elementwise_kernel_manual_unrollILi128ELi4EZNS0_15gpu_kernel_implIZZZNS0_12_GLOBAL__N_130modified_bessel_i0_kernel_cudaERNS_18TensorIteratorBaseEENKUlvE_clEvENKUlvE_clEvEUldE_EEvS5_RKT_EUlibE0_EEviT1_ ; -- Begin function _ZN2at6native32elementwise_kernel_manual_unrollILi128ELi4EZNS0_15gpu_kernel_implIZZZNS0_12_GLOBAL__N_130modified_bessel_i0_kernel_cudaERNS_18TensorIteratorBaseEENKUlvE_clEvENKUlvE_clEvEUldE_EEvS5_RKT_EUlibE0_EEviT1_
	.p2align	8
	.type	_ZN2at6native32elementwise_kernel_manual_unrollILi128ELi4EZNS0_15gpu_kernel_implIZZZNS0_12_GLOBAL__N_130modified_bessel_i0_kernel_cudaERNS_18TensorIteratorBaseEENKUlvE_clEvENKUlvE_clEvEUldE_EEvS5_RKT_EUlibE0_EEviT1_,@function
_ZN2at6native32elementwise_kernel_manual_unrollILi128ELi4EZNS0_15gpu_kernel_implIZZZNS0_12_GLOBAL__N_130modified_bessel_i0_kernel_cudaERNS_18TensorIteratorBaseEENKUlvE_clEvENKUlvE_clEvEUldE_EEvS5_RKT_EUlibE0_EEviT1_: ; @_ZN2at6native32elementwise_kernel_manual_unrollILi128ELi4EZNS0_15gpu_kernel_implIZZZNS0_12_GLOBAL__N_130modified_bessel_i0_kernel_cudaERNS_18TensorIteratorBaseEENKUlvE_clEvENKUlvE_clEvEUldE_EEvS5_RKT_EUlibE0_EEviT1_
; %bb.0:
	s_clause 0x1
	s_load_b32 s28, s[0:1], 0x8
	s_load_b32 s36, s[0:1], 0x0
	s_bfe_u32 s2, ttmp6, 0x4000c
	s_and_b32 s3, ttmp6, 15
	s_add_co_i32 s2, s2, 1
	s_getreg_b32 s4, hwreg(HW_REG_IB_STS2, 6, 4)
	s_mul_i32 s2, ttmp9, s2
	s_mov_b32 s30, 0
	s_add_co_i32 s3, s3, s2
	s_cmp_eq_u32 s4, 0
	s_mov_b32 s23, -1
	s_cselect_b32 s2, ttmp9, s3
	s_mov_b32 s8, 0
	v_lshl_or_b32 v4, s2, 9, v0
	s_add_nc_u64 s[2:3], s[0:1], 8
	s_wait_xcnt 0x0
	s_mov_b32 s0, exec_lo
	s_delay_alu instid0(VALU_DEP_1) | instskip(SKIP_2) | instid1(SALU_CYCLE_1)
	v_or_b32_e32 v5, 0x180, v4
	s_wait_kmcnt 0x0
	s_add_co_i32 s29, s28, -1
	s_cmp_gt_u32 s29, 1
	s_cselect_b32 s31, -1, 0
	v_cmpx_le_i32_e64 s36, v5
	s_xor_b32 s33, exec_lo, s0
	s_cbranch_execz .LBB9_1112
; %bb.1:
	v_mov_b32_e32 v0, 0
	s_clause 0x3
	s_load_b128 s[12:15], s[2:3], 0x4
	s_load_b64 s[0:1], s[2:3], 0x14
	s_load_b128 s[8:11], s[2:3], 0xc4
	s_load_b128 s[4:7], s[2:3], 0x148
	s_cmp_lg_u32 s28, 0
	s_mov_b32 s17, 0
	s_cselect_b32 s38, -1, 0
	global_load_u16 v0, v0, s[2:3] offset:345
	s_min_u32 s37, s29, 15
	s_cmp_gt_u32 s28, 1
	s_add_nc_u64 s[20:21], s[2:3], 0xc4
	s_cselect_b32 s35, -1, 0
	s_mov_b32 s19, s17
	s_mov_b32 s40, s17
	s_mov_b32 s39, s17
	s_mov_b32 s41, exec_lo
	s_wait_kmcnt 0x0
	s_mov_b32 s16, s13
	s_mov_b32 s18, s0
	s_wait_loadcnt 0x0
	v_readfirstlane_b32 s34, v0
	s_and_b32 s13, 0xffff, s34
	s_delay_alu instid0(SALU_CYCLE_1)
	s_lshr_b32 s13, s13, 8
	v_cmpx_gt_i32_e64 s36, v4
	s_cbranch_execz .LBB9_271
; %bb.2:
	s_and_not1_b32 vcc_lo, exec_lo, s31
	s_cbranch_vccnz .LBB9_8
; %bb.3:
	s_and_not1_b32 vcc_lo, exec_lo, s38
	s_cbranch_vccnz .LBB9_9
; %bb.4:
	s_add_co_i32 s0, s37, 1
	s_cmp_eq_u32 s29, 2
	s_cbranch_scc1 .LBB9_10
; %bb.5:
	v_dual_mov_b32 v2, 0 :: v_dual_mov_b32 v0, 0
	v_mov_b32_e32 v1, v4
	s_and_b32 s22, s0, 28
	s_mov_b32 s23, 0
	s_mov_b64 s[24:25], s[2:3]
	s_mov_b64 s[26:27], s[20:21]
.LBB9_6:                                ; =>This Inner Loop Header: Depth=1
	s_clause 0x1
	s_load_b256 s[44:51], s[24:25], 0x4
	s_load_b128 s[60:63], s[24:25], 0x24
	s_load_b256 s[52:59], s[26:27], 0x0
	s_add_co_i32 s23, s23, 4
	s_wait_xcnt 0x0
	s_add_nc_u64 s[24:25], s[24:25], 48
	s_cmp_lg_u32 s22, s23
	s_add_nc_u64 s[26:27], s[26:27], 32
	s_wait_kmcnt 0x0
	v_mul_hi_u32 v3, s45, v1
	s_delay_alu instid0(VALU_DEP_1) | instskip(NEXT) | instid1(VALU_DEP_1)
	v_add_nc_u32_e32 v3, v1, v3
	v_lshrrev_b32_e32 v3, s46, v3
	s_delay_alu instid0(VALU_DEP_1) | instskip(NEXT) | instid1(VALU_DEP_1)
	v_mul_hi_u32 v5, s48, v3
	v_add_nc_u32_e32 v5, v3, v5
	s_delay_alu instid0(VALU_DEP_1) | instskip(NEXT) | instid1(VALU_DEP_1)
	v_lshrrev_b32_e32 v5, s49, v5
	v_mul_hi_u32 v6, s51, v5
	s_delay_alu instid0(VALU_DEP_1) | instskip(SKIP_1) | instid1(VALU_DEP_1)
	v_add_nc_u32_e32 v6, v5, v6
	v_mul_lo_u32 v7, v3, s44
	v_sub_nc_u32_e32 v1, v1, v7
	v_mul_lo_u32 v7, v5, s47
	s_delay_alu instid0(VALU_DEP_4) | instskip(NEXT) | instid1(VALU_DEP_3)
	v_lshrrev_b32_e32 v6, s60, v6
	v_mad_u32 v0, v1, s53, v0
	v_mad_u32 v1, v1, s52, v2
	s_delay_alu instid0(VALU_DEP_4) | instskip(NEXT) | instid1(VALU_DEP_4)
	v_sub_nc_u32_e32 v2, v3, v7
	v_mul_hi_u32 v8, s62, v6
	v_mul_lo_u32 v3, v6, s50
	s_delay_alu instid0(VALU_DEP_3) | instskip(SKIP_1) | instid1(VALU_DEP_3)
	v_mad_u32 v0, v2, s55, v0
	v_mad_u32 v2, v2, s54, v1
	v_dual_add_nc_u32 v7, v6, v8 :: v_dual_sub_nc_u32 v3, v5, v3
	s_delay_alu instid0(VALU_DEP_1) | instskip(NEXT) | instid1(VALU_DEP_2)
	v_lshrrev_b32_e32 v1, s63, v7
	v_mad_u32 v0, v3, s57, v0
	s_delay_alu instid0(VALU_DEP_4) | instskip(NEXT) | instid1(VALU_DEP_3)
	v_mad_u32 v2, v3, s56, v2
	v_mul_lo_u32 v5, v1, s61
	s_delay_alu instid0(VALU_DEP_1) | instskip(NEXT) | instid1(VALU_DEP_1)
	v_sub_nc_u32_e32 v3, v6, v5
	v_mad_u32 v0, v3, s59, v0
	s_delay_alu instid0(VALU_DEP_4)
	v_mad_u32 v2, v3, s58, v2
	s_cbranch_scc1 .LBB9_6
; %bb.7:
	s_delay_alu instid0(VALU_DEP_2)
	v_mov_b32_e32 v3, v0
	s_and_b32 s0, s0, 3
	s_mov_b32 s23, 0
	s_cmp_eq_u32 s0, 0
	s_cbranch_scc0 .LBB9_11
	s_branch .LBB9_14
.LBB9_8:
                                        ; implicit-def: $vgpr0
                                        ; implicit-def: $vgpr2
	s_branch .LBB9_15
.LBB9_9:
	v_dual_mov_b32 v0, 0 :: v_dual_mov_b32 v2, 0
	s_branch .LBB9_14
.LBB9_10:
	v_mov_b64_e32 v[2:3], 0
	v_mov_b32_e32 v1, v4
	s_mov_b32 s22, 0
                                        ; implicit-def: $vgpr0
	s_and_b32 s0, s0, 3
	s_mov_b32 s23, 0
	s_cmp_eq_u32 s0, 0
	s_cbranch_scc1 .LBB9_14
.LBB9_11:
	s_lshl_b32 s24, s22, 3
	s_mov_b32 s25, s23
	s_mul_u64 s[26:27], s[22:23], 12
	s_add_nc_u64 s[24:25], s[2:3], s[24:25]
	s_delay_alu instid0(SALU_CYCLE_1)
	s_add_nc_u64 s[22:23], s[24:25], 0xc4
	s_add_nc_u64 s[24:25], s[2:3], s[26:27]
.LBB9_12:                               ; =>This Inner Loop Header: Depth=1
	s_load_b96 s[44:46], s[24:25], 0x4
	s_load_b64 s[26:27], s[22:23], 0x0
	s_add_co_i32 s0, s0, -1
	s_wait_xcnt 0x0
	s_add_nc_u64 s[24:25], s[24:25], 12
	s_cmp_lg_u32 s0, 0
	s_add_nc_u64 s[22:23], s[22:23], 8
	s_wait_kmcnt 0x0
	v_mul_hi_u32 v0, s45, v1
	s_delay_alu instid0(VALU_DEP_1) | instskip(NEXT) | instid1(VALU_DEP_1)
	v_add_nc_u32_e32 v0, v1, v0
	v_lshrrev_b32_e32 v0, s46, v0
	s_delay_alu instid0(VALU_DEP_1) | instskip(NEXT) | instid1(VALU_DEP_1)
	v_mul_lo_u32 v5, v0, s44
	v_sub_nc_u32_e32 v1, v1, v5
	s_delay_alu instid0(VALU_DEP_1)
	v_mad_u32 v3, v1, s27, v3
	v_mad_u32 v2, v1, s26, v2
	v_mov_b32_e32 v1, v0
	s_cbranch_scc1 .LBB9_12
; %bb.13:
	s_delay_alu instid0(VALU_DEP_3)
	v_mov_b32_e32 v0, v3
.LBB9_14:
	s_cbranch_execnz .LBB9_17
.LBB9_15:
	v_mov_b32_e32 v5, 0
	s_and_not1_b32 vcc_lo, exec_lo, s35
	s_delay_alu instid0(VALU_DEP_1) | instskip(NEXT) | instid1(VALU_DEP_1)
	v_mul_u64_e32 v[0:1], s[16:17], v[4:5]
	v_add_nc_u32_e32 v0, v4, v1
	s_delay_alu instid0(VALU_DEP_1) | instskip(NEXT) | instid1(VALU_DEP_1)
	v_lshrrev_b32_e32 v6, s14, v0
	v_mul_lo_u32 v0, v6, s12
	s_delay_alu instid0(VALU_DEP_1) | instskip(NEXT) | instid1(VALU_DEP_1)
	v_sub_nc_u32_e32 v1, v4, v0
	v_mul_lo_u32 v0, v1, s9
	v_mul_lo_u32 v2, v1, s8
	s_cbranch_vccnz .LBB9_17
; %bb.16:
	v_mov_b32_e32 v7, v5
	s_delay_alu instid0(VALU_DEP_1) | instskip(NEXT) | instid1(VALU_DEP_1)
	v_mul_u64_e32 v[8:9], s[18:19], v[6:7]
	v_add_nc_u32_e32 v1, v6, v9
	s_delay_alu instid0(VALU_DEP_1) | instskip(NEXT) | instid1(VALU_DEP_1)
	v_lshrrev_b32_e32 v1, s1, v1
	v_mul_lo_u32 v1, v1, s15
	s_delay_alu instid0(VALU_DEP_1) | instskip(NEXT) | instid1(VALU_DEP_1)
	v_sub_nc_u32_e32 v1, v6, v1
	v_mad_u32 v2, v1, s10, v2
	v_mad_u32 v0, v1, s11, v0
.LBB9_17:
	v_mov_b32_e32 v1, 0
	s_and_b32 s0, 0xffff, s13
	s_delay_alu instid0(SALU_CYCLE_1) | instskip(NEXT) | instid1(VALU_DEP_1)
	s_cmp_lt_i32 s0, 11
	v_add_nc_u64_e32 v[0:1], s[6:7], v[0:1]
	s_cbranch_scc1 .LBB9_24
; %bb.18:
	s_cmp_gt_i32 s0, 25
	s_cbranch_scc0 .LBB9_37
; %bb.19:
	s_cmp_gt_i32 s0, 28
	s_cbranch_scc0 .LBB9_40
	;; [unrolled: 3-line block ×4, first 2 shown]
; %bb.22:
	s_cmp_eq_u32 s0, 46
	s_mov_b32 s24, 0
	s_cbranch_scc0 .LBB9_46
; %bb.23:
	global_load_b32 v3, v[0:1], off
	s_mov_b32 s23, -1
	s_mov_b32 s22, 0
	s_wait_loadcnt 0x0
	v_lshlrev_b32_e32 v3, 16, v3
	s_delay_alu instid0(VALU_DEP_1)
	v_cvt_f64_f32_e32 v[6:7], v3
	s_branch .LBB9_48
.LBB9_24:
	s_mov_b32 s22, 0
	s_mov_b32 s23, 0
                                        ; implicit-def: $vgpr6_vgpr7
	s_cbranch_execnz .LBB9_221
.LBB9_25:
	s_and_not1_b32 vcc_lo, exec_lo, s23
	s_cbranch_vccnz .LBB9_268
.LBB9_26:
	s_wait_loadcnt 0x0
	s_delay_alu instid0(VALU_DEP_1) | instskip(SKIP_1) | instid1(SALU_CYCLE_1)
	v_cmp_ge_f64_e64 s0, 0x40200000, |v[6:7]|
                                        ; implicit-def: $vgpr0_vgpr1
	s_and_saveexec_b32 s23, s0
	s_xor_b32 s0, exec_lo, s23
	s_cbranch_execz .LBB9_28
; %bb.27:
	v_fma_f64 v[0:1], |v[6:7]|, 0.5, -2.0
	s_mov_b64 s[24:25], 0xbc545cb72134d0ef
	s_delay_alu instid0(VALU_DEP_1) | instid1(SALU_CYCLE_1)
	v_fmaak_f64 v[8:9], s[24:25], v[0:1], 0x3c833362977da589
	s_mov_b64 s[24:25], 0x3ff71547652b82fe
	s_delay_alu instid0(SALU_CYCLE_1) | instskip(SKIP_1) | instid1(VALU_DEP_2)
	v_mul_f64_e64 v[12:13], |v[6:7]|, s[24:25]
	s_mov_b64 s[24:25], 0xbfe62e42fefa39ef
	v_fmaak_f64 v[10:11], v[0:1], v[8:9], 0x3c545cb72134d0ef
	s_delay_alu instid0(VALU_DEP_1) | instskip(NEXT) | instid1(VALU_DEP_3)
	v_add_f64_e32 v[10:11], 0xbcb184eb721ebbb4, v[10:11]
	v_rndne_f64_e32 v[12:13], v[12:13]
	s_delay_alu instid0(VALU_DEP_2) | instskip(NEXT) | instid1(VALU_DEP_2)
	v_fma_f64 v[8:9], v[0:1], v[10:11], -v[8:9]
	v_fma_f64 v[6:7], v[12:13], s[24:25], |v[6:7]|
	s_mov_b64 s[24:25], 0x3e5ade156a5dcb37
	v_cvt_i32_f64_e32 v3, v[12:13]
	s_delay_alu instid0(VALU_DEP_3) | instskip(NEXT) | instid1(VALU_DEP_3)
	v_add_f64_e32 v[8:9], 0x3cdee6d893f65eba, v[8:9]
	v_fmamk_f64 v[6:7], v[12:13], 0xbc7abc9e3b39803f, v[6:7]
	s_delay_alu instid0(VALU_DEP_1) | instskip(NEXT) | instid1(VALU_DEP_3)
	v_fmaak_f64 v[14:15], s[24:25], v[6:7], 0x3e928af3fca7ab0c
	v_fma_f64 v[10:11], v[0:1], v[8:9], -v[10:11]
	s_delay_alu instid0(VALU_DEP_2) | instskip(NEXT) | instid1(VALU_DEP_1)
	v_fmaak_f64 v[14:15], v[6:7], v[14:15], 0x3ec71dee623fde64
	v_fmaak_f64 v[14:15], v[6:7], v[14:15], 0x3efa01997c89e6b0
	s_delay_alu instid0(VALU_DEP_1) | instskip(NEXT) | instid1(VALU_DEP_1)
	v_fmaak_f64 v[14:15], v[6:7], v[14:15], 0x3f2a01a014761f6e
	v_fmaak_f64 v[14:15], v[6:7], v[14:15], 0x3f56c16c1852b7b0
	v_add_f64_e32 v[10:11], 0xbd0a5022c297fbeb, v[10:11]
	s_delay_alu instid0(VALU_DEP_1) | instskip(NEXT) | instid1(VALU_DEP_1)
	v_fma_f64 v[8:9], v[0:1], v[10:11], -v[8:9]
	v_add_f64_e32 v[8:9], 0x3d359b464b262627, v[8:9]
	s_delay_alu instid0(VALU_DEP_1) | instskip(NEXT) | instid1(VALU_DEP_1)
	v_fma_f64 v[10:11], v[0:1], v[8:9], -v[10:11]
	;; [unrolled: 3-line block ×24, first 2 shown]
	v_add_f64_e32 v[10:11], 0xbfd37febc057cd8d, v[10:11]
	s_delay_alu instid0(VALU_DEP_1) | instskip(SKIP_1) | instid1(VALU_DEP_1)
	v_fma_f64 v[0:1], v[0:1], v[10:11], -v[8:9]
	v_fmaak_f64 v[10:11], v[6:7], v[14:15], 0x3f81111111122322
	v_fmaak_f64 v[10:11], v[6:7], v[10:11], 0x3fa55555555502a1
	s_delay_alu instid0(VALU_DEP_1) | instskip(NEXT) | instid1(VALU_DEP_1)
	v_fmaak_f64 v[10:11], v[6:7], v[10:11], 0x3fc5555555555511
	v_fmaak_f64 v[10:11], v[6:7], v[10:11], 0x3fe000000000000b
	s_delay_alu instid0(VALU_DEP_1) | instskip(SKIP_1) | instid1(VALU_DEP_2)
	v_fma_f64 v[10:11], v[6:7], v[10:11], 1.0
	v_add_f64_e32 v[0:1], 0x3fe5a84e9035a22a, v[0:1]
	v_fma_f64 v[6:7], v[6:7], v[10:11], 1.0
	s_delay_alu instid0(VALU_DEP_2) | instskip(NEXT) | instid1(VALU_DEP_2)
	v_add_f64_e64 v[0:1], v[0:1], -v[8:9]
	v_ldexp_f64 v[6:7], v[6:7], v3
	s_delay_alu instid0(VALU_DEP_2) | instskip(NEXT) | instid1(VALU_DEP_1)
	v_mul_f64_e32 v[0:1], 0.5, v[0:1]
	v_mul_f64_e32 v[0:1], v[6:7], v[0:1]
                                        ; implicit-def: $vgpr6_vgpr7
.LBB9_28:
	s_and_not1_saveexec_b32 s0, s0
	s_cbranch_execz .LBB9_30
; %bb.29:
	v_and_b32_e32 v1, 0x7fffffff, v7
	v_mov_b32_e32 v0, v6
	s_mov_b64 s[24:25], 0xbc60adb754ca8b19
	v_cmp_gt_f64_e64 s23, 0x10000000, |v[6:7]|
	s_delay_alu instid0(VALU_DEP_2) | instskip(SKIP_1) | instid1(VALU_DEP_3)
	v_div_scale_f64 v[8:9], null, v[0:1], v[0:1], 0x40400000
	v_div_scale_f64 v[0:1], vcc_lo, 0x40400000, v[0:1], 0x40400000
	v_cndmask_b32_e64 v3, 0, 0x100, s23
	s_delay_alu instid0(VALU_DEP_3) | instskip(SKIP_1) | instid1(TRANS32_DEP_1)
	v_rcp_f64_e32 v[10:11], v[8:9]
	v_nop
	v_fma_f64 v[12:13], -v[8:9], v[10:11], 1.0
	s_delay_alu instid0(VALU_DEP_1) | instskip(NEXT) | instid1(VALU_DEP_1)
	v_fmac_f64_e32 v[10:11], v[10:11], v[12:13]
	v_fma_f64 v[12:13], -v[8:9], v[10:11], 1.0
	s_delay_alu instid0(VALU_DEP_1) | instskip(NEXT) | instid1(VALU_DEP_1)
	v_fmac_f64_e32 v[10:11], v[10:11], v[12:13]
	v_mul_f64_e32 v[12:13], v[0:1], v[10:11]
	s_delay_alu instid0(VALU_DEP_1) | instskip(NEXT) | instid1(VALU_DEP_1)
	v_fma_f64 v[0:1], -v[8:9], v[12:13], v[0:1]
	v_div_fmas_f64 v[0:1], v[0:1], v[10:11], v[12:13]
	v_ldexp_f64 v[12:13], |v[6:7]|, v3
	v_cmp_nlt_f64_e64 vcc_lo, 0x40900000, |v[6:7]|
	s_delay_alu instid0(VALU_DEP_3) | instskip(NEXT) | instid1(VALU_DEP_3)
	v_div_fixup_f64 v[0:1], v[0:1], |v[6:7]|, 0x40400000
	v_rsq_f64_e32 v[16:17], v[12:13]
	s_delay_alu instid0(VALU_DEP_1) | instskip(NEXT) | instid1(TRANS32_DEP_1)
	v_add_f64_e32 v[0:1], -2.0, v[0:1]
	v_mul_f64_e32 v[18:19], v[12:13], v[16:17]
	v_mul_f64_e32 v[16:17], 0.5, v[16:17]
	s_delay_alu instid0(VALU_DEP_3) | instskip(SKIP_1) | instid1(SALU_CYCLE_1)
	v_fmaak_f64 v[8:9], s[24:25], v[0:1], 0xbc5646da66119130
	s_mov_b64 s[24:25], 0x3ff71547652b82fe
	v_mul_f64_e64 v[14:15], |v[6:7]|, s[24:25]
	s_mov_b64 s[24:25], 0xbfe62e42fefa39ef
	s_delay_alu instid0(VALU_DEP_2) | instskip(NEXT) | instid1(VALU_DEP_4)
	v_fmaak_f64 v[10:11], v[0:1], v[8:9], 0x3c60adb754ca8b19
	v_fma_f64 v[22:23], -v[16:17], v[18:19], 0.5
	s_delay_alu instid0(VALU_DEP_2) | instskip(NEXT) | instid1(VALU_DEP_4)
	v_add_f64_e32 v[10:11], 0x3c89be1812d98421, v[10:11]
	v_rndne_f64_e32 v[14:15], v[14:15]
	s_delay_alu instid0(VALU_DEP_3) | instskip(SKIP_1) | instid1(VALU_DEP_4)
	v_fmac_f64_e32 v[18:19], v[18:19], v[22:23]
	v_fmac_f64_e32 v[16:17], v[16:17], v[22:23]
	v_fma_f64 v[8:9], v[0:1], v[10:11], -v[8:9]
	s_delay_alu instid0(VALU_DEP_4) | instskip(SKIP_2) | instid1(VALU_DEP_3)
	v_fma_f64 v[20:21], v[14:15], s[24:25], |v[6:7]|
	s_mov_b64 s[24:25], 0x3e5ade156a5dcb37
	v_cvt_i32_f64_e32 v3, v[14:15]
	v_add_f64_e32 v[8:9], 0x3c83f3dd076041cd, v[8:9]
	s_delay_alu instid0(VALU_DEP_3) | instskip(NEXT) | instid1(VALU_DEP_1)
	v_fmamk_f64 v[20:21], v[14:15], 0xbc7abc9e3b39803f, v[20:21]
	v_fmaak_f64 v[24:25], s[24:25], v[20:21], 0x3e928af3fca7ab0c
	s_delay_alu instid0(VALU_DEP_3) | instskip(NEXT) | instid1(VALU_DEP_2)
	v_fma_f64 v[10:11], v[0:1], v[8:9], -v[10:11]
	v_fmaak_f64 v[24:25], v[20:21], v[24:25], 0x3ec71dee623fde64
	s_delay_alu instid0(VALU_DEP_1) | instskip(NEXT) | instid1(VALU_DEP_1)
	v_fmaak_f64 v[24:25], v[20:21], v[24:25], 0x3efa01997c89e6b0
	v_fmaak_f64 v[24:25], v[20:21], v[24:25], 0x3f2a01a014761f6e
	s_delay_alu instid0(VALU_DEP_1) | instskip(NEXT) | instid1(VALU_DEP_1)
	v_fmaak_f64 v[24:25], v[20:21], v[24:25], 0x3f56c16c1852b7b0
	v_fmaak_f64 v[24:25], v[20:21], v[24:25], 0x3f81111111122322
	v_add_f64_e32 v[10:11], 0xbcb4600babd21fe4, v[10:11]
	s_delay_alu instid0(VALU_DEP_1) | instskip(NEXT) | instid1(VALU_DEP_1)
	v_fma_f64 v[8:9], v[0:1], v[10:11], -v[8:9]
	v_add_f64_e32 v[8:9], 0xbcb8aee7d908de38, v[8:9]
	s_delay_alu instid0(VALU_DEP_1) | instskip(NEXT) | instid1(VALU_DEP_1)
	v_fma_f64 v[10:11], v[0:1], v[8:9], -v[10:11]
	;; [unrolled: 3-line block ×19, first 2 shown]
	v_add_f64_e32 v[8:9], 0x3f6b998ca2e59049, v[8:9]
	s_delay_alu instid0(VALU_DEP_1) | instskip(SKIP_1) | instid1(VALU_DEP_1)
	v_fma_f64 v[0:1], v[0:1], v[8:9], -v[10:11]
	v_fmaak_f64 v[8:9], v[20:21], v[24:25], 0x3fa55555555502a1
	v_fmaak_f64 v[8:9], v[20:21], v[8:9], 0x3fc5555555555511
	s_delay_alu instid0(VALU_DEP_1) | instskip(NEXT) | instid1(VALU_DEP_1)
	v_fmaak_f64 v[8:9], v[20:21], v[8:9], 0x3fe000000000000b
	v_fma_f64 v[8:9], v[20:21], v[8:9], 1.0
	v_add_f64_e32 v[0:1], 0x3fe9be62aca809cb, v[0:1]
	s_delay_alu instid0(VALU_DEP_2) | instskip(NEXT) | instid1(VALU_DEP_2)
	v_fma_f64 v[8:9], v[20:21], v[8:9], 1.0
	v_add_f64_e64 v[0:1], v[0:1], -v[10:11]
	s_delay_alu instid0(VALU_DEP_2) | instskip(SKIP_1) | instid1(VALU_DEP_3)
	v_ldexp_f64 v[8:9], v[8:9], v3
	v_cndmask_b32_e64 v3, 0, 0xffffff80, s23
	v_mul_f64_e32 v[0:1], 0.5, v[0:1]
	s_delay_alu instid0(VALU_DEP_3) | instskip(NEXT) | instid1(VALU_DEP_4)
	v_cndmask_b32_e32 v7, 0x7ff00000, v9, vcc_lo
	v_cndmask_b32_e32 v6, 0, v8, vcc_lo
	v_cmp_class_f64_e64 vcc_lo, v[12:13], 0x260
	v_fma_f64 v[22:23], -v[18:19], v[18:19], v[12:13]
	s_delay_alu instid0(VALU_DEP_3) | instskip(NEXT) | instid1(VALU_DEP_2)
	v_mul_f64_e32 v[0:1], v[6:7], v[0:1]
	v_fmac_f64_e32 v[18:19], v[22:23], v[16:17]
	s_delay_alu instid0(VALU_DEP_1) | instskip(NEXT) | instid1(VALU_DEP_1)
	v_fma_f64 v[14:15], -v[18:19], v[18:19], v[12:13]
	v_fmac_f64_e32 v[18:19], v[14:15], v[16:17]
	s_delay_alu instid0(VALU_DEP_1) | instskip(NEXT) | instid1(VALU_DEP_1)
	v_ldexp_f64 v[8:9], v[18:19], v3
	v_dual_cndmask_b32 v7, v9, v13 :: v_dual_cndmask_b32 v6, v8, v12
	s_delay_alu instid0(VALU_DEP_1) | instskip(NEXT) | instid1(VALU_DEP_1)
	v_div_scale_f64 v[8:9], null, v[6:7], v[6:7], v[0:1]
	v_rcp_f64_e32 v[10:11], v[8:9]
	v_nop
	s_delay_alu instid0(TRANS32_DEP_1) | instskip(NEXT) | instid1(VALU_DEP_1)
	v_fma_f64 v[12:13], -v[8:9], v[10:11], 1.0
	v_fmac_f64_e32 v[10:11], v[10:11], v[12:13]
	s_delay_alu instid0(VALU_DEP_1) | instskip(NEXT) | instid1(VALU_DEP_1)
	v_fma_f64 v[12:13], -v[8:9], v[10:11], 1.0
	v_fmac_f64_e32 v[10:11], v[10:11], v[12:13]
	v_div_scale_f64 v[12:13], vcc_lo, v[0:1], v[6:7], v[0:1]
	s_delay_alu instid0(VALU_DEP_1) | instskip(NEXT) | instid1(VALU_DEP_1)
	v_mul_f64_e32 v[14:15], v[12:13], v[10:11]
	v_fma_f64 v[8:9], -v[8:9], v[14:15], v[12:13]
	s_delay_alu instid0(VALU_DEP_1) | instskip(NEXT) | instid1(VALU_DEP_1)
	v_div_fmas_f64 v[8:9], v[8:9], v[10:11], v[14:15]
	v_div_fixup_f64 v[0:1], v[8:9], v[6:7], v[0:1]
.LBB9_30:
	s_or_b32 exec_lo, exec_lo, s0
	v_mov_b32_e32 v3, 0
	s_and_b32 s23, s34, 0xff
	s_delay_alu instid0(SALU_CYCLE_1) | instskip(NEXT) | instid1(VALU_DEP_1)
	s_cmp_lt_i32 s23, 11
	v_add_nc_u64_e32 v[6:7], s[4:5], v[2:3]
	s_cbranch_scc1 .LBB9_38
; %bb.31:
	s_and_b32 s24, 0xffff, s23
	s_delay_alu instid0(SALU_CYCLE_1)
	s_cmp_gt_i32 s24, 25
	s_cbranch_scc0 .LBB9_41
; %bb.32:
	s_cmp_gt_i32 s24, 28
	s_cbranch_scc0 .LBB9_43
; %bb.33:
	;; [unrolled: 3-line block ×4, first 2 shown]
	s_mov_b32 s26, 0
	s_mov_b32 s0, -1
	s_cmp_eq_u32 s24, 46
	s_mov_b32 s25, 0
	s_cbranch_scc0 .LBB9_52
; %bb.36:
	s_delay_alu instid0(VALU_DEP_3) | instskip(SKIP_2) | instid1(VALU_DEP_1)
	v_cvt_f32_f64_e32 v2, v[0:1]
	s_mov_b32 s25, -1
	s_mov_b32 s0, 0
	v_bfe_u32 v3, v2, 16, 1
	v_cmp_o_f32_e32 vcc_lo, v2, v2
	s_delay_alu instid0(VALU_DEP_2) | instskip(NEXT) | instid1(VALU_DEP_1)
	v_add3_u32 v3, v2, v3, 0x7fff
	v_lshrrev_b32_e32 v3, 16, v3
	s_delay_alu instid0(VALU_DEP_1)
	v_cndmask_b32_e32 v2, 0x7fc0, v3, vcc_lo
	global_store_b32 v[6:7], v2, off
	s_branch .LBB9_52
.LBB9_37:
	s_mov_b32 s22, 0
	s_mov_b32 s23, 0
                                        ; implicit-def: $vgpr6_vgpr7
	s_cbranch_execnz .LBB9_186
	s_branch .LBB9_220
.LBB9_38:
	s_mov_b32 s0, 0
	s_mov_b32 s25, 0
	s_cbranch_execnz .LBB9_121
.LBB9_39:
	s_and_not1_b32 vcc_lo, exec_lo, s25
	s_cbranch_vccz .LBB9_159
	s_branch .LBB9_269
.LBB9_40:
	s_mov_b32 s24, -1
	s_mov_b32 s22, 0
	s_mov_b32 s23, 0
                                        ; implicit-def: $vgpr6_vgpr7
	s_branch .LBB9_167
.LBB9_41:
	s_mov_b32 s26, -1
	s_mov_b32 s0, 0
	s_mov_b32 s25, 0
	s_branch .LBB9_79
.LBB9_42:
	s_mov_b32 s24, -1
	s_mov_b32 s22, 0
	s_mov_b32 s23, 0
                                        ; implicit-def: $vgpr6_vgpr7
	s_branch .LBB9_162
.LBB9_43:
	s_mov_b32 s26, -1
	s_mov_b32 s0, 0
	s_mov_b32 s25, 0
	s_branch .LBB9_62
.LBB9_44:
	s_mov_b32 s24, -1
	s_mov_b32 s22, 0
	s_branch .LBB9_47
.LBB9_45:
	s_mov_b32 s26, -1
	s_mov_b32 s0, 0
	s_mov_b32 s25, 0
	s_branch .LBB9_58
.LBB9_46:
	s_mov_b32 s22, -1
.LBB9_47:
	s_mov_b32 s23, 0
                                        ; implicit-def: $vgpr6_vgpr7
.LBB9_48:
	s_and_b32 vcc_lo, exec_lo, s24
	s_cbranch_vccz .LBB9_161
; %bb.49:
	s_cmp_eq_u32 s0, 44
	s_cbranch_scc0 .LBB9_160
; %bb.50:
	global_load_u8 v3, v[0:1], off
	s_mov_b32 s22, 0
	s_mov_b32 s23, -1
	s_wait_loadcnt 0x0
	v_lshlrev_b32_e32 v5, 23, v3
	v_cmp_ne_u32_e32 vcc_lo, 0xff, v3
	s_delay_alu instid0(VALU_DEP_2) | instskip(NEXT) | instid1(VALU_DEP_1)
	v_cvt_f64_f32_e32 v[6:7], v5
	v_cndmask_b32_e32 v5, 0x20000000, v6, vcc_lo
	s_delay_alu instid0(VALU_DEP_2) | instskip(SKIP_1) | instid1(VALU_DEP_2)
	v_cndmask_b32_e32 v6, 0x7ff80000, v7, vcc_lo
	v_cmp_ne_u32_e32 vcc_lo, 0, v3
	v_cndmask_b32_e32 v7, 0x38000000, v6, vcc_lo
	s_delay_alu instid0(VALU_DEP_4)
	v_cndmask_b32_e32 v6, 0, v5, vcc_lo
	s_branch .LBB9_161
.LBB9_51:
	s_mov_b32 s26, -1
	s_mov_b32 s0, 0
	s_mov_b32 s25, 0
.LBB9_52:
	s_and_b32 vcc_lo, exec_lo, s26
	s_cbranch_vccz .LBB9_57
; %bb.53:
	s_cmp_eq_u32 s24, 44
	s_mov_b32 s0, -1
	s_cbranch_scc0 .LBB9_57
; %bb.54:
	s_wait_xcnt 0x0
	s_delay_alu instid0(VALU_DEP_3) | instskip(SKIP_2) | instid1(VALU_DEP_2)
	v_cvt_f32_f64_e32 v2, v[0:1]
	v_mov_b32_e32 v3, 0xff
	s_mov_b32 s25, exec_lo
	v_bfe_u32 v5, v2, 23, 8
	s_delay_alu instid0(VALU_DEP_1)
	v_cmpx_ne_u32_e32 0xff, v5
	s_cbranch_execz .LBB9_56
; %bb.55:
	v_and_b32_e32 v3, 0x400000, v2
	v_and_or_b32 v5, 0x3fffff, v2, v5
	v_lshrrev_b32_e32 v2, 23, v2
	s_delay_alu instid0(VALU_DEP_3) | instskip(NEXT) | instid1(VALU_DEP_3)
	v_cmp_ne_u32_e32 vcc_lo, 0, v3
	v_cmp_ne_u32_e64 s0, 0, v5
	s_and_b32 s0, vcc_lo, s0
	s_delay_alu instid0(SALU_CYCLE_1) | instskip(NEXT) | instid1(VALU_DEP_1)
	v_cndmask_b32_e64 v3, 0, 1, s0
	v_add_nc_u32_e32 v3, v2, v3
.LBB9_56:
	s_or_b32 exec_lo, exec_lo, s25
	s_mov_b32 s25, -1
	s_mov_b32 s0, 0
	global_store_b8 v[6:7], v3, off
.LBB9_57:
	s_mov_b32 s26, 0
.LBB9_58:
	s_delay_alu instid0(SALU_CYCLE_1)
	s_and_b32 vcc_lo, exec_lo, s26
	s_cbranch_vccz .LBB9_61
; %bb.59:
	s_cmp_eq_u32 s24, 29
	s_mov_b32 s0, -1
	s_cbranch_scc0 .LBB9_61
; %bb.60:
	s_wait_xcnt 0x0
	s_delay_alu instid0(VALU_DEP_3) | instskip(SKIP_3) | instid1(VALU_DEP_1)
	v_trunc_f64_e32 v[2:3], v[0:1]
	s_mov_b32 s25, -1
	s_mov_b32 s0, 0
	s_mov_b32 s26, 0
	v_ldexp_f64 v[8:9], v[2:3], 0xffffffe0
	s_delay_alu instid0(VALU_DEP_1) | instskip(NEXT) | instid1(VALU_DEP_1)
	v_floor_f64_e32 v[8:9], v[8:9]
	v_fmamk_f64 v[2:3], v[8:9], 0xc1f00000, v[2:3]
	v_cvt_u32_f64_e32 v9, v[8:9]
	s_delay_alu instid0(VALU_DEP_2)
	v_cvt_u32_f64_e32 v8, v[2:3]
	global_store_b64 v[6:7], v[8:9], off
	s_branch .LBB9_62
.LBB9_61:
	s_mov_b32 s26, 0
.LBB9_62:
	s_delay_alu instid0(SALU_CYCLE_1)
	s_and_b32 vcc_lo, exec_lo, s26
	s_cbranch_vccz .LBB9_78
; %bb.63:
	s_cmp_lt_i32 s24, 27
	s_mov_b32 s25, -1
	s_cbranch_scc1 .LBB9_69
; %bb.64:
	s_wait_xcnt 0x0
	s_delay_alu instid0(VALU_DEP_3)
	v_cvt_u32_f64_e32 v2, v[0:1]
	s_cmp_gt_i32 s24, 27
	s_cbranch_scc0 .LBB9_66
; %bb.65:
	s_mov_b32 s25, 0
	global_store_b32 v[6:7], v2, off
.LBB9_66:
	s_and_not1_b32 vcc_lo, exec_lo, s25
	s_cbranch_vccnz .LBB9_68
; %bb.67:
	global_store_b16 v[6:7], v2, off
.LBB9_68:
	s_mov_b32 s25, 0
.LBB9_69:
	s_delay_alu instid0(SALU_CYCLE_1)
	s_and_not1_b32 vcc_lo, exec_lo, s25
	s_cbranch_vccnz .LBB9_77
; %bb.70:
	s_wait_xcnt 0x0
	s_delay_alu instid0(VALU_DEP_3) | instskip(SKIP_2) | instid1(VALU_DEP_2)
	v_cvt_f32_f64_e32 v2, v[0:1]
	v_mov_b32_e32 v5, 0x80
	s_mov_b32 s25, exec_lo
	v_and_b32_e32 v3, 0x7fffffff, v2
	s_delay_alu instid0(VALU_DEP_1)
	v_cmpx_gt_u32_e32 0x43800000, v3
	s_cbranch_execz .LBB9_76
; %bb.71:
	v_cmp_lt_u32_e32 vcc_lo, 0x3bffffff, v3
	s_mov_b32 s26, 0
                                        ; implicit-def: $vgpr3
	s_and_saveexec_b32 s27, vcc_lo
	s_delay_alu instid0(SALU_CYCLE_1)
	s_xor_b32 s27, exec_lo, s27
	s_cbranch_execz .LBB9_318
; %bb.72:
	v_bfe_u32 v3, v2, 20, 1
	s_mov_b32 s26, exec_lo
	s_delay_alu instid0(VALU_DEP_1) | instskip(NEXT) | instid1(VALU_DEP_1)
	v_add3_u32 v3, v2, v3, 0x487ffff
	v_lshrrev_b32_e32 v3, 20, v3
	s_and_not1_saveexec_b32 s27, s27
	s_cbranch_execnz .LBB9_319
.LBB9_73:
	s_or_b32 exec_lo, exec_lo, s27
	v_mov_b32_e32 v5, 0
	s_and_saveexec_b32 s27, s26
.LBB9_74:
	v_lshrrev_b32_e32 v2, 24, v2
	s_delay_alu instid0(VALU_DEP_1)
	v_and_or_b32 v5, 0x80, v2, v3
.LBB9_75:
	s_or_b32 exec_lo, exec_lo, s27
.LBB9_76:
	s_delay_alu instid0(SALU_CYCLE_1)
	s_or_b32 exec_lo, exec_lo, s25
	global_store_b8 v[6:7], v5, off
.LBB9_77:
	s_mov_b32 s25, -1
.LBB9_78:
	s_mov_b32 s26, 0
.LBB9_79:
	s_delay_alu instid0(SALU_CYCLE_1)
	s_and_b32 vcc_lo, exec_lo, s26
	s_cbranch_vccz .LBB9_120
; %bb.80:
	s_cmp_gt_i32 s24, 22
	s_mov_b32 s26, -1
	s_cbranch_scc0 .LBB9_112
; %bb.81:
	s_cmp_lt_i32 s24, 24
	s_mov_b32 s25, -1
	s_cbranch_scc1 .LBB9_101
; %bb.82:
	s_cmp_gt_i32 s24, 24
	s_cbranch_scc0 .LBB9_90
; %bb.83:
	s_wait_xcnt 0x0
	s_delay_alu instid0(VALU_DEP_3) | instskip(SKIP_2) | instid1(VALU_DEP_2)
	v_cvt_f32_f64_e32 v2, v[0:1]
	v_mov_b32_e32 v5, 0x80
	s_mov_b32 s25, exec_lo
	v_and_b32_e32 v3, 0x7fffffff, v2
	s_delay_alu instid0(VALU_DEP_1)
	v_cmpx_gt_u32_e32 0x47800000, v3
	s_cbranch_execz .LBB9_89
; %bb.84:
	v_cmp_lt_u32_e32 vcc_lo, 0x37ffffff, v3
	s_mov_b32 s26, 0
                                        ; implicit-def: $vgpr3
	s_and_saveexec_b32 s27, vcc_lo
	s_delay_alu instid0(SALU_CYCLE_1)
	s_xor_b32 s27, exec_lo, s27
	s_cbranch_execz .LBB9_322
; %bb.85:
	v_bfe_u32 v3, v2, 21, 1
	s_mov_b32 s26, exec_lo
	s_delay_alu instid0(VALU_DEP_1) | instskip(NEXT) | instid1(VALU_DEP_1)
	v_add3_u32 v3, v2, v3, 0x88fffff
	v_lshrrev_b32_e32 v3, 21, v3
	s_and_not1_saveexec_b32 s27, s27
	s_cbranch_execnz .LBB9_323
.LBB9_86:
	s_or_b32 exec_lo, exec_lo, s27
	v_mov_b32_e32 v5, 0
	s_and_saveexec_b32 s27, s26
.LBB9_87:
	v_lshrrev_b32_e32 v2, 24, v2
	s_delay_alu instid0(VALU_DEP_1)
	v_and_or_b32 v5, 0x80, v2, v3
.LBB9_88:
	s_or_b32 exec_lo, exec_lo, s27
.LBB9_89:
	s_delay_alu instid0(SALU_CYCLE_1)
	s_or_b32 exec_lo, exec_lo, s25
	s_mov_b32 s25, 0
	global_store_b8 v[6:7], v5, off
.LBB9_90:
	s_and_b32 vcc_lo, exec_lo, s25
	s_cbranch_vccz .LBB9_100
; %bb.91:
	s_wait_xcnt 0x0
	s_delay_alu instid0(VALU_DEP_3) | instskip(SKIP_1) | instid1(VALU_DEP_1)
	v_cvt_f32_f64_e32 v2, v[0:1]
	s_mov_b32 s25, exec_lo
                                        ; implicit-def: $vgpr3
	v_and_b32_e32 v5, 0x7fffffff, v2
	s_delay_alu instid0(VALU_DEP_1)
	v_cmpx_gt_u32_e32 0x43f00000, v5
	s_xor_b32 s25, exec_lo, s25
	s_cbranch_execz .LBB9_97
; %bb.92:
	s_mov_b32 s26, exec_lo
                                        ; implicit-def: $vgpr3
	v_cmpx_lt_u32_e32 0x3c7fffff, v5
	s_xor_b32 s26, exec_lo, s26
; %bb.93:
	v_bfe_u32 v3, v2, 20, 1
	s_delay_alu instid0(VALU_DEP_1) | instskip(NEXT) | instid1(VALU_DEP_1)
	v_add3_u32 v3, v2, v3, 0x407ffff
	v_and_b32_e32 v5, 0xff00000, v3
	v_lshrrev_b32_e32 v3, 20, v3
	s_delay_alu instid0(VALU_DEP_2) | instskip(NEXT) | instid1(VALU_DEP_2)
	v_cmp_ne_u32_e32 vcc_lo, 0x7f00000, v5
	v_cndmask_b32_e32 v3, 0x7e, v3, vcc_lo
; %bb.94:
	s_and_not1_saveexec_b32 s26, s26
; %bb.95:
	v_add_f32_e64 v3, 0x46800000, |v2|
; %bb.96:
	s_or_b32 exec_lo, exec_lo, s26
                                        ; implicit-def: $vgpr5
.LBB9_97:
	s_and_not1_saveexec_b32 s25, s25
; %bb.98:
	v_mov_b32_e32 v3, 0x7f
	v_cmp_lt_u32_e32 vcc_lo, 0x7f800000, v5
	s_delay_alu instid0(VALU_DEP_2)
	v_cndmask_b32_e32 v3, 0x7e, v3, vcc_lo
; %bb.99:
	s_or_b32 exec_lo, exec_lo, s25
	v_lshrrev_b32_e32 v2, 24, v2
	s_delay_alu instid0(VALU_DEP_1)
	v_and_or_b32 v2, 0x80, v2, v3
	global_store_b8 v[6:7], v2, off
.LBB9_100:
	s_mov_b32 s25, 0
.LBB9_101:
	s_delay_alu instid0(SALU_CYCLE_1)
	s_and_not1_b32 vcc_lo, exec_lo, s25
	s_cbranch_vccnz .LBB9_111
; %bb.102:
	s_wait_xcnt 0x0
	s_delay_alu instid0(VALU_DEP_3) | instskip(SKIP_1) | instid1(VALU_DEP_1)
	v_cvt_f32_f64_e32 v2, v[0:1]
	s_mov_b32 s25, exec_lo
                                        ; implicit-def: $vgpr3
	v_and_b32_e32 v5, 0x7fffffff, v2
	s_delay_alu instid0(VALU_DEP_1)
	v_cmpx_gt_u32_e32 0x47800000, v5
	s_xor_b32 s25, exec_lo, s25
	s_cbranch_execz .LBB9_108
; %bb.103:
	s_mov_b32 s26, exec_lo
                                        ; implicit-def: $vgpr3
	v_cmpx_lt_u32_e32 0x387fffff, v5
	s_xor_b32 s26, exec_lo, s26
; %bb.104:
	v_bfe_u32 v3, v2, 21, 1
	s_delay_alu instid0(VALU_DEP_1) | instskip(NEXT) | instid1(VALU_DEP_1)
	v_add3_u32 v3, v2, v3, 0x80fffff
	v_lshrrev_b32_e32 v3, 21, v3
; %bb.105:
	s_and_not1_saveexec_b32 s26, s26
; %bb.106:
	v_add_f32_e64 v3, 0x43000000, |v2|
; %bb.107:
	s_or_b32 exec_lo, exec_lo, s26
                                        ; implicit-def: $vgpr5
.LBB9_108:
	s_and_not1_saveexec_b32 s25, s25
; %bb.109:
	v_mov_b32_e32 v3, 0x7f
	v_cmp_lt_u32_e32 vcc_lo, 0x7f800000, v5
	s_delay_alu instid0(VALU_DEP_2)
	v_cndmask_b32_e32 v3, 0x7c, v3, vcc_lo
; %bb.110:
	s_or_b32 exec_lo, exec_lo, s25
	v_lshrrev_b32_e32 v2, 24, v2
	s_delay_alu instid0(VALU_DEP_1)
	v_and_or_b32 v2, 0x80, v2, v3
	global_store_b8 v[6:7], v2, off
.LBB9_111:
	s_mov_b32 s26, 0
	s_mov_b32 s25, -1
.LBB9_112:
	s_and_not1_b32 vcc_lo, exec_lo, s26
	s_cbranch_vccnz .LBB9_120
; %bb.113:
	s_cmp_gt_i32 s24, 14
	s_mov_b32 s26, -1
	s_cbranch_scc0 .LBB9_117
; %bb.114:
	s_cmp_eq_u32 s24, 15
	s_mov_b32 s0, -1
	s_cbranch_scc0 .LBB9_116
; %bb.115:
	s_wait_xcnt 0x0
	s_delay_alu instid0(VALU_DEP_3) | instskip(SKIP_2) | instid1(VALU_DEP_1)
	v_cvt_f32_f64_e32 v2, v[0:1]
	s_mov_b32 s25, -1
	s_mov_b32 s0, 0
	v_bfe_u32 v3, v2, 16, 1
	v_cmp_o_f32_e32 vcc_lo, v2, v2
	s_delay_alu instid0(VALU_DEP_2) | instskip(NEXT) | instid1(VALU_DEP_1)
	v_add3_u32 v3, v2, v3, 0x7fff
	v_lshrrev_b32_e32 v3, 16, v3
	s_delay_alu instid0(VALU_DEP_1)
	v_cndmask_b32_e32 v2, 0x7fc0, v3, vcc_lo
	global_store_b16 v[6:7], v2, off
.LBB9_116:
	s_mov_b32 s26, 0
.LBB9_117:
	s_delay_alu instid0(SALU_CYCLE_1)
	s_and_b32 vcc_lo, exec_lo, s26
	s_cbranch_vccz .LBB9_120
; %bb.118:
	s_cmp_eq_u32 s24, 11
	s_mov_b32 s0, -1
	s_cbranch_scc0 .LBB9_120
; %bb.119:
	s_delay_alu instid0(VALU_DEP_3)
	v_cmp_neq_f64_e32 vcc_lo, 0, v[0:1]
	s_mov_b32 s25, -1
	s_mov_b32 s0, 0
	s_wait_xcnt 0x0
	v_cndmask_b32_e64 v2, 0, 1, vcc_lo
	global_store_b8 v[6:7], v2, off
.LBB9_120:
	s_branch .LBB9_39
.LBB9_121:
	s_and_b32 s23, 0xffff, s23
	s_mov_b32 s24, -1
	s_cmp_lt_i32 s23, 5
	s_cbranch_scc1 .LBB9_142
; %bb.122:
	s_cmp_lt_i32 s23, 8
	s_cbranch_scc1 .LBB9_132
; %bb.123:
	;; [unrolled: 3-line block ×3, first 2 shown]
	s_cmp_gt_i32 s23, 9
	s_cbranch_scc0 .LBB9_126
; %bb.125:
	s_wait_xcnt 0x0
	v_mov_b32_e32 v2, 0
	s_mov_b32 s24, 0
	s_delay_alu instid0(VALU_DEP_1)
	v_mov_b32_e32 v3, v2
	global_store_b128 v[6:7], v[0:3], off
.LBB9_126:
	s_and_not1_b32 vcc_lo, exec_lo, s24
	s_cbranch_vccnz .LBB9_128
; %bb.127:
	s_wait_xcnt 0x0
	s_delay_alu instid0(VALU_DEP_3)
	v_cvt_f32_f64_e32 v2, v[0:1]
	v_mov_b32_e32 v3, 0
	global_store_b64 v[6:7], v[2:3], off
.LBB9_128:
	s_mov_b32 s24, 0
.LBB9_129:
	s_delay_alu instid0(SALU_CYCLE_1)
	s_and_not1_b32 vcc_lo, exec_lo, s24
	s_cbranch_vccnz .LBB9_131
; %bb.130:
	s_wait_xcnt 0x0
	s_delay_alu instid0(VALU_DEP_3) | instskip(SKIP_2) | instid1(VALU_DEP_3)
	v_and_or_b32 v2, 0x1ff, v1, v0
	v_lshrrev_b32_e32 v3, 8, v1
	v_bfe_u32 v5, v1, 20, 11
	v_cmp_ne_u32_e32 vcc_lo, 0, v2
	s_delay_alu instid0(VALU_DEP_2) | instskip(SKIP_2) | instid1(VALU_DEP_1)
	v_sub_nc_u32_e32 v8, 0x3f1, v5
	v_add_nc_u32_e32 v5, 0xfffffc10, v5
	v_cndmask_b32_e64 v2, 0, 1, vcc_lo
	v_and_or_b32 v2, 0xffe, v3, v2
	s_delay_alu instid0(VALU_DEP_4) | instskip(NEXT) | instid1(VALU_DEP_2)
	v_med3_i32 v3, v8, 0, 13
	v_or_b32_e32 v8, 0x1000, v2
	s_delay_alu instid0(VALU_DEP_1) | instskip(NEXT) | instid1(VALU_DEP_1)
	v_lshrrev_b32_e32 v9, v3, v8
	v_lshlrev_b32_e32 v3, v3, v9
	s_delay_alu instid0(VALU_DEP_1) | instskip(SKIP_3) | instid1(VALU_DEP_2)
	v_cmp_ne_u32_e32 vcc_lo, v3, v8
	v_lshl_or_b32 v8, v5, 12, v2
	v_cndmask_b32_e64 v3, 0, 1, vcc_lo
	v_cmp_gt_i32_e32 vcc_lo, 1, v5
	v_or_b32_e32 v3, v9, v3
	s_delay_alu instid0(VALU_DEP_1) | instskip(NEXT) | instid1(VALU_DEP_1)
	v_cndmask_b32_e32 v3, v8, v3, vcc_lo
	v_dual_lshrrev_b32 v3, 2, v3 :: v_dual_bitop2_b32 v8, 7, v3 bitop3:0x40
	s_delay_alu instid0(VALU_DEP_1) | instskip(SKIP_4) | instid1(VALU_DEP_2)
	v_cmp_lt_i32_e32 vcc_lo, 5, v8
	v_cndmask_b32_e64 v9, 0, 1, vcc_lo
	v_cmp_eq_u32_e32 vcc_lo, 3, v8
	v_cndmask_b32_e64 v8, 0, 1, vcc_lo
	v_cmp_ne_u32_e32 vcc_lo, 0, v2
	v_or_b32_e32 v8, v8, v9
	v_mov_b32_e32 v9, 0x7e00
	s_delay_alu instid0(VALU_DEP_1) | instskip(SKIP_1) | instid1(VALU_DEP_2)
	v_dual_cndmask_b32 v2, 0x7c00, v9 :: v_dual_add_nc_u32 v3, v3, v8
	v_cmp_gt_i32_e32 vcc_lo, 31, v5
	v_dual_cndmask_b32 v3, 0x7c00, v3 :: v_dual_lshrrev_b32 v8, 16, v1
	v_cmp_eq_u32_e32 vcc_lo, 0x40f, v5
	s_delay_alu instid0(VALU_DEP_2) | instskip(NEXT) | instid1(VALU_DEP_3)
	v_cndmask_b32_e32 v2, v3, v2, vcc_lo
	v_and_b32_e32 v3, 0x8000, v8
	s_delay_alu instid0(VALU_DEP_1)
	v_bitop3_b32 v2, v3, 0xffff, v2 bitop3:0xc8
	global_store_b32 v[6:7], v2, off
.LBB9_131:
	s_mov_b32 s24, 0
.LBB9_132:
	s_delay_alu instid0(SALU_CYCLE_1)
	s_and_not1_b32 vcc_lo, exec_lo, s24
	s_cbranch_vccnz .LBB9_141
; %bb.133:
	s_cmp_lt_i32 s23, 6
	s_mov_b32 s24, -1
	s_cbranch_scc1 .LBB9_139
; %bb.134:
	s_cmp_gt_i32 s23, 6
	s_cbranch_scc0 .LBB9_136
; %bb.135:
	s_mov_b32 s24, 0
	global_store_b64 v[6:7], v[0:1], off
.LBB9_136:
	s_and_not1_b32 vcc_lo, exec_lo, s24
	s_cbranch_vccnz .LBB9_138
; %bb.137:
	s_wait_xcnt 0x0
	s_delay_alu instid0(VALU_DEP_3)
	v_cvt_f32_f64_e32 v2, v[0:1]
	global_store_b32 v[6:7], v2, off
.LBB9_138:
	s_mov_b32 s24, 0
.LBB9_139:
	s_delay_alu instid0(SALU_CYCLE_1)
	s_and_not1_b32 vcc_lo, exec_lo, s24
	s_cbranch_vccnz .LBB9_141
; %bb.140:
	s_wait_xcnt 0x0
	s_delay_alu instid0(VALU_DEP_3) | instskip(SKIP_2) | instid1(VALU_DEP_3)
	v_and_or_b32 v2, 0x1ff, v1, v0
	v_lshrrev_b32_e32 v3, 8, v1
	v_bfe_u32 v5, v1, 20, 11
	v_cmp_ne_u32_e32 vcc_lo, 0, v2
	s_delay_alu instid0(VALU_DEP_2) | instskip(SKIP_2) | instid1(VALU_DEP_1)
	v_sub_nc_u32_e32 v8, 0x3f1, v5
	v_add_nc_u32_e32 v5, 0xfffffc10, v5
	v_cndmask_b32_e64 v2, 0, 1, vcc_lo
	v_and_or_b32 v2, 0xffe, v3, v2
	s_delay_alu instid0(VALU_DEP_4) | instskip(NEXT) | instid1(VALU_DEP_2)
	v_med3_i32 v3, v8, 0, 13
	v_or_b32_e32 v8, 0x1000, v2
	s_delay_alu instid0(VALU_DEP_1) | instskip(NEXT) | instid1(VALU_DEP_1)
	v_lshrrev_b32_e32 v9, v3, v8
	v_lshlrev_b32_e32 v3, v3, v9
	s_delay_alu instid0(VALU_DEP_1) | instskip(SKIP_3) | instid1(VALU_DEP_2)
	v_cmp_ne_u32_e32 vcc_lo, v3, v8
	v_lshl_or_b32 v8, v5, 12, v2
	v_cndmask_b32_e64 v3, 0, 1, vcc_lo
	v_cmp_gt_i32_e32 vcc_lo, 1, v5
	v_or_b32_e32 v3, v9, v3
	s_delay_alu instid0(VALU_DEP_1) | instskip(NEXT) | instid1(VALU_DEP_1)
	v_cndmask_b32_e32 v3, v8, v3, vcc_lo
	v_dual_lshrrev_b32 v3, 2, v3 :: v_dual_bitop2_b32 v8, 7, v3 bitop3:0x40
	s_delay_alu instid0(VALU_DEP_1) | instskip(SKIP_4) | instid1(VALU_DEP_2)
	v_cmp_lt_i32_e32 vcc_lo, 5, v8
	v_cndmask_b32_e64 v9, 0, 1, vcc_lo
	v_cmp_eq_u32_e32 vcc_lo, 3, v8
	v_cndmask_b32_e64 v8, 0, 1, vcc_lo
	v_cmp_ne_u32_e32 vcc_lo, 0, v2
	v_or_b32_e32 v8, v8, v9
	v_mov_b32_e32 v9, 0x7e00
	s_delay_alu instid0(VALU_DEP_1) | instskip(SKIP_1) | instid1(VALU_DEP_2)
	v_dual_cndmask_b32 v2, 0x7c00, v9 :: v_dual_add_nc_u32 v3, v3, v8
	v_cmp_gt_i32_e32 vcc_lo, 31, v5
	v_cndmask_b32_e32 v3, 0x7c00, v3, vcc_lo
	v_cmp_eq_u32_e32 vcc_lo, 0x40f, v5
	s_delay_alu instid0(VALU_DEP_2) | instskip(NEXT) | instid1(VALU_DEP_1)
	v_dual_cndmask_b32 v2, v3, v2 :: v_dual_lshrrev_b32 v3, 16, v1
	v_and_or_b32 v2, 0x8000, v3, v2
	global_store_b16 v[6:7], v2, off
.LBB9_141:
	s_mov_b32 s24, 0
.LBB9_142:
	s_delay_alu instid0(SALU_CYCLE_1)
	s_and_not1_b32 vcc_lo, exec_lo, s24
	s_cbranch_vccnz .LBB9_158
; %bb.143:
	s_cmp_lt_i32 s23, 2
	s_mov_b32 s24, -1
	s_cbranch_scc1 .LBB9_153
; %bb.144:
	s_cmp_lt_i32 s23, 3
	s_cbranch_scc1 .LBB9_150
; %bb.145:
	s_cmp_gt_i32 s23, 3
	s_cbranch_scc0 .LBB9_147
; %bb.146:
	s_wait_xcnt 0x0
	s_delay_alu instid0(VALU_DEP_3) | instskip(SKIP_1) | instid1(VALU_DEP_1)
	v_trunc_f64_e32 v[2:3], v[0:1]
	s_mov_b32 s24, 0
	v_ldexp_f64 v[8:9], v[2:3], 0xffffffe0
	s_delay_alu instid0(VALU_DEP_1) | instskip(NEXT) | instid1(VALU_DEP_1)
	v_floor_f64_e32 v[8:9], v[8:9]
	v_fmamk_f64 v[2:3], v[8:9], 0xc1f00000, v[2:3]
	v_cvt_i32_f64_e32 v9, v[8:9]
	s_delay_alu instid0(VALU_DEP_2)
	v_cvt_u32_f64_e32 v8, v[2:3]
	global_store_b64 v[6:7], v[8:9], off
.LBB9_147:
	s_and_not1_b32 vcc_lo, exec_lo, s24
	s_cbranch_vccnz .LBB9_149
; %bb.148:
	s_wait_xcnt 0x0
	s_delay_alu instid0(VALU_DEP_3)
	v_cvt_i32_f64_e32 v2, v[0:1]
	global_store_b32 v[6:7], v2, off
.LBB9_149:
	s_mov_b32 s24, 0
.LBB9_150:
	s_delay_alu instid0(SALU_CYCLE_1)
	s_and_not1_b32 vcc_lo, exec_lo, s24
	s_cbranch_vccnz .LBB9_152
; %bb.151:
	s_wait_xcnt 0x0
	s_delay_alu instid0(VALU_DEP_3)
	v_cvt_i32_f64_e32 v2, v[0:1]
	global_store_b16 v[6:7], v2, off
.LBB9_152:
	s_mov_b32 s24, 0
.LBB9_153:
	s_delay_alu instid0(SALU_CYCLE_1)
	s_and_not1_b32 vcc_lo, exec_lo, s24
	s_cbranch_vccnz .LBB9_158
; %bb.154:
	s_cmp_gt_i32 s23, 0
	s_mov_b32 s23, -1
	s_cbranch_scc0 .LBB9_156
; %bb.155:
	s_wait_xcnt 0x0
	s_delay_alu instid0(VALU_DEP_3)
	v_cvt_i32_f64_e32 v2, v[0:1]
	s_mov_b32 s23, 0
	global_store_b8 v[6:7], v2, off
.LBB9_156:
	s_and_not1_b32 vcc_lo, exec_lo, s23
	s_cbranch_vccnz .LBB9_158
; %bb.157:
	s_wait_xcnt 0x0
	s_delay_alu instid0(VALU_DEP_3) | instskip(NEXT) | instid1(VALU_DEP_1)
	v_trunc_f64_e32 v[0:1], v[0:1]
	v_ldexp_f64 v[2:3], v[0:1], 0xffffffe0
	s_delay_alu instid0(VALU_DEP_1) | instskip(NEXT) | instid1(VALU_DEP_1)
	v_floor_f64_e32 v[2:3], v[2:3]
	v_fmamk_f64 v[0:1], v[2:3], 0xc1f00000, v[0:1]
	s_delay_alu instid0(VALU_DEP_1)
	v_cvt_u32_f64_e32 v0, v[0:1]
	global_store_b8 v[6:7], v0, off
.LBB9_158:
.LBB9_159:
	v_add_nc_u32_e32 v4, 0x80, v4
	s_mov_b32 s23, -1
	s_branch .LBB9_270
.LBB9_160:
	s_mov_b32 s22, -1
                                        ; implicit-def: $vgpr6_vgpr7
.LBB9_161:
	s_mov_b32 s24, 0
.LBB9_162:
	s_delay_alu instid0(SALU_CYCLE_1)
	s_and_b32 vcc_lo, exec_lo, s24
	s_cbranch_vccz .LBB9_166
; %bb.163:
	s_cmp_eq_u32 s0, 29
	s_cbranch_scc0 .LBB9_165
; %bb.164:
	global_load_b64 v[6:7], v[0:1], off
	s_mov_b32 s23, -1
	s_mov_b32 s22, 0
	s_mov_b32 s24, 0
	s_wait_loadcnt 0x0
	v_cvt_f64_u32_e32 v[8:9], v7
	v_cvt_f64_u32_e32 v[6:7], v6
	s_delay_alu instid0(VALU_DEP_2) | instskip(NEXT) | instid1(VALU_DEP_1)
	v_ldexp_f64 v[8:9], v[8:9], 32
	v_add_f64_e32 v[6:7], v[8:9], v[6:7]
	s_branch .LBB9_167
.LBB9_165:
	s_mov_b32 s22, -1
                                        ; implicit-def: $vgpr6_vgpr7
.LBB9_166:
	s_mov_b32 s24, 0
.LBB9_167:
	s_delay_alu instid0(SALU_CYCLE_1)
	s_and_b32 vcc_lo, exec_lo, s24
	s_cbranch_vccz .LBB9_185
; %bb.168:
	s_cmp_lt_i32 s0, 27
	s_cbranch_scc1 .LBB9_171
; %bb.169:
	s_cmp_gt_i32 s0, 27
	s_cbranch_scc0 .LBB9_172
; %bb.170:
	global_load_b32 v3, v[0:1], off
	s_mov_b32 s23, 0
	s_wait_loadcnt 0x0
	v_cvt_f64_u32_e32 v[6:7], v3
	s_branch .LBB9_173
.LBB9_171:
	s_mov_b32 s23, -1
                                        ; implicit-def: $vgpr6_vgpr7
	s_branch .LBB9_176
.LBB9_172:
	s_mov_b32 s23, -1
                                        ; implicit-def: $vgpr6_vgpr7
.LBB9_173:
	s_delay_alu instid0(SALU_CYCLE_1)
	s_and_not1_b32 vcc_lo, exec_lo, s23
	s_cbranch_vccnz .LBB9_175
; %bb.174:
	global_load_u16 v3, v[0:1], off
	s_wait_loadcnt 0x0
	v_cvt_f64_u32_e32 v[6:7], v3
.LBB9_175:
	s_mov_b32 s23, 0
.LBB9_176:
	s_delay_alu instid0(SALU_CYCLE_1)
	s_and_not1_b32 vcc_lo, exec_lo, s23
	s_cbranch_vccnz .LBB9_184
; %bb.177:
	global_load_u8 v3, v[0:1], off
	s_mov_b32 s23, 0
	s_mov_b32 s24, exec_lo
	s_wait_loadcnt 0x0
	v_cmpx_lt_i16_e32 0x7f, v3
	s_xor_b32 s24, exec_lo, s24
	s_cbranch_execz .LBB9_197
; %bb.178:
	s_mov_b32 s23, -1
	s_mov_b32 s25, exec_lo
	v_cmpx_eq_u16_e32 0x80, v3
; %bb.179:
	s_xor_b32 s23, exec_lo, -1
; %bb.180:
	s_or_b32 exec_lo, exec_lo, s25
	s_delay_alu instid0(SALU_CYCLE_1)
	s_and_b32 s23, s23, exec_lo
	s_or_saveexec_b32 s24, s24
	v_mov_b64_e32 v[6:7], 0x7ff8000020000000
	s_xor_b32 exec_lo, exec_lo, s24
	s_cbranch_execnz .LBB9_198
.LBB9_181:
	s_or_b32 exec_lo, exec_lo, s24
	s_and_saveexec_b32 s24, s23
	s_cbranch_execz .LBB9_183
.LBB9_182:
	v_and_b32_e32 v5, 0xffff, v3
	s_delay_alu instid0(VALU_DEP_1) | instskip(SKIP_1) | instid1(VALU_DEP_2)
	v_and_b32_e32 v6, 7, v5
	v_bfe_u32 v9, v5, 3, 4
	v_clz_i32_u32_e32 v7, v6
	s_delay_alu instid0(VALU_DEP_2) | instskip(NEXT) | instid1(VALU_DEP_2)
	v_cmp_eq_u32_e32 vcc_lo, 0, v9
	v_min_u32_e32 v7, 32, v7
	s_delay_alu instid0(VALU_DEP_1) | instskip(NEXT) | instid1(VALU_DEP_1)
	v_subrev_nc_u32_e32 v8, 28, v7
	v_dual_lshlrev_b32 v5, v8, v5 :: v_dual_sub_nc_u32 v7, 29, v7
	s_delay_alu instid0(VALU_DEP_1) | instskip(NEXT) | instid1(VALU_DEP_1)
	v_dual_lshlrev_b32 v3, 24, v3 :: v_dual_bitop2_b32 v5, 7, v5 bitop3:0x40
	v_dual_cndmask_b32 v5, v6, v5, vcc_lo :: v_dual_cndmask_b32 v7, v9, v7, vcc_lo
	s_delay_alu instid0(VALU_DEP_2) | instskip(NEXT) | instid1(VALU_DEP_2)
	v_and_b32_e32 v3, 0x80000000, v3
	v_lshlrev_b32_e32 v5, 20, v5
	s_delay_alu instid0(VALU_DEP_3) | instskip(NEXT) | instid1(VALU_DEP_1)
	v_lshl_add_u32 v6, v7, 23, 0x3b800000
	v_or3_b32 v3, v3, v6, v5
	s_delay_alu instid0(VALU_DEP_1)
	v_cvt_f64_f32_e32 v[6:7], v3
.LBB9_183:
	s_or_b32 exec_lo, exec_lo, s24
.LBB9_184:
	s_mov_b32 s23, -1
.LBB9_185:
	s_branch .LBB9_220
.LBB9_186:
	s_cmp_gt_i32 s0, 22
	s_cbranch_scc0 .LBB9_196
; %bb.187:
	s_cmp_lt_i32 s0, 24
	s_cbranch_scc1 .LBB9_199
; %bb.188:
	s_cmp_gt_i32 s0, 24
	s_cbranch_scc0 .LBB9_200
; %bb.189:
	global_load_u8 v3, v[0:1], off
	s_mov_b32 s23, 0
	s_mov_b32 s24, exec_lo
	s_wait_loadcnt 0x0
	v_cmpx_lt_i16_e32 0x7f, v3
	s_xor_b32 s24, exec_lo, s24
	s_cbranch_execz .LBB9_212
; %bb.190:
	s_mov_b32 s23, -1
	s_mov_b32 s25, exec_lo
	v_cmpx_eq_u16_e32 0x80, v3
; %bb.191:
	s_xor_b32 s23, exec_lo, -1
; %bb.192:
	s_or_b32 exec_lo, exec_lo, s25
	s_delay_alu instid0(SALU_CYCLE_1)
	s_and_b32 s23, s23, exec_lo
	s_or_saveexec_b32 s24, s24
	v_mov_b64_e32 v[6:7], 0x7ff8000020000000
	s_xor_b32 exec_lo, exec_lo, s24
	s_cbranch_execnz .LBB9_213
.LBB9_193:
	s_or_b32 exec_lo, exec_lo, s24
	s_and_saveexec_b32 s24, s23
	s_cbranch_execz .LBB9_195
.LBB9_194:
	v_and_b32_e32 v5, 0xffff, v3
	s_delay_alu instid0(VALU_DEP_1) | instskip(SKIP_1) | instid1(VALU_DEP_2)
	v_and_b32_e32 v6, 3, v5
	v_bfe_u32 v9, v5, 2, 5
	v_clz_i32_u32_e32 v7, v6
	s_delay_alu instid0(VALU_DEP_2) | instskip(NEXT) | instid1(VALU_DEP_2)
	v_cmp_eq_u32_e32 vcc_lo, 0, v9
	v_min_u32_e32 v7, 32, v7
	s_delay_alu instid0(VALU_DEP_1) | instskip(NEXT) | instid1(VALU_DEP_1)
	v_subrev_nc_u32_e32 v8, 29, v7
	v_dual_lshlrev_b32 v5, v8, v5 :: v_dual_sub_nc_u32 v7, 30, v7
	s_delay_alu instid0(VALU_DEP_1) | instskip(NEXT) | instid1(VALU_DEP_1)
	v_dual_lshlrev_b32 v3, 24, v3 :: v_dual_bitop2_b32 v5, 3, v5 bitop3:0x40
	v_dual_cndmask_b32 v5, v6, v5, vcc_lo :: v_dual_cndmask_b32 v7, v9, v7, vcc_lo
	s_delay_alu instid0(VALU_DEP_2) | instskip(NEXT) | instid1(VALU_DEP_2)
	v_and_b32_e32 v3, 0x80000000, v3
	v_lshlrev_b32_e32 v5, 21, v5
	s_delay_alu instid0(VALU_DEP_3) | instskip(NEXT) | instid1(VALU_DEP_1)
	v_lshl_add_u32 v6, v7, 23, 0x37800000
	v_or3_b32 v3, v3, v6, v5
	s_delay_alu instid0(VALU_DEP_1)
	v_cvt_f64_f32_e32 v[6:7], v3
.LBB9_195:
	s_or_b32 exec_lo, exec_lo, s24
	s_mov_b32 s23, 0
	s_branch .LBB9_201
.LBB9_196:
	s_mov_b32 s24, -1
                                        ; implicit-def: $vgpr6_vgpr7
	s_branch .LBB9_207
.LBB9_197:
	s_or_saveexec_b32 s24, s24
	v_mov_b64_e32 v[6:7], 0x7ff8000020000000
	s_xor_b32 exec_lo, exec_lo, s24
	s_cbranch_execz .LBB9_181
.LBB9_198:
	v_cmp_ne_u16_e32 vcc_lo, 0, v3
	v_mov_b64_e32 v[6:7], 0
	s_and_not1_b32 s23, s23, exec_lo
	s_and_b32 s25, vcc_lo, exec_lo
	s_delay_alu instid0(SALU_CYCLE_1)
	s_or_b32 s23, s23, s25
	s_or_b32 exec_lo, exec_lo, s24
	s_and_saveexec_b32 s24, s23
	s_cbranch_execnz .LBB9_182
	s_branch .LBB9_183
.LBB9_199:
	s_mov_b32 s23, -1
                                        ; implicit-def: $vgpr6_vgpr7
	s_branch .LBB9_204
.LBB9_200:
	s_mov_b32 s23, -1
                                        ; implicit-def: $vgpr6_vgpr7
.LBB9_201:
	s_delay_alu instid0(SALU_CYCLE_1)
	s_and_b32 vcc_lo, exec_lo, s23
	s_cbranch_vccz .LBB9_203
; %bb.202:
	global_load_u8 v3, v[0:1], off
	s_wait_loadcnt 0x0
	v_lshlrev_b32_e32 v3, 24, v3
	s_delay_alu instid0(VALU_DEP_1) | instskip(NEXT) | instid1(VALU_DEP_1)
	v_and_b32_e32 v5, 0x7f000000, v3
	v_clz_i32_u32_e32 v6, v5
	v_cmp_ne_u32_e32 vcc_lo, 0, v5
	v_add_nc_u32_e32 v8, 0x1000000, v5
	s_delay_alu instid0(VALU_DEP_3) | instskip(NEXT) | instid1(VALU_DEP_1)
	v_min_u32_e32 v6, 32, v6
	v_sub_nc_u32_e64 v6, v6, 4 clamp
	s_delay_alu instid0(VALU_DEP_1) | instskip(NEXT) | instid1(VALU_DEP_1)
	v_dual_lshlrev_b32 v7, v6, v5 :: v_dual_lshlrev_b32 v6, 23, v6
	v_lshrrev_b32_e32 v7, 4, v7
	s_delay_alu instid0(VALU_DEP_1) | instskip(NEXT) | instid1(VALU_DEP_1)
	v_dual_sub_nc_u32 v6, v7, v6 :: v_dual_ashrrev_i32 v7, 8, v8
	v_add_nc_u32_e32 v6, 0x3c000000, v6
	s_delay_alu instid0(VALU_DEP_1) | instskip(NEXT) | instid1(VALU_DEP_1)
	v_and_or_b32 v6, 0x7f800000, v7, v6
	v_cndmask_b32_e32 v5, 0, v6, vcc_lo
	s_delay_alu instid0(VALU_DEP_1) | instskip(NEXT) | instid1(VALU_DEP_1)
	v_and_or_b32 v3, 0x80000000, v3, v5
	v_cvt_f64_f32_e32 v[6:7], v3
.LBB9_203:
	s_mov_b32 s23, 0
.LBB9_204:
	s_delay_alu instid0(SALU_CYCLE_1)
	s_and_not1_b32 vcc_lo, exec_lo, s23
	s_cbranch_vccnz .LBB9_206
; %bb.205:
	global_load_u8 v3, v[0:1], off
	s_wait_loadcnt 0x0
	v_lshlrev_b32_e32 v5, 25, v3
	v_lshlrev_b16 v3, 8, v3
	s_delay_alu instid0(VALU_DEP_1) | instskip(NEXT) | instid1(VALU_DEP_3)
	v_and_or_b32 v7, 0x7f00, v3, 0.5
	v_lshrrev_b32_e32 v6, 4, v5
	v_bfe_i32 v3, v3, 0, 16
	s_delay_alu instid0(VALU_DEP_3) | instskip(NEXT) | instid1(VALU_DEP_3)
	v_add_f32_e32 v7, -0.5, v7
	v_or_b32_e32 v6, 0x70000000, v6
	s_delay_alu instid0(VALU_DEP_1) | instskip(SKIP_1) | instid1(VALU_DEP_2)
	v_mul_f32_e32 v6, 0x7800000, v6
	v_cmp_gt_u32_e32 vcc_lo, 0x8000000, v5
	v_cndmask_b32_e32 v5, v6, v7, vcc_lo
	s_delay_alu instid0(VALU_DEP_1) | instskip(NEXT) | instid1(VALU_DEP_1)
	v_and_or_b32 v3, 0x80000000, v3, v5
	v_cvt_f64_f32_e32 v[6:7], v3
.LBB9_206:
	s_mov_b32 s24, 0
	s_mov_b32 s23, -1
.LBB9_207:
	s_and_not1_b32 vcc_lo, exec_lo, s24
	s_cbranch_vccnz .LBB9_220
; %bb.208:
	s_cmp_gt_i32 s0, 14
	s_cbranch_scc0 .LBB9_211
; %bb.209:
	s_cmp_eq_u32 s0, 15
	s_cbranch_scc0 .LBB9_214
; %bb.210:
	global_load_u16 v3, v[0:1], off
	s_mov_b32 s23, -1
	s_mov_b32 s22, 0
	s_wait_loadcnt 0x0
	v_lshlrev_b32_e32 v3, 16, v3
	s_delay_alu instid0(VALU_DEP_1)
	v_cvt_f64_f32_e32 v[6:7], v3
	s_branch .LBB9_215
.LBB9_211:
	s_mov_b32 s24, -1
                                        ; implicit-def: $vgpr6_vgpr7
	s_branch .LBB9_216
.LBB9_212:
	s_or_saveexec_b32 s24, s24
	v_mov_b64_e32 v[6:7], 0x7ff8000020000000
	s_xor_b32 exec_lo, exec_lo, s24
	s_cbranch_execz .LBB9_193
.LBB9_213:
	v_cmp_ne_u16_e32 vcc_lo, 0, v3
	v_mov_b64_e32 v[6:7], 0
	s_and_not1_b32 s23, s23, exec_lo
	s_and_b32 s25, vcc_lo, exec_lo
	s_delay_alu instid0(SALU_CYCLE_1)
	s_or_b32 s23, s23, s25
	s_or_b32 exec_lo, exec_lo, s24
	s_and_saveexec_b32 s24, s23
	s_cbranch_execnz .LBB9_194
	s_branch .LBB9_195
.LBB9_214:
	s_mov_b32 s22, -1
                                        ; implicit-def: $vgpr6_vgpr7
.LBB9_215:
	s_mov_b32 s24, 0
.LBB9_216:
	s_delay_alu instid0(SALU_CYCLE_1)
	s_and_b32 vcc_lo, exec_lo, s24
	s_cbranch_vccz .LBB9_220
; %bb.217:
	s_cmp_eq_u32 s0, 11
	s_cbranch_scc0 .LBB9_219
; %bb.218:
	global_load_u8 v3, v[0:1], off
	v_mov_b32_e32 v6, 0
	s_mov_b32 s22, 0
	s_mov_b32 s23, -1
	s_wait_loadcnt 0x0
	v_cmp_ne_u16_e32 vcc_lo, 0, v3
	v_cndmask_b32_e64 v7, 0, 0x3ff00000, vcc_lo
	s_branch .LBB9_220
.LBB9_219:
	s_mov_b32 s22, -1
                                        ; implicit-def: $vgpr6_vgpr7
.LBB9_220:
	s_branch .LBB9_25
.LBB9_221:
	s_cmp_lt_i32 s0, 5
	s_cbranch_scc1 .LBB9_226
; %bb.222:
	s_cmp_lt_i32 s0, 8
	s_cbranch_scc1 .LBB9_227
; %bb.223:
	;; [unrolled: 3-line block ×3, first 2 shown]
	s_cmp_gt_i32 s0, 9
	s_cbranch_scc0 .LBB9_229
; %bb.225:
	global_load_b64 v[6:7], v[0:1], off
	s_mov_b32 s23, 0
	s_branch .LBB9_230
.LBB9_226:
                                        ; implicit-def: $vgpr6_vgpr7
	s_branch .LBB9_248
.LBB9_227:
	s_mov_b32 s23, -1
                                        ; implicit-def: $vgpr6_vgpr7
	s_branch .LBB9_236
.LBB9_228:
	s_mov_b32 s23, -1
                                        ; implicit-def: $vgpr6_vgpr7
	s_branch .LBB9_233
.LBB9_229:
	s_mov_b32 s23, -1
                                        ; implicit-def: $vgpr6_vgpr7
.LBB9_230:
	s_delay_alu instid0(SALU_CYCLE_1)
	s_and_not1_b32 vcc_lo, exec_lo, s23
	s_cbranch_vccnz .LBB9_232
; %bb.231:
	global_load_b32 v3, v[0:1], off
	s_wait_loadcnt 0x0
	v_cvt_f64_f32_e32 v[6:7], v3
.LBB9_232:
	s_mov_b32 s23, 0
.LBB9_233:
	s_delay_alu instid0(SALU_CYCLE_1)
	s_and_not1_b32 vcc_lo, exec_lo, s23
	s_cbranch_vccnz .LBB9_235
; %bb.234:
	global_load_b32 v3, v[0:1], off
	s_wait_loadcnt 0x0
	v_cvt_f32_f16_e32 v3, v3
	s_delay_alu instid0(VALU_DEP_1)
	v_cvt_f64_f32_e32 v[6:7], v3
.LBB9_235:
	s_mov_b32 s23, 0
.LBB9_236:
	s_delay_alu instid0(SALU_CYCLE_1)
	s_and_not1_b32 vcc_lo, exec_lo, s23
	s_cbranch_vccnz .LBB9_247
; %bb.237:
	s_cmp_lt_i32 s0, 6
	s_cbranch_scc1 .LBB9_240
; %bb.238:
	s_cmp_gt_i32 s0, 6
	s_cbranch_scc0 .LBB9_241
; %bb.239:
	s_wait_loadcnt 0x0
	global_load_b64 v[6:7], v[0:1], off
	s_mov_b32 s23, 0
	s_branch .LBB9_242
.LBB9_240:
	s_mov_b32 s23, -1
                                        ; implicit-def: $vgpr6_vgpr7
	s_branch .LBB9_245
.LBB9_241:
	s_mov_b32 s23, -1
                                        ; implicit-def: $vgpr6_vgpr7
.LBB9_242:
	s_delay_alu instid0(SALU_CYCLE_1)
	s_and_not1_b32 vcc_lo, exec_lo, s23
	s_cbranch_vccnz .LBB9_244
; %bb.243:
	global_load_b32 v3, v[0:1], off
	s_wait_loadcnt 0x0
	v_cvt_f64_f32_e32 v[6:7], v3
.LBB9_244:
	s_mov_b32 s23, 0
.LBB9_245:
	s_delay_alu instid0(SALU_CYCLE_1)
	s_and_not1_b32 vcc_lo, exec_lo, s23
	s_cbranch_vccnz .LBB9_247
; %bb.246:
	global_load_u16 v3, v[0:1], off
	s_wait_loadcnt 0x0
	v_cvt_f32_f16_e32 v3, v3
	s_delay_alu instid0(VALU_DEP_1)
	v_cvt_f64_f32_e32 v[6:7], v3
.LBB9_247:
	s_cbranch_execnz .LBB9_267
.LBB9_248:
	s_cmp_lt_i32 s0, 2
	s_cbranch_scc1 .LBB9_252
; %bb.249:
	s_cmp_lt_i32 s0, 3
	s_cbranch_scc1 .LBB9_253
; %bb.250:
	s_cmp_gt_i32 s0, 3
	s_cbranch_scc0 .LBB9_254
; %bb.251:
	s_wait_loadcnt 0x0
	global_load_b64 v[6:7], v[0:1], off
	s_mov_b32 s23, 0
	s_wait_loadcnt 0x0
	v_cvt_f64_i32_e32 v[8:9], v7
	v_cvt_f64_u32_e32 v[6:7], v6
	s_delay_alu instid0(VALU_DEP_2) | instskip(NEXT) | instid1(VALU_DEP_1)
	v_ldexp_f64 v[8:9], v[8:9], 32
	v_add_f64_e32 v[6:7], v[8:9], v[6:7]
	s_branch .LBB9_255
.LBB9_252:
	s_mov_b32 s23, -1
                                        ; implicit-def: $vgpr6_vgpr7
	s_branch .LBB9_261
.LBB9_253:
	s_mov_b32 s23, -1
                                        ; implicit-def: $vgpr6_vgpr7
	s_branch .LBB9_258
.LBB9_254:
	s_mov_b32 s23, -1
                                        ; implicit-def: $vgpr6_vgpr7
.LBB9_255:
	s_delay_alu instid0(SALU_CYCLE_1)
	s_and_not1_b32 vcc_lo, exec_lo, s23
	s_cbranch_vccnz .LBB9_257
; %bb.256:
	global_load_b32 v3, v[0:1], off
	s_wait_loadcnt 0x0
	v_cvt_f64_i32_e32 v[6:7], v3
.LBB9_257:
	s_mov_b32 s23, 0
.LBB9_258:
	s_delay_alu instid0(SALU_CYCLE_1)
	s_and_not1_b32 vcc_lo, exec_lo, s23
	s_cbranch_vccnz .LBB9_260
; %bb.259:
	global_load_i16 v3, v[0:1], off
	s_wait_loadcnt 0x0
	v_cvt_f64_i32_e32 v[6:7], v3
.LBB9_260:
	s_mov_b32 s23, 0
.LBB9_261:
	s_delay_alu instid0(SALU_CYCLE_1)
	s_and_not1_b32 vcc_lo, exec_lo, s23
	s_cbranch_vccnz .LBB9_267
; %bb.262:
	s_cmp_gt_i32 s0, 0
	s_mov_b32 s0, 0
	s_cbranch_scc0 .LBB9_264
; %bb.263:
	global_load_i8 v3, v[0:1], off
	s_wait_loadcnt 0x0
	v_cvt_f64_i32_e32 v[6:7], v3
	s_branch .LBB9_265
.LBB9_264:
	s_mov_b32 s0, -1
                                        ; implicit-def: $vgpr6_vgpr7
.LBB9_265:
	s_delay_alu instid0(SALU_CYCLE_1)
	s_and_not1_b32 vcc_lo, exec_lo, s0
	s_cbranch_vccnz .LBB9_267
; %bb.266:
	global_load_u8 v0, v[0:1], off
	s_wait_loadcnt 0x0
	v_cvt_f64_u32_e32 v[6:7], v0
.LBB9_267:
	s_branch .LBB9_26
.LBB9_268:
	s_mov_b32 s0, 0
.LBB9_269:
	s_mov_b32 s23, 0
                                        ; implicit-def: $vgpr4
.LBB9_270:
	s_and_b32 s39, s0, exec_lo
	s_and_b32 s40, s22, exec_lo
	s_or_not1_b32 s23, s23, exec_lo
.LBB9_271:
	s_wait_xcnt 0x0
	s_or_b32 exec_lo, exec_lo, s41
	s_mov_b32 s22, 0
	s_mov_b32 s0, 0
                                        ; implicit-def: $vgpr0_vgpr1
                                        ; implicit-def: $vgpr2
                                        ; implicit-def: $vgpr6_vgpr7
	s_and_saveexec_b32 s41, s23
	s_cbranch_execz .LBB9_279
; %bb.272:
	s_mov_b32 s0, -1
	s_mov_b32 s42, s40
	s_mov_b32 s43, s39
	s_mov_b32 s44, exec_lo
	v_cmpx_gt_i32_e64 s36, v4
	s_cbranch_execz .LBB9_554
; %bb.273:
	s_and_not1_b32 vcc_lo, exec_lo, s31
	s_cbranch_vccnz .LBB9_282
; %bb.274:
	s_and_not1_b32 vcc_lo, exec_lo, s38
	s_cbranch_vccnz .LBB9_283
; %bb.275:
	s_add_co_i32 s0, s37, 1
	s_cmp_eq_u32 s29, 2
	s_cbranch_scc1 .LBB9_284
; %bb.276:
	v_dual_mov_b32 v2, 0 :: v_dual_mov_b32 v0, 0
	v_mov_b32_e32 v1, v4
	s_and_b32 s22, s0, 28
	s_mov_b32 s23, 0
	s_mov_b64 s[24:25], s[2:3]
	s_mov_b64 s[26:27], s[20:21]
.LBB9_277:                              ; =>This Inner Loop Header: Depth=1
	s_clause 0x1
	s_load_b256 s[48:55], s[24:25], 0x4
	s_load_b128 s[64:67], s[24:25], 0x24
	s_load_b256 s[56:63], s[26:27], 0x0
	s_add_co_i32 s23, s23, 4
	s_wait_xcnt 0x0
	s_add_nc_u64 s[24:25], s[24:25], 48
	s_cmp_eq_u32 s22, s23
	s_add_nc_u64 s[26:27], s[26:27], 32
	s_wait_kmcnt 0x0
	v_mul_hi_u32 v3, s49, v1
	s_delay_alu instid0(VALU_DEP_1) | instskip(NEXT) | instid1(VALU_DEP_1)
	v_add_nc_u32_e32 v3, v1, v3
	v_lshrrev_b32_e32 v3, s50, v3
	s_delay_alu instid0(VALU_DEP_1) | instskip(NEXT) | instid1(VALU_DEP_1)
	v_mul_hi_u32 v5, s52, v3
	v_add_nc_u32_e32 v5, v3, v5
	s_delay_alu instid0(VALU_DEP_1) | instskip(SKIP_1) | instid1(VALU_DEP_1)
	v_lshrrev_b32_e32 v5, s53, v5
	s_wait_loadcnt 0x0
	v_mul_hi_u32 v6, s55, v5
	s_delay_alu instid0(VALU_DEP_1) | instskip(SKIP_1) | instid1(VALU_DEP_1)
	v_add_nc_u32_e32 v6, v5, v6
	v_mul_lo_u32 v7, v3, s48
	v_sub_nc_u32_e32 v1, v1, v7
	v_mul_lo_u32 v7, v5, s51
	s_delay_alu instid0(VALU_DEP_4) | instskip(NEXT) | instid1(VALU_DEP_3)
	v_lshrrev_b32_e32 v6, s64, v6
	v_mad_u32 v0, v1, s57, v0
	v_mad_u32 v1, v1, s56, v2
	s_delay_alu instid0(VALU_DEP_4) | instskip(NEXT) | instid1(VALU_DEP_4)
	v_sub_nc_u32_e32 v2, v3, v7
	v_mul_hi_u32 v8, s66, v6
	v_mul_lo_u32 v3, v6, s54
	s_delay_alu instid0(VALU_DEP_3) | instskip(SKIP_1) | instid1(VALU_DEP_3)
	v_mad_u32 v0, v2, s59, v0
	v_mad_u32 v2, v2, s58, v1
	v_dual_add_nc_u32 v7, v6, v8 :: v_dual_sub_nc_u32 v3, v5, v3
	s_delay_alu instid0(VALU_DEP_1) | instskip(NEXT) | instid1(VALU_DEP_2)
	v_lshrrev_b32_e32 v1, s67, v7
	v_mad_u32 v0, v3, s61, v0
	s_delay_alu instid0(VALU_DEP_4) | instskip(NEXT) | instid1(VALU_DEP_3)
	v_mad_u32 v2, v3, s60, v2
	v_mul_lo_u32 v5, v1, s65
	s_delay_alu instid0(VALU_DEP_1) | instskip(NEXT) | instid1(VALU_DEP_1)
	v_sub_nc_u32_e32 v3, v6, v5
	v_mad_u32 v0, v3, s63, v0
	s_delay_alu instid0(VALU_DEP_4)
	v_mad_u32 v2, v3, s62, v2
	s_cbranch_scc0 .LBB9_277
; %bb.278:
	s_delay_alu instid0(VALU_DEP_2)
	v_mov_b32_e32 v3, v0
	s_branch .LBB9_285
.LBB9_279:
	s_or_b32 exec_lo, exec_lo, s41
	s_mov_b32 s1, 0
	s_and_saveexec_b32 s6, s40
	s_cbranch_execnz .LBB9_940
.LBB9_280:
	s_or_b32 exec_lo, exec_lo, s6
	s_and_saveexec_b32 s6, s17
	s_delay_alu instid0(SALU_CYCLE_1)
	s_xor_b32 s6, exec_lo, s6
	s_cbranch_execz .LBB9_941
.LBB9_281:
	global_load_u8 v3, v[0:1], off
	s_wait_loadcnt 0x1
	v_mov_b32_e32 v6, 0
	s_or_b32 s0, s0, exec_lo
	s_wait_loadcnt 0x0
	v_cmp_ne_u16_e32 vcc_lo, 0, v3
	v_cndmask_b32_e64 v7, 0, 0x3ff00000, vcc_lo
	s_wait_xcnt 0x0
	s_or_b32 exec_lo, exec_lo, s6
	s_and_saveexec_b32 s6, s22
	s_cbranch_execz .LBB9_987
	s_branch .LBB9_942
.LBB9_282:
                                        ; implicit-def: $vgpr0
                                        ; implicit-def: $vgpr2
	s_and_not1_b32 vcc_lo, exec_lo, s0
	s_cbranch_vccnz .LBB9_292
	s_branch .LBB9_290
.LBB9_283:
	v_dual_mov_b32 v0, 0 :: v_dual_mov_b32 v2, 0
	s_branch .LBB9_289
.LBB9_284:
	v_mov_b64_e32 v[2:3], 0
	v_mov_b32_e32 v1, v4
                                        ; implicit-def: $vgpr0
.LBB9_285:
	s_and_b32 s0, s0, 3
	s_mov_b32 s23, 0
	s_cmp_eq_u32 s0, 0
	s_cbranch_scc1 .LBB9_289
; %bb.286:
	s_lshl_b32 s24, s22, 3
	s_mov_b32 s25, s23
	s_mul_u64 s[26:27], s[22:23], 12
	s_add_nc_u64 s[24:25], s[2:3], s[24:25]
	s_delay_alu instid0(SALU_CYCLE_1)
	s_add_nc_u64 s[22:23], s[24:25], 0xc4
	s_add_nc_u64 s[24:25], s[2:3], s[26:27]
.LBB9_287:                              ; =>This Inner Loop Header: Depth=1
	s_load_b96 s[48:50], s[24:25], 0x4
	s_load_b64 s[26:27], s[22:23], 0x0
	s_add_co_i32 s0, s0, -1
	s_wait_xcnt 0x0
	s_add_nc_u64 s[24:25], s[24:25], 12
	s_cmp_lg_u32 s0, 0
	s_add_nc_u64 s[22:23], s[22:23], 8
	s_wait_kmcnt 0x0
	v_mul_hi_u32 v0, s49, v1
	s_delay_alu instid0(VALU_DEP_1) | instskip(NEXT) | instid1(VALU_DEP_1)
	v_add_nc_u32_e32 v0, v1, v0
	v_lshrrev_b32_e32 v0, s50, v0
	s_delay_alu instid0(VALU_DEP_1) | instskip(NEXT) | instid1(VALU_DEP_1)
	v_mul_lo_u32 v5, v0, s48
	v_sub_nc_u32_e32 v1, v1, v5
	s_delay_alu instid0(VALU_DEP_1)
	v_mad_u32 v3, v1, s27, v3
	v_mad_u32 v2, v1, s26, v2
	v_mov_b32_e32 v1, v0
	s_cbranch_scc1 .LBB9_287
; %bb.288:
	s_delay_alu instid0(VALU_DEP_3)
	v_mov_b32_e32 v0, v3
.LBB9_289:
	s_cbranch_execnz .LBB9_292
.LBB9_290:
	v_mov_b32_e32 v5, 0
	s_and_not1_b32 vcc_lo, exec_lo, s35
	s_delay_alu instid0(VALU_DEP_1) | instskip(NEXT) | instid1(VALU_DEP_1)
	v_mul_u64_e32 v[0:1], s[16:17], v[4:5]
	v_add_nc_u32_e32 v0, v4, v1
	s_wait_loadcnt 0x0
	s_delay_alu instid0(VALU_DEP_1) | instskip(NEXT) | instid1(VALU_DEP_1)
	v_lshrrev_b32_e32 v6, s14, v0
	v_mul_lo_u32 v0, v6, s12
	s_delay_alu instid0(VALU_DEP_1) | instskip(NEXT) | instid1(VALU_DEP_1)
	v_sub_nc_u32_e32 v1, v4, v0
	v_mul_lo_u32 v0, v1, s9
	v_mul_lo_u32 v2, v1, s8
	s_cbranch_vccnz .LBB9_292
; %bb.291:
	v_mov_b32_e32 v7, v5
	s_delay_alu instid0(VALU_DEP_1) | instskip(NEXT) | instid1(VALU_DEP_1)
	v_mul_u64_e32 v[8:9], s[18:19], v[6:7]
	v_add_nc_u32_e32 v1, v6, v9
	s_delay_alu instid0(VALU_DEP_1) | instskip(NEXT) | instid1(VALU_DEP_1)
	v_lshrrev_b32_e32 v1, s1, v1
	v_mul_lo_u32 v1, v1, s15
	s_delay_alu instid0(VALU_DEP_1) | instskip(NEXT) | instid1(VALU_DEP_1)
	v_sub_nc_u32_e32 v1, v6, v1
	v_mad_u32 v2, v1, s10, v2
	v_mad_u32 v0, v1, s11, v0
.LBB9_292:
	v_mov_b32_e32 v1, 0
	s_and_b32 s0, 0xffff, s13
	s_delay_alu instid0(SALU_CYCLE_1) | instskip(NEXT) | instid1(VALU_DEP_1)
	s_cmp_lt_i32 s0, 11
	v_add_nc_u64_e32 v[0:1], s[6:7], v[0:1]
	s_cbranch_scc1 .LBB9_299
; %bb.293:
	s_cmp_gt_i32 s0, 25
	s_cbranch_scc0 .LBB9_312
; %bb.294:
	s_cmp_gt_i32 s0, 28
	s_cbranch_scc0 .LBB9_314
	;; [unrolled: 3-line block ×4, first 2 shown]
; %bb.297:
	s_cmp_eq_u32 s0, 46
	s_mov_b32 s24, 0
	s_cbranch_scc0 .LBB9_324
; %bb.298:
	global_load_b32 v3, v[0:1], off
	s_mov_b32 s23, -1
	s_mov_b32 s22, 0
	s_wait_loadcnt 0x0
	v_lshlrev_b32_e32 v3, 16, v3
	s_delay_alu instid0(VALU_DEP_1)
	v_cvt_f64_f32_e32 v[6:7], v3
	s_branch .LBB9_326
.LBB9_299:
	s_mov_b32 s23, 0
	s_mov_b32 s22, s40
                                        ; implicit-def: $vgpr6_vgpr7
	s_cbranch_execnz .LBB9_503
.LBB9_300:
	s_and_not1_b32 vcc_lo, exec_lo, s23
	s_cbranch_vccnz .LBB9_551
.LBB9_301:
	s_wait_loadcnt 0x0
	s_delay_alu instid0(VALU_DEP_1) | instskip(SKIP_2) | instid1(SALU_CYCLE_1)
	v_cmp_ge_f64_e64 s0, 0x40200000, |v[6:7]|
                                        ; implicit-def: $vgpr0_vgpr1
	s_wait_xcnt 0x0
	s_and_saveexec_b32 s23, s0
	s_xor_b32 s0, exec_lo, s23
	s_cbranch_execz .LBB9_303
; %bb.302:
	v_fma_f64 v[0:1], |v[6:7]|, 0.5, -2.0
	s_mov_b64 s[24:25], 0xbc545cb72134d0ef
	s_delay_alu instid0(VALU_DEP_1) | instid1(SALU_CYCLE_1)
	v_fmaak_f64 v[8:9], s[24:25], v[0:1], 0x3c833362977da589
	s_mov_b64 s[24:25], 0x3ff71547652b82fe
	s_delay_alu instid0(SALU_CYCLE_1) | instskip(SKIP_1) | instid1(VALU_DEP_2)
	v_mul_f64_e64 v[12:13], |v[6:7]|, s[24:25]
	s_mov_b64 s[24:25], 0xbfe62e42fefa39ef
	v_fmaak_f64 v[10:11], v[0:1], v[8:9], 0x3c545cb72134d0ef
	s_delay_alu instid0(VALU_DEP_1) | instskip(NEXT) | instid1(VALU_DEP_3)
	v_add_f64_e32 v[10:11], 0xbcb184eb721ebbb4, v[10:11]
	v_rndne_f64_e32 v[12:13], v[12:13]
	s_delay_alu instid0(VALU_DEP_2) | instskip(NEXT) | instid1(VALU_DEP_2)
	v_fma_f64 v[8:9], v[0:1], v[10:11], -v[8:9]
	v_fma_f64 v[6:7], v[12:13], s[24:25], |v[6:7]|
	s_mov_b64 s[24:25], 0x3e5ade156a5dcb37
	v_cvt_i32_f64_e32 v3, v[12:13]
	s_delay_alu instid0(VALU_DEP_3) | instskip(NEXT) | instid1(VALU_DEP_3)
	v_add_f64_e32 v[8:9], 0x3cdee6d893f65eba, v[8:9]
	v_fmamk_f64 v[6:7], v[12:13], 0xbc7abc9e3b39803f, v[6:7]
	s_delay_alu instid0(VALU_DEP_1) | instskip(NEXT) | instid1(VALU_DEP_3)
	v_fmaak_f64 v[14:15], s[24:25], v[6:7], 0x3e928af3fca7ab0c
	v_fma_f64 v[10:11], v[0:1], v[8:9], -v[10:11]
	s_delay_alu instid0(VALU_DEP_2) | instskip(NEXT) | instid1(VALU_DEP_1)
	v_fmaak_f64 v[14:15], v[6:7], v[14:15], 0x3ec71dee623fde64
	v_fmaak_f64 v[14:15], v[6:7], v[14:15], 0x3efa01997c89e6b0
	s_delay_alu instid0(VALU_DEP_1) | instskip(NEXT) | instid1(VALU_DEP_1)
	v_fmaak_f64 v[14:15], v[6:7], v[14:15], 0x3f2a01a014761f6e
	v_fmaak_f64 v[14:15], v[6:7], v[14:15], 0x3f56c16c1852b7b0
	v_add_f64_e32 v[10:11], 0xbd0a5022c297fbeb, v[10:11]
	s_delay_alu instid0(VALU_DEP_1) | instskip(NEXT) | instid1(VALU_DEP_1)
	v_fma_f64 v[8:9], v[0:1], v[10:11], -v[8:9]
	v_add_f64_e32 v[8:9], 0x3d359b464b262627, v[8:9]
	s_delay_alu instid0(VALU_DEP_1) | instskip(NEXT) | instid1(VALU_DEP_1)
	v_fma_f64 v[10:11], v[0:1], v[8:9], -v[10:11]
	;; [unrolled: 3-line block ×24, first 2 shown]
	v_add_f64_e32 v[10:11], 0xbfd37febc057cd8d, v[10:11]
	s_delay_alu instid0(VALU_DEP_1) | instskip(SKIP_1) | instid1(VALU_DEP_1)
	v_fma_f64 v[0:1], v[0:1], v[10:11], -v[8:9]
	v_fmaak_f64 v[10:11], v[6:7], v[14:15], 0x3f81111111122322
	v_fmaak_f64 v[10:11], v[6:7], v[10:11], 0x3fa55555555502a1
	s_delay_alu instid0(VALU_DEP_1) | instskip(NEXT) | instid1(VALU_DEP_1)
	v_fmaak_f64 v[10:11], v[6:7], v[10:11], 0x3fc5555555555511
	v_fmaak_f64 v[10:11], v[6:7], v[10:11], 0x3fe000000000000b
	s_delay_alu instid0(VALU_DEP_1) | instskip(SKIP_1) | instid1(VALU_DEP_2)
	v_fma_f64 v[10:11], v[6:7], v[10:11], 1.0
	v_add_f64_e32 v[0:1], 0x3fe5a84e9035a22a, v[0:1]
	v_fma_f64 v[6:7], v[6:7], v[10:11], 1.0
	s_delay_alu instid0(VALU_DEP_2) | instskip(NEXT) | instid1(VALU_DEP_2)
	v_add_f64_e64 v[0:1], v[0:1], -v[8:9]
	v_ldexp_f64 v[6:7], v[6:7], v3
	s_delay_alu instid0(VALU_DEP_2) | instskip(NEXT) | instid1(VALU_DEP_1)
	v_mul_f64_e32 v[0:1], 0.5, v[0:1]
	v_mul_f64_e32 v[0:1], v[6:7], v[0:1]
                                        ; implicit-def: $vgpr6_vgpr7
.LBB9_303:
	s_and_not1_saveexec_b32 s0, s0
	s_cbranch_execz .LBB9_305
; %bb.304:
	v_and_b32_e32 v1, 0x7fffffff, v7
	v_mov_b32_e32 v0, v6
	s_mov_b64 s[24:25], 0xbc60adb754ca8b19
	v_cmp_gt_f64_e64 s23, 0x10000000, |v[6:7]|
	s_delay_alu instid0(VALU_DEP_2) | instskip(SKIP_1) | instid1(VALU_DEP_3)
	v_div_scale_f64 v[8:9], null, v[0:1], v[0:1], 0x40400000
	v_div_scale_f64 v[0:1], vcc_lo, 0x40400000, v[0:1], 0x40400000
	v_cndmask_b32_e64 v3, 0, 0x100, s23
	s_delay_alu instid0(VALU_DEP_3) | instskip(SKIP_1) | instid1(TRANS32_DEP_1)
	v_rcp_f64_e32 v[10:11], v[8:9]
	v_nop
	v_fma_f64 v[12:13], -v[8:9], v[10:11], 1.0
	s_delay_alu instid0(VALU_DEP_1) | instskip(NEXT) | instid1(VALU_DEP_1)
	v_fmac_f64_e32 v[10:11], v[10:11], v[12:13]
	v_fma_f64 v[12:13], -v[8:9], v[10:11], 1.0
	s_delay_alu instid0(VALU_DEP_1) | instskip(NEXT) | instid1(VALU_DEP_1)
	v_fmac_f64_e32 v[10:11], v[10:11], v[12:13]
	v_mul_f64_e32 v[12:13], v[0:1], v[10:11]
	s_delay_alu instid0(VALU_DEP_1) | instskip(NEXT) | instid1(VALU_DEP_1)
	v_fma_f64 v[0:1], -v[8:9], v[12:13], v[0:1]
	v_div_fmas_f64 v[0:1], v[0:1], v[10:11], v[12:13]
	v_ldexp_f64 v[12:13], |v[6:7]|, v3
	v_cmp_nlt_f64_e64 vcc_lo, 0x40900000, |v[6:7]|
	s_delay_alu instid0(VALU_DEP_3) | instskip(NEXT) | instid1(VALU_DEP_3)
	v_div_fixup_f64 v[0:1], v[0:1], |v[6:7]|, 0x40400000
	v_rsq_f64_e32 v[16:17], v[12:13]
	s_delay_alu instid0(VALU_DEP_1) | instskip(NEXT) | instid1(TRANS32_DEP_1)
	v_add_f64_e32 v[0:1], -2.0, v[0:1]
	v_mul_f64_e32 v[18:19], v[12:13], v[16:17]
	v_mul_f64_e32 v[16:17], 0.5, v[16:17]
	s_delay_alu instid0(VALU_DEP_3) | instskip(SKIP_1) | instid1(SALU_CYCLE_1)
	v_fmaak_f64 v[8:9], s[24:25], v[0:1], 0xbc5646da66119130
	s_mov_b64 s[24:25], 0x3ff71547652b82fe
	v_mul_f64_e64 v[14:15], |v[6:7]|, s[24:25]
	s_mov_b64 s[24:25], 0xbfe62e42fefa39ef
	s_delay_alu instid0(VALU_DEP_2) | instskip(NEXT) | instid1(VALU_DEP_4)
	v_fmaak_f64 v[10:11], v[0:1], v[8:9], 0x3c60adb754ca8b19
	v_fma_f64 v[22:23], -v[16:17], v[18:19], 0.5
	s_delay_alu instid0(VALU_DEP_2) | instskip(NEXT) | instid1(VALU_DEP_4)
	v_add_f64_e32 v[10:11], 0x3c89be1812d98421, v[10:11]
	v_rndne_f64_e32 v[14:15], v[14:15]
	s_delay_alu instid0(VALU_DEP_3) | instskip(SKIP_1) | instid1(VALU_DEP_4)
	v_fmac_f64_e32 v[18:19], v[18:19], v[22:23]
	v_fmac_f64_e32 v[16:17], v[16:17], v[22:23]
	v_fma_f64 v[8:9], v[0:1], v[10:11], -v[8:9]
	s_delay_alu instid0(VALU_DEP_4) | instskip(SKIP_2) | instid1(VALU_DEP_3)
	v_fma_f64 v[20:21], v[14:15], s[24:25], |v[6:7]|
	s_mov_b64 s[24:25], 0x3e5ade156a5dcb37
	v_cvt_i32_f64_e32 v3, v[14:15]
	v_add_f64_e32 v[8:9], 0x3c83f3dd076041cd, v[8:9]
	s_delay_alu instid0(VALU_DEP_3) | instskip(NEXT) | instid1(VALU_DEP_1)
	v_fmamk_f64 v[20:21], v[14:15], 0xbc7abc9e3b39803f, v[20:21]
	v_fmaak_f64 v[24:25], s[24:25], v[20:21], 0x3e928af3fca7ab0c
	s_delay_alu instid0(VALU_DEP_3) | instskip(NEXT) | instid1(VALU_DEP_2)
	v_fma_f64 v[10:11], v[0:1], v[8:9], -v[10:11]
	v_fmaak_f64 v[24:25], v[20:21], v[24:25], 0x3ec71dee623fde64
	s_delay_alu instid0(VALU_DEP_1) | instskip(NEXT) | instid1(VALU_DEP_1)
	v_fmaak_f64 v[24:25], v[20:21], v[24:25], 0x3efa01997c89e6b0
	v_fmaak_f64 v[24:25], v[20:21], v[24:25], 0x3f2a01a014761f6e
	s_delay_alu instid0(VALU_DEP_1) | instskip(NEXT) | instid1(VALU_DEP_1)
	v_fmaak_f64 v[24:25], v[20:21], v[24:25], 0x3f56c16c1852b7b0
	v_fmaak_f64 v[24:25], v[20:21], v[24:25], 0x3f81111111122322
	v_add_f64_e32 v[10:11], 0xbcb4600babd21fe4, v[10:11]
	s_delay_alu instid0(VALU_DEP_1) | instskip(NEXT) | instid1(VALU_DEP_1)
	v_fma_f64 v[8:9], v[0:1], v[10:11], -v[8:9]
	v_add_f64_e32 v[8:9], 0xbcb8aee7d908de38, v[8:9]
	s_delay_alu instid0(VALU_DEP_1) | instskip(NEXT) | instid1(VALU_DEP_1)
	v_fma_f64 v[10:11], v[0:1], v[8:9], -v[10:11]
	;; [unrolled: 3-line block ×19, first 2 shown]
	v_add_f64_e32 v[8:9], 0x3f6b998ca2e59049, v[8:9]
	s_delay_alu instid0(VALU_DEP_1) | instskip(SKIP_1) | instid1(VALU_DEP_1)
	v_fma_f64 v[0:1], v[0:1], v[8:9], -v[10:11]
	v_fmaak_f64 v[8:9], v[20:21], v[24:25], 0x3fa55555555502a1
	v_fmaak_f64 v[8:9], v[20:21], v[8:9], 0x3fc5555555555511
	s_delay_alu instid0(VALU_DEP_1) | instskip(NEXT) | instid1(VALU_DEP_1)
	v_fmaak_f64 v[8:9], v[20:21], v[8:9], 0x3fe000000000000b
	v_fma_f64 v[8:9], v[20:21], v[8:9], 1.0
	v_add_f64_e32 v[0:1], 0x3fe9be62aca809cb, v[0:1]
	s_delay_alu instid0(VALU_DEP_2) | instskip(NEXT) | instid1(VALU_DEP_2)
	v_fma_f64 v[8:9], v[20:21], v[8:9], 1.0
	v_add_f64_e64 v[0:1], v[0:1], -v[10:11]
	s_delay_alu instid0(VALU_DEP_2) | instskip(SKIP_1) | instid1(VALU_DEP_3)
	v_ldexp_f64 v[8:9], v[8:9], v3
	v_cndmask_b32_e64 v3, 0, 0xffffff80, s23
	v_mul_f64_e32 v[0:1], 0.5, v[0:1]
	s_delay_alu instid0(VALU_DEP_3) | instskip(NEXT) | instid1(VALU_DEP_4)
	v_cndmask_b32_e32 v7, 0x7ff00000, v9, vcc_lo
	v_cndmask_b32_e32 v6, 0, v8, vcc_lo
	v_cmp_class_f64_e64 vcc_lo, v[12:13], 0x260
	v_fma_f64 v[22:23], -v[18:19], v[18:19], v[12:13]
	s_delay_alu instid0(VALU_DEP_3) | instskip(NEXT) | instid1(VALU_DEP_2)
	v_mul_f64_e32 v[0:1], v[6:7], v[0:1]
	v_fmac_f64_e32 v[18:19], v[22:23], v[16:17]
	s_delay_alu instid0(VALU_DEP_1) | instskip(NEXT) | instid1(VALU_DEP_1)
	v_fma_f64 v[14:15], -v[18:19], v[18:19], v[12:13]
	v_fmac_f64_e32 v[18:19], v[14:15], v[16:17]
	s_delay_alu instid0(VALU_DEP_1) | instskip(NEXT) | instid1(VALU_DEP_1)
	v_ldexp_f64 v[8:9], v[18:19], v3
	v_dual_cndmask_b32 v7, v9, v13 :: v_dual_cndmask_b32 v6, v8, v12
	s_delay_alu instid0(VALU_DEP_1) | instskip(NEXT) | instid1(VALU_DEP_1)
	v_div_scale_f64 v[8:9], null, v[6:7], v[6:7], v[0:1]
	v_rcp_f64_e32 v[10:11], v[8:9]
	v_nop
	s_delay_alu instid0(TRANS32_DEP_1) | instskip(NEXT) | instid1(VALU_DEP_1)
	v_fma_f64 v[12:13], -v[8:9], v[10:11], 1.0
	v_fmac_f64_e32 v[10:11], v[10:11], v[12:13]
	s_delay_alu instid0(VALU_DEP_1) | instskip(NEXT) | instid1(VALU_DEP_1)
	v_fma_f64 v[12:13], -v[8:9], v[10:11], 1.0
	v_fmac_f64_e32 v[10:11], v[10:11], v[12:13]
	v_div_scale_f64 v[12:13], vcc_lo, v[0:1], v[6:7], v[0:1]
	s_delay_alu instid0(VALU_DEP_1) | instskip(NEXT) | instid1(VALU_DEP_1)
	v_mul_f64_e32 v[14:15], v[12:13], v[10:11]
	v_fma_f64 v[8:9], -v[8:9], v[14:15], v[12:13]
	s_delay_alu instid0(VALU_DEP_1) | instskip(NEXT) | instid1(VALU_DEP_1)
	v_div_fmas_f64 v[8:9], v[8:9], v[10:11], v[14:15]
	v_div_fixup_f64 v[0:1], v[8:9], v[6:7], v[0:1]
.LBB9_305:
	s_or_b32 exec_lo, exec_lo, s0
	v_mov_b32_e32 v3, 0
	s_and_b32 s23, s34, 0xff
	s_delay_alu instid0(SALU_CYCLE_1) | instskip(NEXT) | instid1(VALU_DEP_1)
	s_cmp_lt_i32 s23, 11
	v_add_nc_u64_e32 v[6:7], s[4:5], v[2:3]
	s_cbranch_scc1 .LBB9_313
; %bb.306:
	s_and_b32 s24, 0xffff, s23
	s_delay_alu instid0(SALU_CYCLE_1)
	s_cmp_gt_i32 s24, 25
	s_cbranch_scc0 .LBB9_315
; %bb.307:
	s_cmp_gt_i32 s24, 28
	s_cbranch_scc0 .LBB9_317
; %bb.308:
	;; [unrolled: 3-line block ×4, first 2 shown]
	s_mov_b32 s26, 0
	s_mov_b32 s0, -1
	s_cmp_eq_u32 s24, 46
	s_mov_b32 s25, 0
	s_cbranch_scc0 .LBB9_330
; %bb.311:
	s_delay_alu instid0(VALU_DEP_3) | instskip(SKIP_2) | instid1(VALU_DEP_1)
	v_cvt_f32_f64_e32 v2, v[0:1]
	s_mov_b32 s25, -1
	s_mov_b32 s0, 0
	v_bfe_u32 v3, v2, 16, 1
	v_cmp_o_f32_e32 vcc_lo, v2, v2
	s_delay_alu instid0(VALU_DEP_2) | instskip(NEXT) | instid1(VALU_DEP_1)
	v_add3_u32 v3, v2, v3, 0x7fff
	v_lshrrev_b32_e32 v3, 16, v3
	s_delay_alu instid0(VALU_DEP_1)
	v_cndmask_b32_e32 v2, 0x7fc0, v3, vcc_lo
	global_store_b32 v[6:7], v2, off
	s_branch .LBB9_330
.LBB9_312:
	s_mov_b32 s24, -1
	s_mov_b32 s23, 0
	s_mov_b32 s22, s40
                                        ; implicit-def: $vgpr6_vgpr7
	s_branch .LBB9_467
.LBB9_313:
	s_mov_b32 s24, -1
	s_mov_b32 s25, 0
	s_mov_b32 s0, s39
	s_branch .LBB9_399
.LBB9_314:
	s_mov_b32 s24, -1
	s_mov_b32 s23, 0
	s_mov_b32 s22, s40
                                        ; implicit-def: $vgpr6_vgpr7
	s_branch .LBB9_448
.LBB9_315:
	s_mov_b32 s26, -1
	s_mov_b32 s25, 0
	s_mov_b32 s0, s39
	s_branch .LBB9_357
.LBB9_316:
	s_mov_b32 s24, -1
	s_mov_b32 s23, 0
	s_mov_b32 s22, s40
                                        ; implicit-def: $vgpr6_vgpr7
	s_branch .LBB9_443
.LBB9_317:
	s_mov_b32 s26, -1
	s_mov_b32 s25, 0
	s_mov_b32 s0, s39
	s_branch .LBB9_340
.LBB9_318:
	s_and_not1_saveexec_b32 s27, s27
	s_cbranch_execz .LBB9_73
.LBB9_319:
	v_add_f32_e64 v3, 0x46000000, |v2|
	s_and_not1_b32 s26, s26, exec_lo
	s_delay_alu instid0(VALU_DEP_1) | instskip(NEXT) | instid1(VALU_DEP_1)
	v_and_b32_e32 v3, 0xff, v3
	v_cmp_ne_u32_e32 vcc_lo, 0, v3
	s_and_b32 s39, vcc_lo, exec_lo
	s_delay_alu instid0(SALU_CYCLE_1)
	s_or_b32 s26, s26, s39
	s_or_b32 exec_lo, exec_lo, s27
	v_mov_b32_e32 v5, 0
	s_and_saveexec_b32 s27, s26
	s_cbranch_execnz .LBB9_74
	s_branch .LBB9_75
.LBB9_320:
	s_mov_b32 s24, -1
	s_mov_b32 s23, 0
	s_mov_b32 s22, s40
	s_branch .LBB9_325
.LBB9_321:
	s_mov_b32 s26, -1
	s_mov_b32 s25, 0
	s_mov_b32 s0, s39
	s_branch .LBB9_336
.LBB9_322:
	s_and_not1_saveexec_b32 s27, s27
	s_cbranch_execz .LBB9_86
.LBB9_323:
	v_add_f32_e64 v3, 0x42800000, |v2|
	s_and_not1_b32 s26, s26, exec_lo
	s_delay_alu instid0(VALU_DEP_1) | instskip(NEXT) | instid1(VALU_DEP_1)
	v_and_b32_e32 v3, 0xff, v3
	v_cmp_ne_u32_e32 vcc_lo, 0, v3
	s_and_b32 s39, vcc_lo, exec_lo
	s_delay_alu instid0(SALU_CYCLE_1)
	s_or_b32 s26, s26, s39
	s_or_b32 exec_lo, exec_lo, s27
	v_mov_b32_e32 v5, 0
	s_and_saveexec_b32 s27, s26
	s_cbranch_execnz .LBB9_87
	s_branch .LBB9_88
.LBB9_324:
	s_mov_b32 s22, -1
	s_mov_b32 s23, 0
.LBB9_325:
                                        ; implicit-def: $vgpr6_vgpr7
.LBB9_326:
	s_and_b32 vcc_lo, exec_lo, s24
	s_cbranch_vccz .LBB9_442
; %bb.327:
	s_cmp_eq_u32 s0, 44
	s_cbranch_scc0 .LBB9_441
; %bb.328:
	global_load_u8 v3, v[0:1], off
	s_mov_b32 s22, 0
	s_mov_b32 s23, -1
	s_wait_loadcnt 0x0
	v_lshlrev_b32_e32 v5, 23, v3
	v_cmp_ne_u32_e32 vcc_lo, 0xff, v3
	s_delay_alu instid0(VALU_DEP_2) | instskip(NEXT) | instid1(VALU_DEP_1)
	v_cvt_f64_f32_e32 v[6:7], v5
	v_cndmask_b32_e32 v5, 0x20000000, v6, vcc_lo
	s_delay_alu instid0(VALU_DEP_2) | instskip(SKIP_1) | instid1(VALU_DEP_2)
	v_cndmask_b32_e32 v6, 0x7ff80000, v7, vcc_lo
	v_cmp_ne_u32_e32 vcc_lo, 0, v3
	v_cndmask_b32_e32 v7, 0x38000000, v6, vcc_lo
	s_delay_alu instid0(VALU_DEP_4)
	v_cndmask_b32_e32 v6, 0, v5, vcc_lo
	s_branch .LBB9_442
.LBB9_329:
	s_mov_b32 s26, -1
	s_mov_b32 s25, 0
	s_mov_b32 s0, s39
.LBB9_330:
	s_and_b32 vcc_lo, exec_lo, s26
	s_cbranch_vccz .LBB9_335
; %bb.331:
	s_cmp_eq_u32 s24, 44
	s_mov_b32 s0, -1
	s_cbranch_scc0 .LBB9_335
; %bb.332:
	s_wait_xcnt 0x0
	s_delay_alu instid0(VALU_DEP_3) | instskip(SKIP_2) | instid1(VALU_DEP_2)
	v_cvt_f32_f64_e32 v2, v[0:1]
	v_mov_b32_e32 v3, 0xff
	s_mov_b32 s25, exec_lo
	v_bfe_u32 v5, v2, 23, 8
	s_delay_alu instid0(VALU_DEP_1)
	v_cmpx_ne_u32_e32 0xff, v5
	s_cbranch_execz .LBB9_334
; %bb.333:
	v_and_b32_e32 v3, 0x400000, v2
	v_and_or_b32 v5, 0x3fffff, v2, v5
	v_lshrrev_b32_e32 v2, 23, v2
	s_delay_alu instid0(VALU_DEP_3) | instskip(NEXT) | instid1(VALU_DEP_3)
	v_cmp_ne_u32_e32 vcc_lo, 0, v3
	v_cmp_ne_u32_e64 s0, 0, v5
	s_and_b32 s0, vcc_lo, s0
	s_delay_alu instid0(SALU_CYCLE_1) | instskip(NEXT) | instid1(VALU_DEP_1)
	v_cndmask_b32_e64 v3, 0, 1, s0
	v_add_nc_u32_e32 v3, v2, v3
.LBB9_334:
	s_or_b32 exec_lo, exec_lo, s25
	s_mov_b32 s25, -1
	s_mov_b32 s0, 0
	global_store_b8 v[6:7], v3, off
.LBB9_335:
	s_mov_b32 s26, 0
.LBB9_336:
	s_delay_alu instid0(SALU_CYCLE_1)
	s_and_b32 vcc_lo, exec_lo, s26
	s_cbranch_vccz .LBB9_339
; %bb.337:
	s_cmp_eq_u32 s24, 29
	s_mov_b32 s0, -1
	s_cbranch_scc0 .LBB9_339
; %bb.338:
	s_wait_xcnt 0x0
	s_delay_alu instid0(VALU_DEP_3) | instskip(SKIP_3) | instid1(VALU_DEP_1)
	v_trunc_f64_e32 v[2:3], v[0:1]
	s_mov_b32 s25, -1
	s_mov_b32 s0, 0
	s_mov_b32 s26, 0
	v_ldexp_f64 v[8:9], v[2:3], 0xffffffe0
	s_delay_alu instid0(VALU_DEP_1) | instskip(NEXT) | instid1(VALU_DEP_1)
	v_floor_f64_e32 v[8:9], v[8:9]
	v_fmamk_f64 v[2:3], v[8:9], 0xc1f00000, v[2:3]
	v_cvt_u32_f64_e32 v9, v[8:9]
	s_delay_alu instid0(VALU_DEP_2)
	v_cvt_u32_f64_e32 v8, v[2:3]
	global_store_b64 v[6:7], v[8:9], off
	s_branch .LBB9_340
.LBB9_339:
	s_mov_b32 s26, 0
.LBB9_340:
	s_delay_alu instid0(SALU_CYCLE_1)
	s_and_b32 vcc_lo, exec_lo, s26
	s_cbranch_vccz .LBB9_356
; %bb.341:
	s_cmp_lt_i32 s24, 27
	s_mov_b32 s25, -1
	s_cbranch_scc1 .LBB9_347
; %bb.342:
	s_wait_xcnt 0x0
	s_delay_alu instid0(VALU_DEP_3)
	v_cvt_u32_f64_e32 v2, v[0:1]
	s_cmp_gt_i32 s24, 27
	s_cbranch_scc0 .LBB9_344
; %bb.343:
	s_mov_b32 s25, 0
	global_store_b32 v[6:7], v2, off
.LBB9_344:
	s_and_not1_b32 vcc_lo, exec_lo, s25
	s_cbranch_vccnz .LBB9_346
; %bb.345:
	global_store_b16 v[6:7], v2, off
.LBB9_346:
	s_mov_b32 s25, 0
.LBB9_347:
	s_delay_alu instid0(SALU_CYCLE_1)
	s_and_not1_b32 vcc_lo, exec_lo, s25
	s_cbranch_vccnz .LBB9_355
; %bb.348:
	s_wait_xcnt 0x0
	s_delay_alu instid0(VALU_DEP_3) | instskip(SKIP_2) | instid1(VALU_DEP_2)
	v_cvt_f32_f64_e32 v2, v[0:1]
	v_mov_b32_e32 v5, 0x80
	s_mov_b32 s25, exec_lo
	v_and_b32_e32 v3, 0x7fffffff, v2
	s_delay_alu instid0(VALU_DEP_1)
	v_cmpx_gt_u32_e32 0x43800000, v3
	s_cbranch_execz .LBB9_354
; %bb.349:
	v_cmp_lt_u32_e32 vcc_lo, 0x3bffffff, v3
	s_mov_b32 s26, 0
                                        ; implicit-def: $vgpr3
	s_and_saveexec_b32 s27, vcc_lo
	s_delay_alu instid0(SALU_CYCLE_1)
	s_xor_b32 s27, exec_lo, s27
	s_cbranch_execz .LBB9_584
; %bb.350:
	v_bfe_u32 v3, v2, 20, 1
	s_mov_b32 s26, exec_lo
	s_delay_alu instid0(VALU_DEP_1) | instskip(NEXT) | instid1(VALU_DEP_1)
	v_add3_u32 v3, v2, v3, 0x487ffff
	v_lshrrev_b32_e32 v3, 20, v3
	s_and_not1_saveexec_b32 s27, s27
	s_cbranch_execnz .LBB9_585
.LBB9_351:
	s_or_b32 exec_lo, exec_lo, s27
	v_mov_b32_e32 v5, 0
	s_and_saveexec_b32 s27, s26
.LBB9_352:
	v_lshrrev_b32_e32 v2, 24, v2
	s_delay_alu instid0(VALU_DEP_1)
	v_and_or_b32 v5, 0x80, v2, v3
.LBB9_353:
	s_or_b32 exec_lo, exec_lo, s27
.LBB9_354:
	s_delay_alu instid0(SALU_CYCLE_1)
	s_or_b32 exec_lo, exec_lo, s25
	global_store_b8 v[6:7], v5, off
.LBB9_355:
	s_mov_b32 s25, -1
.LBB9_356:
	s_mov_b32 s26, 0
.LBB9_357:
	s_delay_alu instid0(SALU_CYCLE_1)
	s_and_b32 vcc_lo, exec_lo, s26
	s_cbranch_vccz .LBB9_398
; %bb.358:
	s_cmp_gt_i32 s24, 22
	s_mov_b32 s26, -1
	s_cbranch_scc0 .LBB9_390
; %bb.359:
	s_cmp_lt_i32 s24, 24
	s_mov_b32 s25, -1
	s_cbranch_scc1 .LBB9_379
; %bb.360:
	s_cmp_gt_i32 s24, 24
	s_cbranch_scc0 .LBB9_368
; %bb.361:
	s_wait_xcnt 0x0
	s_delay_alu instid0(VALU_DEP_3) | instskip(SKIP_2) | instid1(VALU_DEP_2)
	v_cvt_f32_f64_e32 v2, v[0:1]
	v_mov_b32_e32 v5, 0x80
	s_mov_b32 s25, exec_lo
	v_and_b32_e32 v3, 0x7fffffff, v2
	s_delay_alu instid0(VALU_DEP_1)
	v_cmpx_gt_u32_e32 0x47800000, v3
	s_cbranch_execz .LBB9_367
; %bb.362:
	v_cmp_lt_u32_e32 vcc_lo, 0x37ffffff, v3
	s_mov_b32 s26, 0
                                        ; implicit-def: $vgpr3
	s_and_saveexec_b32 s27, vcc_lo
	s_delay_alu instid0(SALU_CYCLE_1)
	s_xor_b32 s27, exec_lo, s27
	s_cbranch_execz .LBB9_587
; %bb.363:
	v_bfe_u32 v3, v2, 21, 1
	s_mov_b32 s26, exec_lo
	s_delay_alu instid0(VALU_DEP_1) | instskip(NEXT) | instid1(VALU_DEP_1)
	v_add3_u32 v3, v2, v3, 0x88fffff
	v_lshrrev_b32_e32 v3, 21, v3
	s_and_not1_saveexec_b32 s27, s27
	s_cbranch_execnz .LBB9_588
.LBB9_364:
	s_or_b32 exec_lo, exec_lo, s27
	v_mov_b32_e32 v5, 0
	s_and_saveexec_b32 s27, s26
.LBB9_365:
	v_lshrrev_b32_e32 v2, 24, v2
	s_delay_alu instid0(VALU_DEP_1)
	v_and_or_b32 v5, 0x80, v2, v3
.LBB9_366:
	s_or_b32 exec_lo, exec_lo, s27
.LBB9_367:
	s_delay_alu instid0(SALU_CYCLE_1)
	s_or_b32 exec_lo, exec_lo, s25
	s_mov_b32 s25, 0
	global_store_b8 v[6:7], v5, off
.LBB9_368:
	s_and_b32 vcc_lo, exec_lo, s25
	s_cbranch_vccz .LBB9_378
; %bb.369:
	s_wait_xcnt 0x0
	s_delay_alu instid0(VALU_DEP_3) | instskip(SKIP_1) | instid1(VALU_DEP_1)
	v_cvt_f32_f64_e32 v2, v[0:1]
	s_mov_b32 s25, exec_lo
                                        ; implicit-def: $vgpr3
	v_and_b32_e32 v5, 0x7fffffff, v2
	s_delay_alu instid0(VALU_DEP_1)
	v_cmpx_gt_u32_e32 0x43f00000, v5
	s_xor_b32 s25, exec_lo, s25
	s_cbranch_execz .LBB9_375
; %bb.370:
	s_mov_b32 s26, exec_lo
                                        ; implicit-def: $vgpr3
	v_cmpx_lt_u32_e32 0x3c7fffff, v5
	s_xor_b32 s26, exec_lo, s26
; %bb.371:
	v_bfe_u32 v3, v2, 20, 1
	s_delay_alu instid0(VALU_DEP_1) | instskip(NEXT) | instid1(VALU_DEP_1)
	v_add3_u32 v3, v2, v3, 0x407ffff
	v_and_b32_e32 v5, 0xff00000, v3
	v_lshrrev_b32_e32 v3, 20, v3
	s_delay_alu instid0(VALU_DEP_2) | instskip(NEXT) | instid1(VALU_DEP_2)
	v_cmp_ne_u32_e32 vcc_lo, 0x7f00000, v5
	v_cndmask_b32_e32 v3, 0x7e, v3, vcc_lo
; %bb.372:
	s_and_not1_saveexec_b32 s26, s26
; %bb.373:
	v_add_f32_e64 v3, 0x46800000, |v2|
; %bb.374:
	s_or_b32 exec_lo, exec_lo, s26
                                        ; implicit-def: $vgpr5
.LBB9_375:
	s_and_not1_saveexec_b32 s25, s25
; %bb.376:
	v_mov_b32_e32 v3, 0x7f
	v_cmp_lt_u32_e32 vcc_lo, 0x7f800000, v5
	s_delay_alu instid0(VALU_DEP_2)
	v_cndmask_b32_e32 v3, 0x7e, v3, vcc_lo
; %bb.377:
	s_or_b32 exec_lo, exec_lo, s25
	v_lshrrev_b32_e32 v2, 24, v2
	s_delay_alu instid0(VALU_DEP_1)
	v_and_or_b32 v2, 0x80, v2, v3
	global_store_b8 v[6:7], v2, off
.LBB9_378:
	s_mov_b32 s25, 0
.LBB9_379:
	s_delay_alu instid0(SALU_CYCLE_1)
	s_and_not1_b32 vcc_lo, exec_lo, s25
	s_cbranch_vccnz .LBB9_389
; %bb.380:
	s_wait_xcnt 0x0
	s_delay_alu instid0(VALU_DEP_3) | instskip(SKIP_1) | instid1(VALU_DEP_1)
	v_cvt_f32_f64_e32 v2, v[0:1]
	s_mov_b32 s25, exec_lo
                                        ; implicit-def: $vgpr3
	v_and_b32_e32 v5, 0x7fffffff, v2
	s_delay_alu instid0(VALU_DEP_1)
	v_cmpx_gt_u32_e32 0x47800000, v5
	s_xor_b32 s25, exec_lo, s25
	s_cbranch_execz .LBB9_386
; %bb.381:
	s_mov_b32 s26, exec_lo
                                        ; implicit-def: $vgpr3
	v_cmpx_lt_u32_e32 0x387fffff, v5
	s_xor_b32 s26, exec_lo, s26
; %bb.382:
	v_bfe_u32 v3, v2, 21, 1
	s_delay_alu instid0(VALU_DEP_1) | instskip(NEXT) | instid1(VALU_DEP_1)
	v_add3_u32 v3, v2, v3, 0x80fffff
	v_lshrrev_b32_e32 v3, 21, v3
; %bb.383:
	s_and_not1_saveexec_b32 s26, s26
; %bb.384:
	v_add_f32_e64 v3, 0x43000000, |v2|
; %bb.385:
	s_or_b32 exec_lo, exec_lo, s26
                                        ; implicit-def: $vgpr5
.LBB9_386:
	s_and_not1_saveexec_b32 s25, s25
; %bb.387:
	v_mov_b32_e32 v3, 0x7f
	v_cmp_lt_u32_e32 vcc_lo, 0x7f800000, v5
	s_delay_alu instid0(VALU_DEP_2)
	v_cndmask_b32_e32 v3, 0x7c, v3, vcc_lo
; %bb.388:
	s_or_b32 exec_lo, exec_lo, s25
	v_lshrrev_b32_e32 v2, 24, v2
	s_delay_alu instid0(VALU_DEP_1)
	v_and_or_b32 v2, 0x80, v2, v3
	global_store_b8 v[6:7], v2, off
.LBB9_389:
	s_mov_b32 s26, 0
	s_mov_b32 s25, -1
.LBB9_390:
	s_and_not1_b32 vcc_lo, exec_lo, s26
	s_cbranch_vccnz .LBB9_398
; %bb.391:
	s_cmp_gt_i32 s24, 14
	s_mov_b32 s26, -1
	s_cbranch_scc0 .LBB9_395
; %bb.392:
	s_cmp_eq_u32 s24, 15
	s_mov_b32 s0, -1
	s_cbranch_scc0 .LBB9_394
; %bb.393:
	s_wait_xcnt 0x0
	s_delay_alu instid0(VALU_DEP_3) | instskip(SKIP_2) | instid1(VALU_DEP_1)
	v_cvt_f32_f64_e32 v2, v[0:1]
	s_mov_b32 s25, -1
	s_mov_b32 s0, 0
	v_bfe_u32 v3, v2, 16, 1
	v_cmp_o_f32_e32 vcc_lo, v2, v2
	s_delay_alu instid0(VALU_DEP_2) | instskip(NEXT) | instid1(VALU_DEP_1)
	v_add3_u32 v3, v2, v3, 0x7fff
	v_lshrrev_b32_e32 v3, 16, v3
	s_delay_alu instid0(VALU_DEP_1)
	v_cndmask_b32_e32 v2, 0x7fc0, v3, vcc_lo
	global_store_b16 v[6:7], v2, off
.LBB9_394:
	s_mov_b32 s26, 0
.LBB9_395:
	s_delay_alu instid0(SALU_CYCLE_1)
	s_and_b32 vcc_lo, exec_lo, s26
	s_cbranch_vccz .LBB9_398
; %bb.396:
	s_cmp_eq_u32 s24, 11
	s_mov_b32 s0, -1
	s_cbranch_scc0 .LBB9_398
; %bb.397:
	s_delay_alu instid0(VALU_DEP_3)
	v_cmp_neq_f64_e32 vcc_lo, 0, v[0:1]
	s_mov_b32 s25, -1
	s_mov_b32 s0, 0
	s_wait_xcnt 0x0
	v_cndmask_b32_e64 v2, 0, 1, vcc_lo
	global_store_b8 v[6:7], v2, off
.LBB9_398:
	s_mov_b32 s24, 0
.LBB9_399:
	s_delay_alu instid0(SALU_CYCLE_1)
	s_and_b32 vcc_lo, exec_lo, s24
	s_cbranch_vccz .LBB9_438
; %bb.400:
	s_and_b32 s23, 0xffff, s23
	s_mov_b32 s24, -1
	s_cmp_lt_i32 s23, 5
	s_cbranch_scc1 .LBB9_421
; %bb.401:
	s_cmp_lt_i32 s23, 8
	s_cbranch_scc1 .LBB9_411
; %bb.402:
	s_cmp_lt_i32 s23, 9
	s_cbranch_scc1 .LBB9_408
; %bb.403:
	s_cmp_gt_i32 s23, 9
	s_cbranch_scc0 .LBB9_405
; %bb.404:
	s_wait_xcnt 0x0
	v_mov_b32_e32 v2, 0
	s_mov_b32 s24, 0
	s_delay_alu instid0(VALU_DEP_1)
	v_mov_b32_e32 v3, v2
	global_store_b128 v[6:7], v[0:3], off
.LBB9_405:
	s_and_not1_b32 vcc_lo, exec_lo, s24
	s_cbranch_vccnz .LBB9_407
; %bb.406:
	s_wait_xcnt 0x0
	s_delay_alu instid0(VALU_DEP_3)
	v_cvt_f32_f64_e32 v2, v[0:1]
	v_mov_b32_e32 v3, 0
	global_store_b64 v[6:7], v[2:3], off
.LBB9_407:
	s_mov_b32 s24, 0
.LBB9_408:
	s_delay_alu instid0(SALU_CYCLE_1)
	s_and_not1_b32 vcc_lo, exec_lo, s24
	s_cbranch_vccnz .LBB9_410
; %bb.409:
	s_wait_xcnt 0x0
	s_delay_alu instid0(VALU_DEP_3) | instskip(SKIP_2) | instid1(VALU_DEP_3)
	v_and_or_b32 v2, 0x1ff, v1, v0
	v_lshrrev_b32_e32 v3, 8, v1
	v_bfe_u32 v5, v1, 20, 11
	v_cmp_ne_u32_e32 vcc_lo, 0, v2
	s_delay_alu instid0(VALU_DEP_2) | instskip(SKIP_2) | instid1(VALU_DEP_1)
	v_sub_nc_u32_e32 v8, 0x3f1, v5
	v_add_nc_u32_e32 v5, 0xfffffc10, v5
	v_cndmask_b32_e64 v2, 0, 1, vcc_lo
	v_and_or_b32 v2, 0xffe, v3, v2
	s_delay_alu instid0(VALU_DEP_4) | instskip(NEXT) | instid1(VALU_DEP_2)
	v_med3_i32 v3, v8, 0, 13
	v_or_b32_e32 v8, 0x1000, v2
	s_delay_alu instid0(VALU_DEP_1) | instskip(NEXT) | instid1(VALU_DEP_1)
	v_lshrrev_b32_e32 v9, v3, v8
	v_lshlrev_b32_e32 v3, v3, v9
	s_delay_alu instid0(VALU_DEP_1) | instskip(SKIP_3) | instid1(VALU_DEP_2)
	v_cmp_ne_u32_e32 vcc_lo, v3, v8
	v_lshl_or_b32 v8, v5, 12, v2
	v_cndmask_b32_e64 v3, 0, 1, vcc_lo
	v_cmp_gt_i32_e32 vcc_lo, 1, v5
	v_or_b32_e32 v3, v9, v3
	s_delay_alu instid0(VALU_DEP_1) | instskip(NEXT) | instid1(VALU_DEP_1)
	v_cndmask_b32_e32 v3, v8, v3, vcc_lo
	v_dual_lshrrev_b32 v3, 2, v3 :: v_dual_bitop2_b32 v8, 7, v3 bitop3:0x40
	s_delay_alu instid0(VALU_DEP_1) | instskip(SKIP_4) | instid1(VALU_DEP_2)
	v_cmp_lt_i32_e32 vcc_lo, 5, v8
	v_cndmask_b32_e64 v9, 0, 1, vcc_lo
	v_cmp_eq_u32_e32 vcc_lo, 3, v8
	v_cndmask_b32_e64 v8, 0, 1, vcc_lo
	v_cmp_ne_u32_e32 vcc_lo, 0, v2
	v_or_b32_e32 v8, v8, v9
	v_mov_b32_e32 v9, 0x7e00
	s_delay_alu instid0(VALU_DEP_1) | instskip(SKIP_1) | instid1(VALU_DEP_2)
	v_dual_cndmask_b32 v2, 0x7c00, v9 :: v_dual_add_nc_u32 v3, v3, v8
	v_cmp_gt_i32_e32 vcc_lo, 31, v5
	v_dual_cndmask_b32 v3, 0x7c00, v3 :: v_dual_lshrrev_b32 v8, 16, v1
	v_cmp_eq_u32_e32 vcc_lo, 0x40f, v5
	s_delay_alu instid0(VALU_DEP_2) | instskip(NEXT) | instid1(VALU_DEP_3)
	v_cndmask_b32_e32 v2, v3, v2, vcc_lo
	v_and_b32_e32 v3, 0x8000, v8
	s_delay_alu instid0(VALU_DEP_1)
	v_bitop3_b32 v2, v3, 0xffff, v2 bitop3:0xc8
	global_store_b32 v[6:7], v2, off
.LBB9_410:
	s_mov_b32 s24, 0
.LBB9_411:
	s_delay_alu instid0(SALU_CYCLE_1)
	s_and_not1_b32 vcc_lo, exec_lo, s24
	s_cbranch_vccnz .LBB9_420
; %bb.412:
	s_cmp_lt_i32 s23, 6
	s_mov_b32 s24, -1
	s_cbranch_scc1 .LBB9_418
; %bb.413:
	s_cmp_gt_i32 s23, 6
	s_cbranch_scc0 .LBB9_415
; %bb.414:
	s_mov_b32 s24, 0
	global_store_b64 v[6:7], v[0:1], off
.LBB9_415:
	s_and_not1_b32 vcc_lo, exec_lo, s24
	s_cbranch_vccnz .LBB9_417
; %bb.416:
	s_wait_xcnt 0x0
	s_delay_alu instid0(VALU_DEP_3)
	v_cvt_f32_f64_e32 v2, v[0:1]
	global_store_b32 v[6:7], v2, off
.LBB9_417:
	s_mov_b32 s24, 0
.LBB9_418:
	s_delay_alu instid0(SALU_CYCLE_1)
	s_and_not1_b32 vcc_lo, exec_lo, s24
	s_cbranch_vccnz .LBB9_420
; %bb.419:
	s_wait_xcnt 0x0
	s_delay_alu instid0(VALU_DEP_3) | instskip(SKIP_2) | instid1(VALU_DEP_3)
	v_and_or_b32 v2, 0x1ff, v1, v0
	v_lshrrev_b32_e32 v3, 8, v1
	v_bfe_u32 v5, v1, 20, 11
	v_cmp_ne_u32_e32 vcc_lo, 0, v2
	s_delay_alu instid0(VALU_DEP_2) | instskip(SKIP_2) | instid1(VALU_DEP_1)
	v_sub_nc_u32_e32 v8, 0x3f1, v5
	v_add_nc_u32_e32 v5, 0xfffffc10, v5
	v_cndmask_b32_e64 v2, 0, 1, vcc_lo
	v_and_or_b32 v2, 0xffe, v3, v2
	s_delay_alu instid0(VALU_DEP_4) | instskip(NEXT) | instid1(VALU_DEP_2)
	v_med3_i32 v3, v8, 0, 13
	v_or_b32_e32 v8, 0x1000, v2
	s_delay_alu instid0(VALU_DEP_1) | instskip(NEXT) | instid1(VALU_DEP_1)
	v_lshrrev_b32_e32 v9, v3, v8
	v_lshlrev_b32_e32 v3, v3, v9
	s_delay_alu instid0(VALU_DEP_1) | instskip(SKIP_3) | instid1(VALU_DEP_2)
	v_cmp_ne_u32_e32 vcc_lo, v3, v8
	v_lshl_or_b32 v8, v5, 12, v2
	v_cndmask_b32_e64 v3, 0, 1, vcc_lo
	v_cmp_gt_i32_e32 vcc_lo, 1, v5
	v_or_b32_e32 v3, v9, v3
	s_delay_alu instid0(VALU_DEP_1) | instskip(NEXT) | instid1(VALU_DEP_1)
	v_cndmask_b32_e32 v3, v8, v3, vcc_lo
	v_dual_lshrrev_b32 v3, 2, v3 :: v_dual_bitop2_b32 v8, 7, v3 bitop3:0x40
	s_delay_alu instid0(VALU_DEP_1) | instskip(SKIP_4) | instid1(VALU_DEP_2)
	v_cmp_lt_i32_e32 vcc_lo, 5, v8
	v_cndmask_b32_e64 v9, 0, 1, vcc_lo
	v_cmp_eq_u32_e32 vcc_lo, 3, v8
	v_cndmask_b32_e64 v8, 0, 1, vcc_lo
	v_cmp_ne_u32_e32 vcc_lo, 0, v2
	v_or_b32_e32 v8, v8, v9
	v_mov_b32_e32 v9, 0x7e00
	s_delay_alu instid0(VALU_DEP_1) | instskip(SKIP_1) | instid1(VALU_DEP_2)
	v_dual_cndmask_b32 v2, 0x7c00, v9 :: v_dual_add_nc_u32 v3, v3, v8
	v_cmp_gt_i32_e32 vcc_lo, 31, v5
	v_cndmask_b32_e32 v3, 0x7c00, v3, vcc_lo
	v_cmp_eq_u32_e32 vcc_lo, 0x40f, v5
	s_delay_alu instid0(VALU_DEP_2) | instskip(NEXT) | instid1(VALU_DEP_1)
	v_dual_cndmask_b32 v2, v3, v2 :: v_dual_lshrrev_b32 v3, 16, v1
	v_and_or_b32 v2, 0x8000, v3, v2
	global_store_b16 v[6:7], v2, off
.LBB9_420:
	s_mov_b32 s24, 0
.LBB9_421:
	s_delay_alu instid0(SALU_CYCLE_1)
	s_and_not1_b32 vcc_lo, exec_lo, s24
	s_cbranch_vccnz .LBB9_437
; %bb.422:
	s_cmp_lt_i32 s23, 2
	s_mov_b32 s24, -1
	s_cbranch_scc1 .LBB9_432
; %bb.423:
	s_cmp_lt_i32 s23, 3
	s_cbranch_scc1 .LBB9_429
; %bb.424:
	s_cmp_gt_i32 s23, 3
	s_cbranch_scc0 .LBB9_426
; %bb.425:
	s_wait_xcnt 0x0
	s_delay_alu instid0(VALU_DEP_3) | instskip(SKIP_1) | instid1(VALU_DEP_1)
	v_trunc_f64_e32 v[2:3], v[0:1]
	s_mov_b32 s24, 0
	v_ldexp_f64 v[8:9], v[2:3], 0xffffffe0
	s_delay_alu instid0(VALU_DEP_1) | instskip(NEXT) | instid1(VALU_DEP_1)
	v_floor_f64_e32 v[8:9], v[8:9]
	v_fmamk_f64 v[2:3], v[8:9], 0xc1f00000, v[2:3]
	v_cvt_i32_f64_e32 v9, v[8:9]
	s_delay_alu instid0(VALU_DEP_2)
	v_cvt_u32_f64_e32 v8, v[2:3]
	global_store_b64 v[6:7], v[8:9], off
.LBB9_426:
	s_and_not1_b32 vcc_lo, exec_lo, s24
	s_cbranch_vccnz .LBB9_428
; %bb.427:
	s_wait_xcnt 0x0
	s_delay_alu instid0(VALU_DEP_3)
	v_cvt_i32_f64_e32 v2, v[0:1]
	global_store_b32 v[6:7], v2, off
.LBB9_428:
	s_mov_b32 s24, 0
.LBB9_429:
	s_delay_alu instid0(SALU_CYCLE_1)
	s_and_not1_b32 vcc_lo, exec_lo, s24
	s_cbranch_vccnz .LBB9_431
; %bb.430:
	s_wait_xcnt 0x0
	s_delay_alu instid0(VALU_DEP_3)
	v_cvt_i32_f64_e32 v2, v[0:1]
	global_store_b16 v[6:7], v2, off
.LBB9_431:
	s_mov_b32 s24, 0
.LBB9_432:
	s_delay_alu instid0(SALU_CYCLE_1)
	s_and_not1_b32 vcc_lo, exec_lo, s24
	s_cbranch_vccnz .LBB9_437
; %bb.433:
	s_cmp_gt_i32 s23, 0
	s_mov_b32 s23, -1
	s_cbranch_scc0 .LBB9_435
; %bb.434:
	s_wait_xcnt 0x0
	s_delay_alu instid0(VALU_DEP_3)
	v_cvt_i32_f64_e32 v2, v[0:1]
	s_mov_b32 s23, 0
	global_store_b8 v[6:7], v2, off
.LBB9_435:
	s_and_not1_b32 vcc_lo, exec_lo, s23
	s_cbranch_vccnz .LBB9_437
; %bb.436:
	s_wait_xcnt 0x0
	s_delay_alu instid0(VALU_DEP_3) | instskip(NEXT) | instid1(VALU_DEP_1)
	v_trunc_f64_e32 v[0:1], v[0:1]
	v_ldexp_f64 v[2:3], v[0:1], 0xffffffe0
	s_delay_alu instid0(VALU_DEP_1) | instskip(NEXT) | instid1(VALU_DEP_1)
	v_floor_f64_e32 v[2:3], v[2:3]
	v_fmamk_f64 v[0:1], v[2:3], 0xc1f00000, v[0:1]
	s_delay_alu instid0(VALU_DEP_1)
	v_cvt_u32_f64_e32 v0, v[0:1]
	global_store_b8 v[6:7], v0, off
.LBB9_437:
	s_mov_b32 s25, -1
.LBB9_438:
	s_delay_alu instid0(SALU_CYCLE_1)
	s_and_not1_b32 vcc_lo, exec_lo, s25
	s_cbranch_vccnz .LBB9_440
; %bb.439:
	v_add_nc_u32_e32 v4, 0x80, v4
	s_mov_b32 s23, -1
	s_branch .LBB9_553
.LBB9_440:
	s_mov_b32 s23, 0
	s_branch .LBB9_552
.LBB9_441:
	s_mov_b32 s22, -1
                                        ; implicit-def: $vgpr6_vgpr7
.LBB9_442:
	s_mov_b32 s24, 0
.LBB9_443:
	s_delay_alu instid0(SALU_CYCLE_1)
	s_and_b32 vcc_lo, exec_lo, s24
	s_cbranch_vccz .LBB9_447
; %bb.444:
	s_cmp_eq_u32 s0, 29
	s_cbranch_scc0 .LBB9_446
; %bb.445:
	s_wait_loadcnt 0x0
	global_load_b64 v[6:7], v[0:1], off
	s_mov_b32 s23, -1
	s_mov_b32 s22, 0
	s_mov_b32 s24, 0
	s_wait_loadcnt 0x0
	v_cvt_f64_u32_e32 v[8:9], v7
	v_cvt_f64_u32_e32 v[6:7], v6
	s_delay_alu instid0(VALU_DEP_2) | instskip(NEXT) | instid1(VALU_DEP_1)
	v_ldexp_f64 v[8:9], v[8:9], 32
	v_add_f64_e32 v[6:7], v[8:9], v[6:7]
	s_branch .LBB9_448
.LBB9_446:
	s_mov_b32 s22, -1
                                        ; implicit-def: $vgpr6_vgpr7
.LBB9_447:
	s_mov_b32 s24, 0
.LBB9_448:
	s_delay_alu instid0(SALU_CYCLE_1)
	s_and_b32 vcc_lo, exec_lo, s24
	s_cbranch_vccz .LBB9_466
; %bb.449:
	s_cmp_lt_i32 s0, 27
	s_cbranch_scc1 .LBB9_452
; %bb.450:
	s_cmp_gt_i32 s0, 27
	s_cbranch_scc0 .LBB9_453
; %bb.451:
	global_load_b32 v3, v[0:1], off
	s_mov_b32 s23, 0
	s_wait_loadcnt 0x0
	v_cvt_f64_u32_e32 v[6:7], v3
	s_branch .LBB9_454
.LBB9_452:
	s_mov_b32 s23, -1
                                        ; implicit-def: $vgpr6_vgpr7
	s_branch .LBB9_457
.LBB9_453:
	s_mov_b32 s23, -1
                                        ; implicit-def: $vgpr6_vgpr7
.LBB9_454:
	s_delay_alu instid0(SALU_CYCLE_1)
	s_and_not1_b32 vcc_lo, exec_lo, s23
	s_cbranch_vccnz .LBB9_456
; %bb.455:
	global_load_u16 v3, v[0:1], off
	s_wait_loadcnt 0x0
	v_cvt_f64_u32_e32 v[6:7], v3
.LBB9_456:
	s_mov_b32 s23, 0
.LBB9_457:
	s_delay_alu instid0(SALU_CYCLE_1)
	s_and_not1_b32 vcc_lo, exec_lo, s23
	s_cbranch_vccnz .LBB9_465
; %bb.458:
	global_load_u8 v3, v[0:1], off
	s_mov_b32 s23, 0
	s_mov_b32 s24, exec_lo
	s_wait_loadcnt 0x0
	v_cmpx_lt_i16_e32 0x7f, v3
	s_xor_b32 s24, exec_lo, s24
	s_cbranch_execz .LBB9_479
; %bb.459:
	s_mov_b32 s23, -1
	s_mov_b32 s25, exec_lo
	v_cmpx_eq_u16_e32 0x80, v3
; %bb.460:
	s_xor_b32 s23, exec_lo, -1
; %bb.461:
	s_or_b32 exec_lo, exec_lo, s25
	s_delay_alu instid0(SALU_CYCLE_1)
	s_and_b32 s23, s23, exec_lo
	s_or_saveexec_b32 s24, s24
	v_mov_b64_e32 v[6:7], 0x7ff8000020000000
	s_xor_b32 exec_lo, exec_lo, s24
	s_cbranch_execnz .LBB9_480
.LBB9_462:
	s_or_b32 exec_lo, exec_lo, s24
	s_and_saveexec_b32 s24, s23
	s_cbranch_execz .LBB9_464
.LBB9_463:
	v_and_b32_e32 v5, 0xffff, v3
	s_delay_alu instid0(VALU_DEP_1) | instskip(SKIP_1) | instid1(VALU_DEP_2)
	v_and_b32_e32 v6, 7, v5
	v_bfe_u32 v9, v5, 3, 4
	v_clz_i32_u32_e32 v7, v6
	s_delay_alu instid0(VALU_DEP_2) | instskip(NEXT) | instid1(VALU_DEP_2)
	v_cmp_eq_u32_e32 vcc_lo, 0, v9
	v_min_u32_e32 v7, 32, v7
	s_delay_alu instid0(VALU_DEP_1) | instskip(NEXT) | instid1(VALU_DEP_1)
	v_subrev_nc_u32_e32 v8, 28, v7
	v_dual_lshlrev_b32 v5, v8, v5 :: v_dual_sub_nc_u32 v7, 29, v7
	s_delay_alu instid0(VALU_DEP_1) | instskip(NEXT) | instid1(VALU_DEP_1)
	v_dual_lshlrev_b32 v3, 24, v3 :: v_dual_bitop2_b32 v5, 7, v5 bitop3:0x40
	v_dual_cndmask_b32 v5, v6, v5, vcc_lo :: v_dual_cndmask_b32 v7, v9, v7, vcc_lo
	s_delay_alu instid0(VALU_DEP_2) | instskip(NEXT) | instid1(VALU_DEP_2)
	v_and_b32_e32 v3, 0x80000000, v3
	v_lshlrev_b32_e32 v5, 20, v5
	s_delay_alu instid0(VALU_DEP_3) | instskip(NEXT) | instid1(VALU_DEP_1)
	v_lshl_add_u32 v6, v7, 23, 0x3b800000
	v_or3_b32 v3, v3, v6, v5
	s_delay_alu instid0(VALU_DEP_1)
	v_cvt_f64_f32_e32 v[6:7], v3
.LBB9_464:
	s_or_b32 exec_lo, exec_lo, s24
.LBB9_465:
	s_mov_b32 s23, -1
.LBB9_466:
	s_mov_b32 s24, 0
.LBB9_467:
	s_delay_alu instid0(SALU_CYCLE_1)
	s_and_b32 vcc_lo, exec_lo, s24
	s_cbranch_vccz .LBB9_502
; %bb.468:
	s_cmp_gt_i32 s0, 22
	s_cbranch_scc0 .LBB9_478
; %bb.469:
	s_cmp_lt_i32 s0, 24
	s_cbranch_scc1 .LBB9_481
; %bb.470:
	s_cmp_gt_i32 s0, 24
	s_cbranch_scc0 .LBB9_482
; %bb.471:
	global_load_u8 v3, v[0:1], off
	s_mov_b32 s23, 0
	s_mov_b32 s24, exec_lo
	s_wait_loadcnt 0x0
	v_cmpx_lt_i16_e32 0x7f, v3
	s_xor_b32 s24, exec_lo, s24
	s_cbranch_execz .LBB9_494
; %bb.472:
	s_mov_b32 s23, -1
	s_mov_b32 s25, exec_lo
	v_cmpx_eq_u16_e32 0x80, v3
; %bb.473:
	s_xor_b32 s23, exec_lo, -1
; %bb.474:
	s_or_b32 exec_lo, exec_lo, s25
	s_delay_alu instid0(SALU_CYCLE_1)
	s_and_b32 s23, s23, exec_lo
	s_or_saveexec_b32 s24, s24
	v_mov_b64_e32 v[6:7], 0x7ff8000020000000
	s_xor_b32 exec_lo, exec_lo, s24
	s_cbranch_execnz .LBB9_495
.LBB9_475:
	s_or_b32 exec_lo, exec_lo, s24
	s_and_saveexec_b32 s24, s23
	s_cbranch_execz .LBB9_477
.LBB9_476:
	v_and_b32_e32 v5, 0xffff, v3
	s_delay_alu instid0(VALU_DEP_1) | instskip(SKIP_1) | instid1(VALU_DEP_2)
	v_and_b32_e32 v6, 3, v5
	v_bfe_u32 v9, v5, 2, 5
	v_clz_i32_u32_e32 v7, v6
	s_delay_alu instid0(VALU_DEP_2) | instskip(NEXT) | instid1(VALU_DEP_2)
	v_cmp_eq_u32_e32 vcc_lo, 0, v9
	v_min_u32_e32 v7, 32, v7
	s_delay_alu instid0(VALU_DEP_1) | instskip(NEXT) | instid1(VALU_DEP_1)
	v_subrev_nc_u32_e32 v8, 29, v7
	v_dual_lshlrev_b32 v5, v8, v5 :: v_dual_sub_nc_u32 v7, 30, v7
	s_delay_alu instid0(VALU_DEP_1) | instskip(NEXT) | instid1(VALU_DEP_1)
	v_dual_lshlrev_b32 v3, 24, v3 :: v_dual_bitop2_b32 v5, 3, v5 bitop3:0x40
	v_dual_cndmask_b32 v5, v6, v5, vcc_lo :: v_dual_cndmask_b32 v7, v9, v7, vcc_lo
	s_delay_alu instid0(VALU_DEP_2) | instskip(NEXT) | instid1(VALU_DEP_2)
	v_and_b32_e32 v3, 0x80000000, v3
	v_lshlrev_b32_e32 v5, 21, v5
	s_delay_alu instid0(VALU_DEP_3) | instskip(NEXT) | instid1(VALU_DEP_1)
	v_lshl_add_u32 v6, v7, 23, 0x37800000
	v_or3_b32 v3, v3, v6, v5
	s_delay_alu instid0(VALU_DEP_1)
	v_cvt_f64_f32_e32 v[6:7], v3
.LBB9_477:
	s_or_b32 exec_lo, exec_lo, s24
	s_mov_b32 s23, 0
	s_branch .LBB9_483
.LBB9_478:
	s_mov_b32 s24, -1
                                        ; implicit-def: $vgpr6_vgpr7
	s_branch .LBB9_489
.LBB9_479:
	s_or_saveexec_b32 s24, s24
	v_mov_b64_e32 v[6:7], 0x7ff8000020000000
	s_xor_b32 exec_lo, exec_lo, s24
	s_cbranch_execz .LBB9_462
.LBB9_480:
	v_cmp_ne_u16_e32 vcc_lo, 0, v3
	v_mov_b64_e32 v[6:7], 0
	s_and_not1_b32 s23, s23, exec_lo
	s_and_b32 s25, vcc_lo, exec_lo
	s_delay_alu instid0(SALU_CYCLE_1)
	s_or_b32 s23, s23, s25
	s_or_b32 exec_lo, exec_lo, s24
	s_and_saveexec_b32 s24, s23
	s_cbranch_execnz .LBB9_463
	s_branch .LBB9_464
.LBB9_481:
	s_mov_b32 s23, -1
                                        ; implicit-def: $vgpr6_vgpr7
	s_branch .LBB9_486
.LBB9_482:
	s_mov_b32 s23, -1
                                        ; implicit-def: $vgpr6_vgpr7
.LBB9_483:
	s_delay_alu instid0(SALU_CYCLE_1)
	s_and_b32 vcc_lo, exec_lo, s23
	s_cbranch_vccz .LBB9_485
; %bb.484:
	global_load_u8 v3, v[0:1], off
	s_wait_loadcnt 0x0
	v_lshlrev_b32_e32 v3, 24, v3
	s_delay_alu instid0(VALU_DEP_1) | instskip(NEXT) | instid1(VALU_DEP_1)
	v_and_b32_e32 v5, 0x7f000000, v3
	v_clz_i32_u32_e32 v6, v5
	v_cmp_ne_u32_e32 vcc_lo, 0, v5
	v_add_nc_u32_e32 v8, 0x1000000, v5
	s_delay_alu instid0(VALU_DEP_3) | instskip(NEXT) | instid1(VALU_DEP_1)
	v_min_u32_e32 v6, 32, v6
	v_sub_nc_u32_e64 v6, v6, 4 clamp
	s_delay_alu instid0(VALU_DEP_1) | instskip(NEXT) | instid1(VALU_DEP_1)
	v_dual_lshlrev_b32 v7, v6, v5 :: v_dual_lshlrev_b32 v6, 23, v6
	v_lshrrev_b32_e32 v7, 4, v7
	s_delay_alu instid0(VALU_DEP_1) | instskip(NEXT) | instid1(VALU_DEP_1)
	v_dual_sub_nc_u32 v6, v7, v6 :: v_dual_ashrrev_i32 v7, 8, v8
	v_add_nc_u32_e32 v6, 0x3c000000, v6
	s_delay_alu instid0(VALU_DEP_1) | instskip(NEXT) | instid1(VALU_DEP_1)
	v_and_or_b32 v6, 0x7f800000, v7, v6
	v_cndmask_b32_e32 v5, 0, v6, vcc_lo
	s_delay_alu instid0(VALU_DEP_1) | instskip(NEXT) | instid1(VALU_DEP_1)
	v_and_or_b32 v3, 0x80000000, v3, v5
	v_cvt_f64_f32_e32 v[6:7], v3
.LBB9_485:
	s_mov_b32 s23, 0
.LBB9_486:
	s_delay_alu instid0(SALU_CYCLE_1)
	s_and_not1_b32 vcc_lo, exec_lo, s23
	s_cbranch_vccnz .LBB9_488
; %bb.487:
	global_load_u8 v3, v[0:1], off
	s_wait_loadcnt 0x0
	v_lshlrev_b32_e32 v5, 25, v3
	v_lshlrev_b16 v3, 8, v3
	s_delay_alu instid0(VALU_DEP_1) | instskip(NEXT) | instid1(VALU_DEP_3)
	v_and_or_b32 v7, 0x7f00, v3, 0.5
	v_lshrrev_b32_e32 v6, 4, v5
	v_bfe_i32 v3, v3, 0, 16
	s_delay_alu instid0(VALU_DEP_3) | instskip(NEXT) | instid1(VALU_DEP_3)
	v_add_f32_e32 v7, -0.5, v7
	v_or_b32_e32 v6, 0x70000000, v6
	s_delay_alu instid0(VALU_DEP_1) | instskip(SKIP_1) | instid1(VALU_DEP_2)
	v_mul_f32_e32 v6, 0x7800000, v6
	v_cmp_gt_u32_e32 vcc_lo, 0x8000000, v5
	v_cndmask_b32_e32 v5, v6, v7, vcc_lo
	s_delay_alu instid0(VALU_DEP_1) | instskip(NEXT) | instid1(VALU_DEP_1)
	v_and_or_b32 v3, 0x80000000, v3, v5
	v_cvt_f64_f32_e32 v[6:7], v3
.LBB9_488:
	s_mov_b32 s24, 0
	s_mov_b32 s23, -1
.LBB9_489:
	s_and_not1_b32 vcc_lo, exec_lo, s24
	s_cbranch_vccnz .LBB9_502
; %bb.490:
	s_cmp_gt_i32 s0, 14
	s_cbranch_scc0 .LBB9_493
; %bb.491:
	s_cmp_eq_u32 s0, 15
	s_cbranch_scc0 .LBB9_496
; %bb.492:
	global_load_u16 v3, v[0:1], off
	s_mov_b32 s23, -1
	s_mov_b32 s22, 0
	s_wait_loadcnt 0x0
	v_lshlrev_b32_e32 v3, 16, v3
	s_delay_alu instid0(VALU_DEP_1)
	v_cvt_f64_f32_e32 v[6:7], v3
	s_branch .LBB9_497
.LBB9_493:
	s_mov_b32 s24, -1
                                        ; implicit-def: $vgpr6_vgpr7
	s_branch .LBB9_498
.LBB9_494:
	s_or_saveexec_b32 s24, s24
	v_mov_b64_e32 v[6:7], 0x7ff8000020000000
	s_xor_b32 exec_lo, exec_lo, s24
	s_cbranch_execz .LBB9_475
.LBB9_495:
	v_cmp_ne_u16_e32 vcc_lo, 0, v3
	v_mov_b64_e32 v[6:7], 0
	s_and_not1_b32 s23, s23, exec_lo
	s_and_b32 s25, vcc_lo, exec_lo
	s_delay_alu instid0(SALU_CYCLE_1)
	s_or_b32 s23, s23, s25
	s_or_b32 exec_lo, exec_lo, s24
	s_and_saveexec_b32 s24, s23
	s_cbranch_execnz .LBB9_476
	s_branch .LBB9_477
.LBB9_496:
	s_mov_b32 s22, -1
                                        ; implicit-def: $vgpr6_vgpr7
.LBB9_497:
	s_mov_b32 s24, 0
.LBB9_498:
	s_delay_alu instid0(SALU_CYCLE_1)
	s_and_b32 vcc_lo, exec_lo, s24
	s_cbranch_vccz .LBB9_502
; %bb.499:
	s_cmp_eq_u32 s0, 11
	s_cbranch_scc0 .LBB9_501
; %bb.500:
	global_load_u8 v3, v[0:1], off
	s_wait_loadcnt 0x1
	v_mov_b32_e32 v6, 0
	s_mov_b32 s22, 0
	s_mov_b32 s23, -1
	s_wait_loadcnt 0x0
	v_cmp_ne_u16_e32 vcc_lo, 0, v3
	v_cndmask_b32_e64 v7, 0, 0x3ff00000, vcc_lo
	s_branch .LBB9_502
.LBB9_501:
	s_mov_b32 s22, -1
                                        ; implicit-def: $vgpr6_vgpr7
.LBB9_502:
	s_branch .LBB9_300
.LBB9_503:
	s_cmp_lt_i32 s0, 5
	s_cbranch_scc1 .LBB9_508
; %bb.504:
	s_cmp_lt_i32 s0, 8
	s_cbranch_scc1 .LBB9_509
; %bb.505:
	;; [unrolled: 3-line block ×3, first 2 shown]
	s_cmp_gt_i32 s0, 9
	s_cbranch_scc0 .LBB9_511
; %bb.507:
	s_wait_loadcnt 0x0
	global_load_b64 v[6:7], v[0:1], off
	s_mov_b32 s23, 0
	s_branch .LBB9_512
.LBB9_508:
	s_mov_b32 s23, -1
                                        ; implicit-def: $vgpr6_vgpr7
	s_branch .LBB9_530
.LBB9_509:
	s_mov_b32 s23, -1
                                        ; implicit-def: $vgpr6_vgpr7
	s_branch .LBB9_518
.LBB9_510:
	s_mov_b32 s23, -1
                                        ; implicit-def: $vgpr6_vgpr7
	s_branch .LBB9_515
.LBB9_511:
	s_mov_b32 s23, -1
                                        ; implicit-def: $vgpr6_vgpr7
.LBB9_512:
	s_delay_alu instid0(SALU_CYCLE_1)
	s_and_not1_b32 vcc_lo, exec_lo, s23
	s_cbranch_vccnz .LBB9_514
; %bb.513:
	global_load_b32 v3, v[0:1], off
	s_wait_loadcnt 0x0
	v_cvt_f64_f32_e32 v[6:7], v3
.LBB9_514:
	s_mov_b32 s23, 0
.LBB9_515:
	s_delay_alu instid0(SALU_CYCLE_1)
	s_and_not1_b32 vcc_lo, exec_lo, s23
	s_cbranch_vccnz .LBB9_517
; %bb.516:
	global_load_b32 v3, v[0:1], off
	s_wait_loadcnt 0x0
	v_cvt_f32_f16_e32 v3, v3
	s_delay_alu instid0(VALU_DEP_1)
	v_cvt_f64_f32_e32 v[6:7], v3
.LBB9_517:
	s_mov_b32 s23, 0
.LBB9_518:
	s_delay_alu instid0(SALU_CYCLE_1)
	s_and_not1_b32 vcc_lo, exec_lo, s23
	s_cbranch_vccnz .LBB9_529
; %bb.519:
	s_cmp_lt_i32 s0, 6
	s_cbranch_scc1 .LBB9_522
; %bb.520:
	s_cmp_gt_i32 s0, 6
	s_cbranch_scc0 .LBB9_523
; %bb.521:
	s_wait_loadcnt 0x0
	global_load_b64 v[6:7], v[0:1], off
	s_mov_b32 s23, 0
	s_branch .LBB9_524
.LBB9_522:
	s_mov_b32 s23, -1
                                        ; implicit-def: $vgpr6_vgpr7
	s_branch .LBB9_527
.LBB9_523:
	s_mov_b32 s23, -1
                                        ; implicit-def: $vgpr6_vgpr7
.LBB9_524:
	s_delay_alu instid0(SALU_CYCLE_1)
	s_and_not1_b32 vcc_lo, exec_lo, s23
	s_cbranch_vccnz .LBB9_526
; %bb.525:
	global_load_b32 v3, v[0:1], off
	s_wait_loadcnt 0x0
	v_cvt_f64_f32_e32 v[6:7], v3
.LBB9_526:
	s_mov_b32 s23, 0
.LBB9_527:
	s_delay_alu instid0(SALU_CYCLE_1)
	s_and_not1_b32 vcc_lo, exec_lo, s23
	s_cbranch_vccnz .LBB9_529
; %bb.528:
	global_load_u16 v3, v[0:1], off
	s_wait_loadcnt 0x0
	v_cvt_f32_f16_e32 v3, v3
	s_delay_alu instid0(VALU_DEP_1)
	v_cvt_f64_f32_e32 v[6:7], v3
.LBB9_529:
	s_mov_b32 s23, 0
.LBB9_530:
	s_delay_alu instid0(SALU_CYCLE_1)
	s_and_not1_b32 vcc_lo, exec_lo, s23
	s_cbranch_vccnz .LBB9_550
; %bb.531:
	s_cmp_lt_i32 s0, 2
	s_cbranch_scc1 .LBB9_535
; %bb.532:
	s_cmp_lt_i32 s0, 3
	s_cbranch_scc1 .LBB9_536
; %bb.533:
	s_cmp_gt_i32 s0, 3
	s_cbranch_scc0 .LBB9_537
; %bb.534:
	s_wait_loadcnt 0x0
	global_load_b64 v[6:7], v[0:1], off
	s_mov_b32 s23, 0
	s_wait_loadcnt 0x0
	v_cvt_f64_i32_e32 v[8:9], v7
	v_cvt_f64_u32_e32 v[6:7], v6
	s_delay_alu instid0(VALU_DEP_2) | instskip(NEXT) | instid1(VALU_DEP_1)
	v_ldexp_f64 v[8:9], v[8:9], 32
	v_add_f64_e32 v[6:7], v[8:9], v[6:7]
	s_branch .LBB9_538
.LBB9_535:
	s_mov_b32 s23, -1
                                        ; implicit-def: $vgpr6_vgpr7
	s_branch .LBB9_544
.LBB9_536:
	s_mov_b32 s23, -1
                                        ; implicit-def: $vgpr6_vgpr7
	s_branch .LBB9_541
.LBB9_537:
	s_mov_b32 s23, -1
                                        ; implicit-def: $vgpr6_vgpr7
.LBB9_538:
	s_delay_alu instid0(SALU_CYCLE_1)
	s_and_not1_b32 vcc_lo, exec_lo, s23
	s_cbranch_vccnz .LBB9_540
; %bb.539:
	global_load_b32 v3, v[0:1], off
	s_wait_loadcnt 0x0
	v_cvt_f64_i32_e32 v[6:7], v3
.LBB9_540:
	s_mov_b32 s23, 0
.LBB9_541:
	s_delay_alu instid0(SALU_CYCLE_1)
	s_and_not1_b32 vcc_lo, exec_lo, s23
	s_cbranch_vccnz .LBB9_543
; %bb.542:
	global_load_i16 v3, v[0:1], off
	s_wait_loadcnt 0x0
	v_cvt_f64_i32_e32 v[6:7], v3
.LBB9_543:
	s_mov_b32 s23, 0
.LBB9_544:
	s_delay_alu instid0(SALU_CYCLE_1)
	s_and_not1_b32 vcc_lo, exec_lo, s23
	s_cbranch_vccnz .LBB9_550
; %bb.545:
	s_cmp_gt_i32 s0, 0
	s_mov_b32 s0, 0
	s_cbranch_scc0 .LBB9_547
; %bb.546:
	global_load_i8 v3, v[0:1], off
	s_wait_loadcnt 0x0
	v_cvt_f64_i32_e32 v[6:7], v3
	s_branch .LBB9_548
.LBB9_547:
	s_mov_b32 s0, -1
                                        ; implicit-def: $vgpr6_vgpr7
.LBB9_548:
	s_delay_alu instid0(SALU_CYCLE_1)
	s_and_not1_b32 vcc_lo, exec_lo, s0
	s_cbranch_vccnz .LBB9_550
; %bb.549:
	global_load_u8 v0, v[0:1], off
	s_wait_loadcnt 0x0
	v_cvt_f64_u32_e32 v[6:7], v0
.LBB9_550:
	s_branch .LBB9_301
.LBB9_551:
	s_mov_b32 s23, 0
	s_mov_b32 s0, s39
.LBB9_552:
                                        ; implicit-def: $vgpr4
.LBB9_553:
	s_and_not1_b32 s24, s39, exec_lo
	s_and_b32 s0, s0, exec_lo
	s_and_not1_b32 s25, s40, exec_lo
	s_and_b32 s22, s22, exec_lo
	s_or_b32 s43, s24, s0
	s_or_b32 s42, s25, s22
	s_or_not1_b32 s0, s23, exec_lo
.LBB9_554:
	s_wait_xcnt 0x0
	s_or_b32 exec_lo, exec_lo, s44
	s_mov_b32 s23, 0
	s_mov_b32 s22, 0
	;; [unrolled: 1-line block ×3, first 2 shown]
                                        ; implicit-def: $vgpr0_vgpr1
                                        ; implicit-def: $vgpr2
                                        ; implicit-def: $vgpr6_vgpr7
	s_and_saveexec_b32 s44, s0
	s_cbranch_execz .LBB9_939
; %bb.555:
	s_mov_b32 s25, -1
	s_mov_b32 s0, s42
	s_mov_b32 s26, s43
	s_mov_b32 s45, exec_lo
	v_cmpx_gt_i32_e64 s36, v4
	s_cbranch_execz .LBB9_836
; %bb.556:
	s_and_not1_b32 vcc_lo, exec_lo, s31
	s_cbranch_vccnz .LBB9_562
; %bb.557:
	s_and_not1_b32 vcc_lo, exec_lo, s38
	s_cbranch_vccnz .LBB9_563
; %bb.558:
	s_add_co_i32 s0, s37, 1
	s_cmp_eq_u32 s29, 2
	s_cbranch_scc1 .LBB9_564
; %bb.559:
	v_dual_mov_b32 v2, 0 :: v_dual_mov_b32 v0, 0
	v_mov_b32_e32 v1, v4
	s_and_b32 s22, s0, 28
	s_mov_b64 s[24:25], s[2:3]
	s_mov_b64 s[26:27], s[20:21]
.LBB9_560:                              ; =>This Inner Loop Header: Depth=1
	s_clause 0x1
	s_load_b256 s[48:55], s[24:25], 0x4
	s_load_b128 s[64:67], s[24:25], 0x24
	s_load_b256 s[56:63], s[26:27], 0x0
	s_add_co_i32 s23, s23, 4
	s_wait_xcnt 0x0
	s_add_nc_u64 s[24:25], s[24:25], 48
	s_cmp_eq_u32 s22, s23
	s_add_nc_u64 s[26:27], s[26:27], 32
	s_wait_kmcnt 0x0
	v_mul_hi_u32 v3, s49, v1
	s_delay_alu instid0(VALU_DEP_1) | instskip(NEXT) | instid1(VALU_DEP_1)
	v_add_nc_u32_e32 v3, v1, v3
	v_lshrrev_b32_e32 v3, s50, v3
	s_delay_alu instid0(VALU_DEP_1) | instskip(NEXT) | instid1(VALU_DEP_1)
	v_mul_hi_u32 v5, s52, v3
	v_add_nc_u32_e32 v5, v3, v5
	s_delay_alu instid0(VALU_DEP_1) | instskip(SKIP_1) | instid1(VALU_DEP_1)
	v_lshrrev_b32_e32 v5, s53, v5
	s_wait_loadcnt 0x0
	v_mul_hi_u32 v6, s55, v5
	s_delay_alu instid0(VALU_DEP_1) | instskip(SKIP_1) | instid1(VALU_DEP_1)
	v_add_nc_u32_e32 v6, v5, v6
	v_mul_lo_u32 v7, v3, s48
	v_sub_nc_u32_e32 v1, v1, v7
	v_mul_lo_u32 v7, v5, s51
	s_delay_alu instid0(VALU_DEP_4) | instskip(NEXT) | instid1(VALU_DEP_3)
	v_lshrrev_b32_e32 v6, s64, v6
	v_mad_u32 v0, v1, s57, v0
	v_mad_u32 v1, v1, s56, v2
	s_delay_alu instid0(VALU_DEP_4) | instskip(NEXT) | instid1(VALU_DEP_4)
	v_sub_nc_u32_e32 v2, v3, v7
	v_mul_hi_u32 v8, s66, v6
	v_mul_lo_u32 v3, v6, s54
	s_delay_alu instid0(VALU_DEP_3) | instskip(SKIP_1) | instid1(VALU_DEP_3)
	v_mad_u32 v0, v2, s59, v0
	v_mad_u32 v2, v2, s58, v1
	v_dual_add_nc_u32 v7, v6, v8 :: v_dual_sub_nc_u32 v3, v5, v3
	s_delay_alu instid0(VALU_DEP_1) | instskip(NEXT) | instid1(VALU_DEP_2)
	v_lshrrev_b32_e32 v1, s67, v7
	v_mad_u32 v0, v3, s61, v0
	s_delay_alu instid0(VALU_DEP_4) | instskip(NEXT) | instid1(VALU_DEP_3)
	v_mad_u32 v2, v3, s60, v2
	v_mul_lo_u32 v5, v1, s65
	s_delay_alu instid0(VALU_DEP_1) | instskip(NEXT) | instid1(VALU_DEP_1)
	v_sub_nc_u32_e32 v3, v6, v5
	v_mad_u32 v0, v3, s63, v0
	s_delay_alu instid0(VALU_DEP_4)
	v_mad_u32 v2, v3, s62, v2
	s_cbranch_scc0 .LBB9_560
; %bb.561:
	s_delay_alu instid0(VALU_DEP_2)
	v_mov_b32_e32 v3, v0
	s_branch .LBB9_565
.LBB9_562:
	s_mov_b32 s0, -1
                                        ; implicit-def: $vgpr0
                                        ; implicit-def: $vgpr2
	s_branch .LBB9_570
.LBB9_563:
	v_dual_mov_b32 v0, 0 :: v_dual_mov_b32 v2, 0
	s_branch .LBB9_569
.LBB9_564:
	v_mov_b64_e32 v[2:3], 0
	v_mov_b32_e32 v1, v4
                                        ; implicit-def: $vgpr0
.LBB9_565:
	s_and_b32 s0, s0, 3
	s_mov_b32 s23, 0
	s_cmp_eq_u32 s0, 0
	s_cbranch_scc1 .LBB9_569
; %bb.566:
	s_lshl_b32 s24, s22, 3
	s_mov_b32 s25, s23
	s_mul_u64 s[26:27], s[22:23], 12
	s_add_nc_u64 s[24:25], s[2:3], s[24:25]
	s_delay_alu instid0(SALU_CYCLE_1)
	s_add_nc_u64 s[22:23], s[24:25], 0xc4
	s_add_nc_u64 s[24:25], s[2:3], s[26:27]
.LBB9_567:                              ; =>This Inner Loop Header: Depth=1
	s_load_b96 s[48:50], s[24:25], 0x4
	s_load_b64 s[26:27], s[22:23], 0x0
	s_add_co_i32 s0, s0, -1
	s_wait_xcnt 0x0
	s_add_nc_u64 s[24:25], s[24:25], 12
	s_cmp_lg_u32 s0, 0
	s_add_nc_u64 s[22:23], s[22:23], 8
	s_wait_kmcnt 0x0
	v_mul_hi_u32 v0, s49, v1
	s_delay_alu instid0(VALU_DEP_1) | instskip(NEXT) | instid1(VALU_DEP_1)
	v_add_nc_u32_e32 v0, v1, v0
	v_lshrrev_b32_e32 v0, s50, v0
	s_delay_alu instid0(VALU_DEP_1) | instskip(NEXT) | instid1(VALU_DEP_1)
	v_mul_lo_u32 v5, v0, s48
	v_sub_nc_u32_e32 v1, v1, v5
	s_delay_alu instid0(VALU_DEP_1)
	v_mad_u32 v3, v1, s27, v3
	v_mad_u32 v2, v1, s26, v2
	v_mov_b32_e32 v1, v0
	s_cbranch_scc1 .LBB9_567
; %bb.568:
	s_delay_alu instid0(VALU_DEP_3)
	v_mov_b32_e32 v0, v3
.LBB9_569:
	s_mov_b32 s0, 0
.LBB9_570:
	s_delay_alu instid0(SALU_CYCLE_1)
	s_and_not1_b32 vcc_lo, exec_lo, s0
	s_cbranch_vccnz .LBB9_573
; %bb.571:
	v_mov_b32_e32 v5, 0
	s_and_not1_b32 vcc_lo, exec_lo, s35
	s_delay_alu instid0(VALU_DEP_1) | instskip(NEXT) | instid1(VALU_DEP_1)
	v_mul_u64_e32 v[0:1], s[16:17], v[4:5]
	v_add_nc_u32_e32 v0, v4, v1
	s_wait_loadcnt 0x0
	s_delay_alu instid0(VALU_DEP_1) | instskip(NEXT) | instid1(VALU_DEP_1)
	v_lshrrev_b32_e32 v6, s14, v0
	v_mul_lo_u32 v0, v6, s12
	s_delay_alu instid0(VALU_DEP_1) | instskip(NEXT) | instid1(VALU_DEP_1)
	v_sub_nc_u32_e32 v1, v4, v0
	v_mul_lo_u32 v0, v1, s9
	v_mul_lo_u32 v2, v1, s8
	s_cbranch_vccnz .LBB9_573
; %bb.572:
	v_mov_b32_e32 v7, v5
	s_delay_alu instid0(VALU_DEP_1) | instskip(NEXT) | instid1(VALU_DEP_1)
	v_mul_u64_e32 v[8:9], s[18:19], v[6:7]
	v_add_nc_u32_e32 v1, v6, v9
	s_delay_alu instid0(VALU_DEP_1) | instskip(NEXT) | instid1(VALU_DEP_1)
	v_lshrrev_b32_e32 v1, s1, v1
	v_mul_lo_u32 v1, v1, s15
	s_delay_alu instid0(VALU_DEP_1) | instskip(NEXT) | instid1(VALU_DEP_1)
	v_sub_nc_u32_e32 v1, v6, v1
	v_mad_u32 v2, v1, s10, v2
	v_mad_u32 v0, v1, s11, v0
.LBB9_573:
	v_mov_b32_e32 v1, 0
	s_and_b32 s0, 0xffff, s13
	s_delay_alu instid0(SALU_CYCLE_1) | instskip(NEXT) | instid1(VALU_DEP_1)
	s_cmp_lt_i32 s0, 11
	v_add_nc_u64_e32 v[0:1], s[6:7], v[0:1]
	s_cbranch_scc1 .LBB9_580
; %bb.574:
	s_cmp_gt_i32 s0, 25
	s_cbranch_scc0 .LBB9_581
; %bb.575:
	s_cmp_gt_i32 s0, 28
	s_cbranch_scc0 .LBB9_582
	;; [unrolled: 3-line block ×4, first 2 shown]
; %bb.578:
	s_cmp_eq_u32 s0, 46
	s_mov_b32 s24, 0
	s_cbranch_scc0 .LBB9_589
; %bb.579:
	global_load_b32 v3, v[0:1], off
	s_mov_b32 s23, -1
	s_mov_b32 s22, 0
	s_wait_loadcnt 0x0
	v_lshlrev_b32_e32 v3, 16, v3
	s_delay_alu instid0(VALU_DEP_1)
	v_cvt_f64_f32_e32 v[6:7], v3
	s_branch .LBB9_591
.LBB9_580:
	s_mov_b32 s24, -1
	s_mov_b32 s23, 0
	s_mov_b32 s22, s42
                                        ; implicit-def: $vgpr6_vgpr7
	s_branch .LBB9_656
.LBB9_581:
	s_mov_b32 s24, -1
	s_mov_b32 s23, 0
	s_mov_b32 s22, s42
                                        ; implicit-def: $vgpr6_vgpr7
	s_branch .LBB9_620
.LBB9_582:
	s_mov_b32 s24, -1
	s_mov_b32 s23, 0
	s_mov_b32 s22, s42
                                        ; implicit-def: $vgpr6_vgpr7
	s_branch .LBB9_601
.LBB9_583:
	s_mov_b32 s24, -1
	s_mov_b32 s23, 0
	s_mov_b32 s22, s42
                                        ; implicit-def: $vgpr6_vgpr7
	s_branch .LBB9_596
.LBB9_584:
	s_and_not1_saveexec_b32 s27, s27
	s_cbranch_execz .LBB9_351
.LBB9_585:
	v_add_f32_e64 v3, 0x46000000, |v2|
	s_and_not1_b32 s26, s26, exec_lo
	s_delay_alu instid0(VALU_DEP_1) | instskip(NEXT) | instid1(VALU_DEP_1)
	v_and_b32_e32 v3, 0xff, v3
	v_cmp_ne_u32_e32 vcc_lo, 0, v3
	s_and_b32 s42, vcc_lo, exec_lo
	s_delay_alu instid0(SALU_CYCLE_1)
	s_or_b32 s26, s26, s42
	s_or_b32 exec_lo, exec_lo, s27
	v_mov_b32_e32 v5, 0
	s_and_saveexec_b32 s27, s26
	s_cbranch_execnz .LBB9_352
	s_branch .LBB9_353
.LBB9_586:
	s_mov_b32 s24, -1
	s_mov_b32 s23, 0
	s_mov_b32 s22, s42
	s_branch .LBB9_590
.LBB9_587:
	s_and_not1_saveexec_b32 s27, s27
	s_cbranch_execz .LBB9_364
.LBB9_588:
	v_add_f32_e64 v3, 0x42800000, |v2|
	s_and_not1_b32 s26, s26, exec_lo
	s_delay_alu instid0(VALU_DEP_1) | instskip(NEXT) | instid1(VALU_DEP_1)
	v_and_b32_e32 v3, 0xff, v3
	v_cmp_ne_u32_e32 vcc_lo, 0, v3
	s_and_b32 s42, vcc_lo, exec_lo
	s_delay_alu instid0(SALU_CYCLE_1)
	s_or_b32 s26, s26, s42
	s_or_b32 exec_lo, exec_lo, s27
	v_mov_b32_e32 v5, 0
	s_and_saveexec_b32 s27, s26
	s_cbranch_execnz .LBB9_365
	s_branch .LBB9_366
.LBB9_589:
	s_mov_b32 s22, -1
	s_mov_b32 s23, 0
.LBB9_590:
                                        ; implicit-def: $vgpr6_vgpr7
.LBB9_591:
	s_and_b32 vcc_lo, exec_lo, s24
	s_cbranch_vccz .LBB9_595
; %bb.592:
	s_cmp_eq_u32 s0, 44
	s_cbranch_scc0 .LBB9_594
; %bb.593:
	global_load_u8 v3, v[0:1], off
	s_mov_b32 s22, 0
	s_mov_b32 s23, -1
	s_wait_loadcnt 0x0
	v_lshlrev_b32_e32 v5, 23, v3
	v_cmp_ne_u32_e32 vcc_lo, 0xff, v3
	s_delay_alu instid0(VALU_DEP_2) | instskip(NEXT) | instid1(VALU_DEP_1)
	v_cvt_f64_f32_e32 v[6:7], v5
	v_cndmask_b32_e32 v5, 0x20000000, v6, vcc_lo
	s_delay_alu instid0(VALU_DEP_2) | instskip(SKIP_1) | instid1(VALU_DEP_2)
	v_cndmask_b32_e32 v6, 0x7ff80000, v7, vcc_lo
	v_cmp_ne_u32_e32 vcc_lo, 0, v3
	v_cndmask_b32_e32 v7, 0x38000000, v6, vcc_lo
	s_delay_alu instid0(VALU_DEP_4)
	v_cndmask_b32_e32 v6, 0, v5, vcc_lo
	s_branch .LBB9_595
.LBB9_594:
	s_mov_b32 s22, -1
                                        ; implicit-def: $vgpr6_vgpr7
.LBB9_595:
	s_mov_b32 s24, 0
.LBB9_596:
	s_delay_alu instid0(SALU_CYCLE_1)
	s_and_b32 vcc_lo, exec_lo, s24
	s_cbranch_vccz .LBB9_600
; %bb.597:
	s_cmp_eq_u32 s0, 29
	s_cbranch_scc0 .LBB9_599
; %bb.598:
	s_wait_loadcnt 0x0
	global_load_b64 v[6:7], v[0:1], off
	s_mov_b32 s23, -1
	s_mov_b32 s22, 0
	s_mov_b32 s24, 0
	s_wait_loadcnt 0x0
	v_cvt_f64_u32_e32 v[8:9], v7
	v_cvt_f64_u32_e32 v[6:7], v6
	s_delay_alu instid0(VALU_DEP_2) | instskip(NEXT) | instid1(VALU_DEP_1)
	v_ldexp_f64 v[8:9], v[8:9], 32
	v_add_f64_e32 v[6:7], v[8:9], v[6:7]
	s_branch .LBB9_601
.LBB9_599:
	s_mov_b32 s22, -1
                                        ; implicit-def: $vgpr6_vgpr7
.LBB9_600:
	s_mov_b32 s24, 0
.LBB9_601:
	s_delay_alu instid0(SALU_CYCLE_1)
	s_and_b32 vcc_lo, exec_lo, s24
	s_cbranch_vccz .LBB9_619
; %bb.602:
	s_cmp_lt_i32 s0, 27
	s_cbranch_scc1 .LBB9_605
; %bb.603:
	s_cmp_gt_i32 s0, 27
	s_cbranch_scc0 .LBB9_606
; %bb.604:
	global_load_b32 v3, v[0:1], off
	s_mov_b32 s23, 0
	s_wait_loadcnt 0x0
	v_cvt_f64_u32_e32 v[6:7], v3
	s_branch .LBB9_607
.LBB9_605:
	s_mov_b32 s23, -1
                                        ; implicit-def: $vgpr6_vgpr7
	s_branch .LBB9_610
.LBB9_606:
	s_mov_b32 s23, -1
                                        ; implicit-def: $vgpr6_vgpr7
.LBB9_607:
	s_delay_alu instid0(SALU_CYCLE_1)
	s_and_not1_b32 vcc_lo, exec_lo, s23
	s_cbranch_vccnz .LBB9_609
; %bb.608:
	global_load_u16 v3, v[0:1], off
	s_wait_loadcnt 0x0
	v_cvt_f64_u32_e32 v[6:7], v3
.LBB9_609:
	s_mov_b32 s23, 0
.LBB9_610:
	s_delay_alu instid0(SALU_CYCLE_1)
	s_and_not1_b32 vcc_lo, exec_lo, s23
	s_cbranch_vccnz .LBB9_618
; %bb.611:
	global_load_u8 v3, v[0:1], off
	s_mov_b32 s23, 0
	s_mov_b32 s24, exec_lo
	s_wait_loadcnt 0x0
	v_cmpx_lt_i16_e32 0x7f, v3
	s_xor_b32 s24, exec_lo, s24
	s_cbranch_execz .LBB9_632
; %bb.612:
	s_mov_b32 s23, -1
	s_mov_b32 s25, exec_lo
	v_cmpx_eq_u16_e32 0x80, v3
; %bb.613:
	s_xor_b32 s23, exec_lo, -1
; %bb.614:
	s_or_b32 exec_lo, exec_lo, s25
	s_delay_alu instid0(SALU_CYCLE_1)
	s_and_b32 s23, s23, exec_lo
	s_or_saveexec_b32 s24, s24
	v_mov_b64_e32 v[6:7], 0x7ff8000020000000
	s_xor_b32 exec_lo, exec_lo, s24
	s_cbranch_execnz .LBB9_633
.LBB9_615:
	s_or_b32 exec_lo, exec_lo, s24
	s_and_saveexec_b32 s24, s23
	s_cbranch_execz .LBB9_617
.LBB9_616:
	v_and_b32_e32 v5, 0xffff, v3
	s_delay_alu instid0(VALU_DEP_1) | instskip(SKIP_1) | instid1(VALU_DEP_2)
	v_and_b32_e32 v6, 7, v5
	v_bfe_u32 v9, v5, 3, 4
	v_clz_i32_u32_e32 v7, v6
	s_delay_alu instid0(VALU_DEP_2) | instskip(NEXT) | instid1(VALU_DEP_2)
	v_cmp_eq_u32_e32 vcc_lo, 0, v9
	v_min_u32_e32 v7, 32, v7
	s_delay_alu instid0(VALU_DEP_1) | instskip(NEXT) | instid1(VALU_DEP_1)
	v_subrev_nc_u32_e32 v8, 28, v7
	v_dual_lshlrev_b32 v5, v8, v5 :: v_dual_sub_nc_u32 v7, 29, v7
	s_delay_alu instid0(VALU_DEP_1) | instskip(NEXT) | instid1(VALU_DEP_1)
	v_dual_lshlrev_b32 v3, 24, v3 :: v_dual_bitop2_b32 v5, 7, v5 bitop3:0x40
	v_dual_cndmask_b32 v5, v6, v5, vcc_lo :: v_dual_cndmask_b32 v7, v9, v7, vcc_lo
	s_delay_alu instid0(VALU_DEP_2) | instskip(NEXT) | instid1(VALU_DEP_2)
	v_and_b32_e32 v3, 0x80000000, v3
	v_lshlrev_b32_e32 v5, 20, v5
	s_delay_alu instid0(VALU_DEP_3) | instskip(NEXT) | instid1(VALU_DEP_1)
	v_lshl_add_u32 v6, v7, 23, 0x3b800000
	v_or3_b32 v3, v3, v6, v5
	s_delay_alu instid0(VALU_DEP_1)
	v_cvt_f64_f32_e32 v[6:7], v3
.LBB9_617:
	s_or_b32 exec_lo, exec_lo, s24
.LBB9_618:
	s_mov_b32 s23, -1
.LBB9_619:
	s_mov_b32 s24, 0
.LBB9_620:
	s_delay_alu instid0(SALU_CYCLE_1)
	s_and_b32 vcc_lo, exec_lo, s24
	s_cbranch_vccz .LBB9_655
; %bb.621:
	s_cmp_gt_i32 s0, 22
	s_cbranch_scc0 .LBB9_631
; %bb.622:
	s_cmp_lt_i32 s0, 24
	s_cbranch_scc1 .LBB9_634
; %bb.623:
	s_cmp_gt_i32 s0, 24
	s_cbranch_scc0 .LBB9_635
; %bb.624:
	global_load_u8 v3, v[0:1], off
	s_mov_b32 s23, 0
	s_mov_b32 s24, exec_lo
	s_wait_loadcnt 0x0
	v_cmpx_lt_i16_e32 0x7f, v3
	s_xor_b32 s24, exec_lo, s24
	s_cbranch_execz .LBB9_647
; %bb.625:
	s_mov_b32 s23, -1
	s_mov_b32 s25, exec_lo
	v_cmpx_eq_u16_e32 0x80, v3
; %bb.626:
	s_xor_b32 s23, exec_lo, -1
; %bb.627:
	s_or_b32 exec_lo, exec_lo, s25
	s_delay_alu instid0(SALU_CYCLE_1)
	s_and_b32 s23, s23, exec_lo
	s_or_saveexec_b32 s24, s24
	v_mov_b64_e32 v[6:7], 0x7ff8000020000000
	s_xor_b32 exec_lo, exec_lo, s24
	s_cbranch_execnz .LBB9_648
.LBB9_628:
	s_or_b32 exec_lo, exec_lo, s24
	s_and_saveexec_b32 s24, s23
	s_cbranch_execz .LBB9_630
.LBB9_629:
	v_and_b32_e32 v5, 0xffff, v3
	s_delay_alu instid0(VALU_DEP_1) | instskip(SKIP_1) | instid1(VALU_DEP_2)
	v_and_b32_e32 v6, 3, v5
	v_bfe_u32 v9, v5, 2, 5
	v_clz_i32_u32_e32 v7, v6
	s_delay_alu instid0(VALU_DEP_2) | instskip(NEXT) | instid1(VALU_DEP_2)
	v_cmp_eq_u32_e32 vcc_lo, 0, v9
	v_min_u32_e32 v7, 32, v7
	s_delay_alu instid0(VALU_DEP_1) | instskip(NEXT) | instid1(VALU_DEP_1)
	v_subrev_nc_u32_e32 v8, 29, v7
	v_dual_lshlrev_b32 v5, v8, v5 :: v_dual_sub_nc_u32 v7, 30, v7
	s_delay_alu instid0(VALU_DEP_1) | instskip(NEXT) | instid1(VALU_DEP_1)
	v_dual_lshlrev_b32 v3, 24, v3 :: v_dual_bitop2_b32 v5, 3, v5 bitop3:0x40
	v_dual_cndmask_b32 v5, v6, v5, vcc_lo :: v_dual_cndmask_b32 v7, v9, v7, vcc_lo
	s_delay_alu instid0(VALU_DEP_2) | instskip(NEXT) | instid1(VALU_DEP_2)
	v_and_b32_e32 v3, 0x80000000, v3
	v_lshlrev_b32_e32 v5, 21, v5
	s_delay_alu instid0(VALU_DEP_3) | instskip(NEXT) | instid1(VALU_DEP_1)
	v_lshl_add_u32 v6, v7, 23, 0x37800000
	v_or3_b32 v3, v3, v6, v5
	s_delay_alu instid0(VALU_DEP_1)
	v_cvt_f64_f32_e32 v[6:7], v3
.LBB9_630:
	s_or_b32 exec_lo, exec_lo, s24
	s_mov_b32 s23, 0
	s_branch .LBB9_636
.LBB9_631:
	s_mov_b32 s24, -1
                                        ; implicit-def: $vgpr6_vgpr7
	s_branch .LBB9_642
.LBB9_632:
	s_or_saveexec_b32 s24, s24
	v_mov_b64_e32 v[6:7], 0x7ff8000020000000
	s_xor_b32 exec_lo, exec_lo, s24
	s_cbranch_execz .LBB9_615
.LBB9_633:
	v_cmp_ne_u16_e32 vcc_lo, 0, v3
	v_mov_b64_e32 v[6:7], 0
	s_and_not1_b32 s23, s23, exec_lo
	s_and_b32 s25, vcc_lo, exec_lo
	s_delay_alu instid0(SALU_CYCLE_1)
	s_or_b32 s23, s23, s25
	s_or_b32 exec_lo, exec_lo, s24
	s_and_saveexec_b32 s24, s23
	s_cbranch_execnz .LBB9_616
	s_branch .LBB9_617
.LBB9_634:
	s_mov_b32 s23, -1
                                        ; implicit-def: $vgpr6_vgpr7
	s_branch .LBB9_639
.LBB9_635:
	s_mov_b32 s23, -1
                                        ; implicit-def: $vgpr6_vgpr7
.LBB9_636:
	s_delay_alu instid0(SALU_CYCLE_1)
	s_and_b32 vcc_lo, exec_lo, s23
	s_cbranch_vccz .LBB9_638
; %bb.637:
	global_load_u8 v3, v[0:1], off
	s_wait_loadcnt 0x0
	v_lshlrev_b32_e32 v3, 24, v3
	s_delay_alu instid0(VALU_DEP_1) | instskip(NEXT) | instid1(VALU_DEP_1)
	v_and_b32_e32 v5, 0x7f000000, v3
	v_clz_i32_u32_e32 v6, v5
	v_cmp_ne_u32_e32 vcc_lo, 0, v5
	v_add_nc_u32_e32 v8, 0x1000000, v5
	s_delay_alu instid0(VALU_DEP_3) | instskip(NEXT) | instid1(VALU_DEP_1)
	v_min_u32_e32 v6, 32, v6
	v_sub_nc_u32_e64 v6, v6, 4 clamp
	s_delay_alu instid0(VALU_DEP_1) | instskip(NEXT) | instid1(VALU_DEP_1)
	v_dual_lshlrev_b32 v7, v6, v5 :: v_dual_lshlrev_b32 v6, 23, v6
	v_lshrrev_b32_e32 v7, 4, v7
	s_delay_alu instid0(VALU_DEP_1) | instskip(NEXT) | instid1(VALU_DEP_1)
	v_dual_sub_nc_u32 v6, v7, v6 :: v_dual_ashrrev_i32 v7, 8, v8
	v_add_nc_u32_e32 v6, 0x3c000000, v6
	s_delay_alu instid0(VALU_DEP_1) | instskip(NEXT) | instid1(VALU_DEP_1)
	v_and_or_b32 v6, 0x7f800000, v7, v6
	v_cndmask_b32_e32 v5, 0, v6, vcc_lo
	s_delay_alu instid0(VALU_DEP_1) | instskip(NEXT) | instid1(VALU_DEP_1)
	v_and_or_b32 v3, 0x80000000, v3, v5
	v_cvt_f64_f32_e32 v[6:7], v3
.LBB9_638:
	s_mov_b32 s23, 0
.LBB9_639:
	s_delay_alu instid0(SALU_CYCLE_1)
	s_and_not1_b32 vcc_lo, exec_lo, s23
	s_cbranch_vccnz .LBB9_641
; %bb.640:
	global_load_u8 v3, v[0:1], off
	s_wait_loadcnt 0x0
	v_lshlrev_b32_e32 v5, 25, v3
	v_lshlrev_b16 v3, 8, v3
	s_delay_alu instid0(VALU_DEP_1) | instskip(NEXT) | instid1(VALU_DEP_3)
	v_and_or_b32 v7, 0x7f00, v3, 0.5
	v_lshrrev_b32_e32 v6, 4, v5
	v_bfe_i32 v3, v3, 0, 16
	s_delay_alu instid0(VALU_DEP_3) | instskip(NEXT) | instid1(VALU_DEP_3)
	v_add_f32_e32 v7, -0.5, v7
	v_or_b32_e32 v6, 0x70000000, v6
	s_delay_alu instid0(VALU_DEP_1) | instskip(SKIP_1) | instid1(VALU_DEP_2)
	v_mul_f32_e32 v6, 0x7800000, v6
	v_cmp_gt_u32_e32 vcc_lo, 0x8000000, v5
	v_cndmask_b32_e32 v5, v6, v7, vcc_lo
	s_delay_alu instid0(VALU_DEP_1) | instskip(NEXT) | instid1(VALU_DEP_1)
	v_and_or_b32 v3, 0x80000000, v3, v5
	v_cvt_f64_f32_e32 v[6:7], v3
.LBB9_641:
	s_mov_b32 s24, 0
	s_mov_b32 s23, -1
.LBB9_642:
	s_and_not1_b32 vcc_lo, exec_lo, s24
	s_cbranch_vccnz .LBB9_655
; %bb.643:
	s_cmp_gt_i32 s0, 14
	s_cbranch_scc0 .LBB9_646
; %bb.644:
	s_cmp_eq_u32 s0, 15
	s_cbranch_scc0 .LBB9_649
; %bb.645:
	global_load_u16 v3, v[0:1], off
	s_mov_b32 s23, -1
	s_mov_b32 s22, 0
	s_wait_loadcnt 0x0
	v_lshlrev_b32_e32 v3, 16, v3
	s_delay_alu instid0(VALU_DEP_1)
	v_cvt_f64_f32_e32 v[6:7], v3
	s_branch .LBB9_650
.LBB9_646:
	s_mov_b32 s24, -1
                                        ; implicit-def: $vgpr6_vgpr7
	s_branch .LBB9_651
.LBB9_647:
	s_or_saveexec_b32 s24, s24
	v_mov_b64_e32 v[6:7], 0x7ff8000020000000
	s_xor_b32 exec_lo, exec_lo, s24
	s_cbranch_execz .LBB9_628
.LBB9_648:
	v_cmp_ne_u16_e32 vcc_lo, 0, v3
	v_mov_b64_e32 v[6:7], 0
	s_and_not1_b32 s23, s23, exec_lo
	s_and_b32 s25, vcc_lo, exec_lo
	s_delay_alu instid0(SALU_CYCLE_1)
	s_or_b32 s23, s23, s25
	s_or_b32 exec_lo, exec_lo, s24
	s_and_saveexec_b32 s24, s23
	s_cbranch_execnz .LBB9_629
	s_branch .LBB9_630
.LBB9_649:
	s_mov_b32 s22, -1
                                        ; implicit-def: $vgpr6_vgpr7
.LBB9_650:
	s_mov_b32 s24, 0
.LBB9_651:
	s_delay_alu instid0(SALU_CYCLE_1)
	s_and_b32 vcc_lo, exec_lo, s24
	s_cbranch_vccz .LBB9_655
; %bb.652:
	s_cmp_eq_u32 s0, 11
	s_cbranch_scc0 .LBB9_654
; %bb.653:
	global_load_u8 v3, v[0:1], off
	s_wait_loadcnt 0x1
	v_mov_b32_e32 v6, 0
	s_mov_b32 s22, 0
	s_mov_b32 s23, -1
	s_wait_loadcnt 0x0
	v_cmp_ne_u16_e32 vcc_lo, 0, v3
	v_cndmask_b32_e64 v7, 0, 0x3ff00000, vcc_lo
	s_branch .LBB9_655
.LBB9_654:
	s_mov_b32 s22, -1
                                        ; implicit-def: $vgpr6_vgpr7
.LBB9_655:
	s_mov_b32 s24, 0
.LBB9_656:
	s_delay_alu instid0(SALU_CYCLE_1)
	s_and_b32 vcc_lo, exec_lo, s24
	s_cbranch_vccz .LBB9_705
; %bb.657:
	s_cmp_lt_i32 s0, 5
	s_cbranch_scc1 .LBB9_662
; %bb.658:
	s_cmp_lt_i32 s0, 8
	s_cbranch_scc1 .LBB9_663
	;; [unrolled: 3-line block ×3, first 2 shown]
; %bb.660:
	s_cmp_gt_i32 s0, 9
	s_cbranch_scc0 .LBB9_665
; %bb.661:
	s_wait_loadcnt 0x0
	global_load_b64 v[6:7], v[0:1], off
	s_mov_b32 s23, 0
	s_branch .LBB9_666
.LBB9_662:
	s_mov_b32 s23, -1
                                        ; implicit-def: $vgpr6_vgpr7
	s_branch .LBB9_684
.LBB9_663:
	s_mov_b32 s23, -1
                                        ; implicit-def: $vgpr6_vgpr7
	s_branch .LBB9_672
.LBB9_664:
	s_mov_b32 s23, -1
                                        ; implicit-def: $vgpr6_vgpr7
	s_branch .LBB9_669
.LBB9_665:
	s_mov_b32 s23, -1
                                        ; implicit-def: $vgpr6_vgpr7
.LBB9_666:
	s_delay_alu instid0(SALU_CYCLE_1)
	s_and_not1_b32 vcc_lo, exec_lo, s23
	s_cbranch_vccnz .LBB9_668
; %bb.667:
	global_load_b32 v3, v[0:1], off
	s_wait_loadcnt 0x0
	v_cvt_f64_f32_e32 v[6:7], v3
.LBB9_668:
	s_mov_b32 s23, 0
.LBB9_669:
	s_delay_alu instid0(SALU_CYCLE_1)
	s_and_not1_b32 vcc_lo, exec_lo, s23
	s_cbranch_vccnz .LBB9_671
; %bb.670:
	global_load_b32 v3, v[0:1], off
	s_wait_loadcnt 0x0
	v_cvt_f32_f16_e32 v3, v3
	s_delay_alu instid0(VALU_DEP_1)
	v_cvt_f64_f32_e32 v[6:7], v3
.LBB9_671:
	s_mov_b32 s23, 0
.LBB9_672:
	s_delay_alu instid0(SALU_CYCLE_1)
	s_and_not1_b32 vcc_lo, exec_lo, s23
	s_cbranch_vccnz .LBB9_683
; %bb.673:
	s_cmp_lt_i32 s0, 6
	s_cbranch_scc1 .LBB9_676
; %bb.674:
	s_cmp_gt_i32 s0, 6
	s_cbranch_scc0 .LBB9_677
; %bb.675:
	s_wait_loadcnt 0x0
	global_load_b64 v[6:7], v[0:1], off
	s_mov_b32 s23, 0
	s_branch .LBB9_678
.LBB9_676:
	s_mov_b32 s23, -1
                                        ; implicit-def: $vgpr6_vgpr7
	s_branch .LBB9_681
.LBB9_677:
	s_mov_b32 s23, -1
                                        ; implicit-def: $vgpr6_vgpr7
.LBB9_678:
	s_delay_alu instid0(SALU_CYCLE_1)
	s_and_not1_b32 vcc_lo, exec_lo, s23
	s_cbranch_vccnz .LBB9_680
; %bb.679:
	global_load_b32 v3, v[0:1], off
	s_wait_loadcnt 0x0
	v_cvt_f64_f32_e32 v[6:7], v3
.LBB9_680:
	s_mov_b32 s23, 0
.LBB9_681:
	s_delay_alu instid0(SALU_CYCLE_1)
	s_and_not1_b32 vcc_lo, exec_lo, s23
	s_cbranch_vccnz .LBB9_683
; %bb.682:
	global_load_u16 v3, v[0:1], off
	s_wait_loadcnt 0x0
	v_cvt_f32_f16_e32 v3, v3
	s_delay_alu instid0(VALU_DEP_1)
	v_cvt_f64_f32_e32 v[6:7], v3
.LBB9_683:
	s_mov_b32 s23, 0
.LBB9_684:
	s_delay_alu instid0(SALU_CYCLE_1)
	s_and_not1_b32 vcc_lo, exec_lo, s23
	s_cbranch_vccnz .LBB9_704
; %bb.685:
	s_cmp_lt_i32 s0, 2
	s_cbranch_scc1 .LBB9_689
; %bb.686:
	s_cmp_lt_i32 s0, 3
	s_cbranch_scc1 .LBB9_690
; %bb.687:
	s_cmp_gt_i32 s0, 3
	s_cbranch_scc0 .LBB9_691
; %bb.688:
	s_wait_loadcnt 0x0
	global_load_b64 v[6:7], v[0:1], off
	s_mov_b32 s23, 0
	s_wait_loadcnt 0x0
	v_cvt_f64_i32_e32 v[8:9], v7
	v_cvt_f64_u32_e32 v[6:7], v6
	s_delay_alu instid0(VALU_DEP_2) | instskip(NEXT) | instid1(VALU_DEP_1)
	v_ldexp_f64 v[8:9], v[8:9], 32
	v_add_f64_e32 v[6:7], v[8:9], v[6:7]
	s_branch .LBB9_692
.LBB9_689:
	s_mov_b32 s23, -1
                                        ; implicit-def: $vgpr6_vgpr7
	s_branch .LBB9_698
.LBB9_690:
	s_mov_b32 s23, -1
                                        ; implicit-def: $vgpr6_vgpr7
	s_branch .LBB9_695
.LBB9_691:
	s_mov_b32 s23, -1
                                        ; implicit-def: $vgpr6_vgpr7
.LBB9_692:
	s_delay_alu instid0(SALU_CYCLE_1)
	s_and_not1_b32 vcc_lo, exec_lo, s23
	s_cbranch_vccnz .LBB9_694
; %bb.693:
	global_load_b32 v3, v[0:1], off
	s_wait_loadcnt 0x0
	v_cvt_f64_i32_e32 v[6:7], v3
.LBB9_694:
	s_mov_b32 s23, 0
.LBB9_695:
	s_delay_alu instid0(SALU_CYCLE_1)
	s_and_not1_b32 vcc_lo, exec_lo, s23
	s_cbranch_vccnz .LBB9_697
; %bb.696:
	global_load_i16 v3, v[0:1], off
	s_wait_loadcnt 0x0
	v_cvt_f64_i32_e32 v[6:7], v3
.LBB9_697:
	s_mov_b32 s23, 0
.LBB9_698:
	s_delay_alu instid0(SALU_CYCLE_1)
	s_and_not1_b32 vcc_lo, exec_lo, s23
	s_cbranch_vccnz .LBB9_704
; %bb.699:
	s_cmp_gt_i32 s0, 0
	s_mov_b32 s0, 0
	s_cbranch_scc0 .LBB9_701
; %bb.700:
	global_load_i8 v3, v[0:1], off
	s_wait_loadcnt 0x0
	v_cvt_f64_i32_e32 v[6:7], v3
	s_branch .LBB9_702
.LBB9_701:
	s_mov_b32 s0, -1
                                        ; implicit-def: $vgpr6_vgpr7
.LBB9_702:
	s_delay_alu instid0(SALU_CYCLE_1)
	s_and_not1_b32 vcc_lo, exec_lo, s0
	s_cbranch_vccnz .LBB9_704
; %bb.703:
	global_load_u8 v0, v[0:1], off
	s_wait_loadcnt 0x0
	v_cvt_f64_u32_e32 v[6:7], v0
.LBB9_704:
	s_mov_b32 s23, -1
.LBB9_705:
	s_delay_alu instid0(SALU_CYCLE_1)
	s_and_not1_b32 vcc_lo, exec_lo, s23
	s_cbranch_vccnz .LBB9_717
; %bb.706:
	s_wait_loadcnt 0x0
	s_delay_alu instid0(VALU_DEP_1) | instskip(SKIP_2) | instid1(SALU_CYCLE_1)
	v_cmp_ge_f64_e64 s0, 0x40200000, |v[6:7]|
                                        ; implicit-def: $vgpr0_vgpr1
	s_wait_xcnt 0x0
	s_and_saveexec_b32 s23, s0
	s_xor_b32 s0, exec_lo, s23
	s_cbranch_execz .LBB9_708
; %bb.707:
	v_fma_f64 v[0:1], |v[6:7]|, 0.5, -2.0
	s_mov_b64 s[24:25], 0xbc545cb72134d0ef
	s_delay_alu instid0(VALU_DEP_1) | instid1(SALU_CYCLE_1)
	v_fmaak_f64 v[8:9], s[24:25], v[0:1], 0x3c833362977da589
	s_mov_b64 s[24:25], 0x3ff71547652b82fe
	s_delay_alu instid0(SALU_CYCLE_1) | instskip(SKIP_1) | instid1(VALU_DEP_2)
	v_mul_f64_e64 v[12:13], |v[6:7]|, s[24:25]
	s_mov_b64 s[24:25], 0xbfe62e42fefa39ef
	v_fmaak_f64 v[10:11], v[0:1], v[8:9], 0x3c545cb72134d0ef
	s_delay_alu instid0(VALU_DEP_1) | instskip(NEXT) | instid1(VALU_DEP_3)
	v_add_f64_e32 v[10:11], 0xbcb184eb721ebbb4, v[10:11]
	v_rndne_f64_e32 v[12:13], v[12:13]
	s_delay_alu instid0(VALU_DEP_2) | instskip(NEXT) | instid1(VALU_DEP_2)
	v_fma_f64 v[8:9], v[0:1], v[10:11], -v[8:9]
	v_fma_f64 v[6:7], v[12:13], s[24:25], |v[6:7]|
	s_mov_b64 s[24:25], 0x3e5ade156a5dcb37
	v_cvt_i32_f64_e32 v3, v[12:13]
	s_delay_alu instid0(VALU_DEP_3) | instskip(NEXT) | instid1(VALU_DEP_3)
	v_add_f64_e32 v[8:9], 0x3cdee6d893f65eba, v[8:9]
	v_fmamk_f64 v[6:7], v[12:13], 0xbc7abc9e3b39803f, v[6:7]
	s_delay_alu instid0(VALU_DEP_1) | instskip(NEXT) | instid1(VALU_DEP_3)
	v_fmaak_f64 v[14:15], s[24:25], v[6:7], 0x3e928af3fca7ab0c
	v_fma_f64 v[10:11], v[0:1], v[8:9], -v[10:11]
	s_delay_alu instid0(VALU_DEP_2) | instskip(NEXT) | instid1(VALU_DEP_1)
	v_fmaak_f64 v[14:15], v[6:7], v[14:15], 0x3ec71dee623fde64
	v_fmaak_f64 v[14:15], v[6:7], v[14:15], 0x3efa01997c89e6b0
	s_delay_alu instid0(VALU_DEP_1) | instskip(NEXT) | instid1(VALU_DEP_1)
	v_fmaak_f64 v[14:15], v[6:7], v[14:15], 0x3f2a01a014761f6e
	v_fmaak_f64 v[14:15], v[6:7], v[14:15], 0x3f56c16c1852b7b0
	v_add_f64_e32 v[10:11], 0xbd0a5022c297fbeb, v[10:11]
	s_delay_alu instid0(VALU_DEP_1) | instskip(NEXT) | instid1(VALU_DEP_1)
	v_fma_f64 v[8:9], v[0:1], v[10:11], -v[8:9]
	v_add_f64_e32 v[8:9], 0x3d359b464b262627, v[8:9]
	s_delay_alu instid0(VALU_DEP_1) | instskip(NEXT) | instid1(VALU_DEP_1)
	v_fma_f64 v[10:11], v[0:1], v[8:9], -v[10:11]
	;; [unrolled: 3-line block ×24, first 2 shown]
	v_add_f64_e32 v[10:11], 0xbfd37febc057cd8d, v[10:11]
	s_delay_alu instid0(VALU_DEP_1) | instskip(SKIP_1) | instid1(VALU_DEP_1)
	v_fma_f64 v[0:1], v[0:1], v[10:11], -v[8:9]
	v_fmaak_f64 v[10:11], v[6:7], v[14:15], 0x3f81111111122322
	v_fmaak_f64 v[10:11], v[6:7], v[10:11], 0x3fa55555555502a1
	s_delay_alu instid0(VALU_DEP_1) | instskip(NEXT) | instid1(VALU_DEP_1)
	v_fmaak_f64 v[10:11], v[6:7], v[10:11], 0x3fc5555555555511
	v_fmaak_f64 v[10:11], v[6:7], v[10:11], 0x3fe000000000000b
	s_delay_alu instid0(VALU_DEP_1) | instskip(SKIP_1) | instid1(VALU_DEP_2)
	v_fma_f64 v[10:11], v[6:7], v[10:11], 1.0
	v_add_f64_e32 v[0:1], 0x3fe5a84e9035a22a, v[0:1]
	v_fma_f64 v[6:7], v[6:7], v[10:11], 1.0
	s_delay_alu instid0(VALU_DEP_2) | instskip(NEXT) | instid1(VALU_DEP_2)
	v_add_f64_e64 v[0:1], v[0:1], -v[8:9]
	v_ldexp_f64 v[6:7], v[6:7], v3
	s_delay_alu instid0(VALU_DEP_2) | instskip(NEXT) | instid1(VALU_DEP_1)
	v_mul_f64_e32 v[0:1], 0.5, v[0:1]
	v_mul_f64_e32 v[0:1], v[6:7], v[0:1]
                                        ; implicit-def: $vgpr6_vgpr7
.LBB9_708:
	s_and_not1_saveexec_b32 s0, s0
	s_cbranch_execz .LBB9_710
; %bb.709:
	v_and_b32_e32 v1, 0x7fffffff, v7
	v_mov_b32_e32 v0, v6
	s_mov_b64 s[24:25], 0xbc60adb754ca8b19
	v_cmp_gt_f64_e64 s23, 0x10000000, |v[6:7]|
	s_delay_alu instid0(VALU_DEP_2) | instskip(SKIP_1) | instid1(VALU_DEP_3)
	v_div_scale_f64 v[8:9], null, v[0:1], v[0:1], 0x40400000
	v_div_scale_f64 v[0:1], vcc_lo, 0x40400000, v[0:1], 0x40400000
	v_cndmask_b32_e64 v3, 0, 0x100, s23
	s_delay_alu instid0(VALU_DEP_3) | instskip(SKIP_1) | instid1(TRANS32_DEP_1)
	v_rcp_f64_e32 v[10:11], v[8:9]
	v_nop
	v_fma_f64 v[12:13], -v[8:9], v[10:11], 1.0
	s_delay_alu instid0(VALU_DEP_1) | instskip(NEXT) | instid1(VALU_DEP_1)
	v_fmac_f64_e32 v[10:11], v[10:11], v[12:13]
	v_fma_f64 v[12:13], -v[8:9], v[10:11], 1.0
	s_delay_alu instid0(VALU_DEP_1) | instskip(NEXT) | instid1(VALU_DEP_1)
	v_fmac_f64_e32 v[10:11], v[10:11], v[12:13]
	v_mul_f64_e32 v[12:13], v[0:1], v[10:11]
	s_delay_alu instid0(VALU_DEP_1) | instskip(NEXT) | instid1(VALU_DEP_1)
	v_fma_f64 v[0:1], -v[8:9], v[12:13], v[0:1]
	v_div_fmas_f64 v[0:1], v[0:1], v[10:11], v[12:13]
	v_ldexp_f64 v[12:13], |v[6:7]|, v3
	v_cmp_nlt_f64_e64 vcc_lo, 0x40900000, |v[6:7]|
	s_delay_alu instid0(VALU_DEP_3) | instskip(NEXT) | instid1(VALU_DEP_3)
	v_div_fixup_f64 v[0:1], v[0:1], |v[6:7]|, 0x40400000
	v_rsq_f64_e32 v[16:17], v[12:13]
	s_delay_alu instid0(VALU_DEP_1) | instskip(NEXT) | instid1(TRANS32_DEP_1)
	v_add_f64_e32 v[0:1], -2.0, v[0:1]
	v_mul_f64_e32 v[18:19], v[12:13], v[16:17]
	v_mul_f64_e32 v[16:17], 0.5, v[16:17]
	s_delay_alu instid0(VALU_DEP_3) | instskip(SKIP_1) | instid1(SALU_CYCLE_1)
	v_fmaak_f64 v[8:9], s[24:25], v[0:1], 0xbc5646da66119130
	s_mov_b64 s[24:25], 0x3ff71547652b82fe
	v_mul_f64_e64 v[14:15], |v[6:7]|, s[24:25]
	s_mov_b64 s[24:25], 0xbfe62e42fefa39ef
	s_delay_alu instid0(VALU_DEP_2) | instskip(NEXT) | instid1(VALU_DEP_4)
	v_fmaak_f64 v[10:11], v[0:1], v[8:9], 0x3c60adb754ca8b19
	v_fma_f64 v[22:23], -v[16:17], v[18:19], 0.5
	s_delay_alu instid0(VALU_DEP_2) | instskip(NEXT) | instid1(VALU_DEP_4)
	v_add_f64_e32 v[10:11], 0x3c89be1812d98421, v[10:11]
	v_rndne_f64_e32 v[14:15], v[14:15]
	s_delay_alu instid0(VALU_DEP_3) | instskip(SKIP_1) | instid1(VALU_DEP_4)
	v_fmac_f64_e32 v[18:19], v[18:19], v[22:23]
	v_fmac_f64_e32 v[16:17], v[16:17], v[22:23]
	v_fma_f64 v[8:9], v[0:1], v[10:11], -v[8:9]
	s_delay_alu instid0(VALU_DEP_4) | instskip(SKIP_2) | instid1(VALU_DEP_3)
	v_fma_f64 v[20:21], v[14:15], s[24:25], |v[6:7]|
	s_mov_b64 s[24:25], 0x3e5ade156a5dcb37
	v_cvt_i32_f64_e32 v3, v[14:15]
	v_add_f64_e32 v[8:9], 0x3c83f3dd076041cd, v[8:9]
	s_delay_alu instid0(VALU_DEP_3) | instskip(NEXT) | instid1(VALU_DEP_1)
	v_fmamk_f64 v[20:21], v[14:15], 0xbc7abc9e3b39803f, v[20:21]
	v_fmaak_f64 v[24:25], s[24:25], v[20:21], 0x3e928af3fca7ab0c
	s_delay_alu instid0(VALU_DEP_3) | instskip(NEXT) | instid1(VALU_DEP_2)
	v_fma_f64 v[10:11], v[0:1], v[8:9], -v[10:11]
	v_fmaak_f64 v[24:25], v[20:21], v[24:25], 0x3ec71dee623fde64
	s_delay_alu instid0(VALU_DEP_1) | instskip(NEXT) | instid1(VALU_DEP_1)
	v_fmaak_f64 v[24:25], v[20:21], v[24:25], 0x3efa01997c89e6b0
	v_fmaak_f64 v[24:25], v[20:21], v[24:25], 0x3f2a01a014761f6e
	s_delay_alu instid0(VALU_DEP_1) | instskip(NEXT) | instid1(VALU_DEP_1)
	v_fmaak_f64 v[24:25], v[20:21], v[24:25], 0x3f56c16c1852b7b0
	v_fmaak_f64 v[24:25], v[20:21], v[24:25], 0x3f81111111122322
	v_add_f64_e32 v[10:11], 0xbcb4600babd21fe4, v[10:11]
	s_delay_alu instid0(VALU_DEP_1) | instskip(NEXT) | instid1(VALU_DEP_1)
	v_fma_f64 v[8:9], v[0:1], v[10:11], -v[8:9]
	v_add_f64_e32 v[8:9], 0xbcb8aee7d908de38, v[8:9]
	s_delay_alu instid0(VALU_DEP_1) | instskip(NEXT) | instid1(VALU_DEP_1)
	v_fma_f64 v[10:11], v[0:1], v[8:9], -v[10:11]
	;; [unrolled: 3-line block ×19, first 2 shown]
	v_add_f64_e32 v[8:9], 0x3f6b998ca2e59049, v[8:9]
	s_delay_alu instid0(VALU_DEP_1) | instskip(SKIP_1) | instid1(VALU_DEP_1)
	v_fma_f64 v[0:1], v[0:1], v[8:9], -v[10:11]
	v_fmaak_f64 v[8:9], v[20:21], v[24:25], 0x3fa55555555502a1
	v_fmaak_f64 v[8:9], v[20:21], v[8:9], 0x3fc5555555555511
	s_delay_alu instid0(VALU_DEP_1) | instskip(NEXT) | instid1(VALU_DEP_1)
	v_fmaak_f64 v[8:9], v[20:21], v[8:9], 0x3fe000000000000b
	v_fma_f64 v[8:9], v[20:21], v[8:9], 1.0
	v_add_f64_e32 v[0:1], 0x3fe9be62aca809cb, v[0:1]
	s_delay_alu instid0(VALU_DEP_2) | instskip(NEXT) | instid1(VALU_DEP_2)
	v_fma_f64 v[8:9], v[20:21], v[8:9], 1.0
	v_add_f64_e64 v[0:1], v[0:1], -v[10:11]
	s_delay_alu instid0(VALU_DEP_2) | instskip(SKIP_1) | instid1(VALU_DEP_3)
	v_ldexp_f64 v[8:9], v[8:9], v3
	v_cndmask_b32_e64 v3, 0, 0xffffff80, s23
	v_mul_f64_e32 v[0:1], 0.5, v[0:1]
	s_delay_alu instid0(VALU_DEP_3) | instskip(NEXT) | instid1(VALU_DEP_4)
	v_cndmask_b32_e32 v7, 0x7ff00000, v9, vcc_lo
	v_cndmask_b32_e32 v6, 0, v8, vcc_lo
	v_cmp_class_f64_e64 vcc_lo, v[12:13], 0x260
	v_fma_f64 v[22:23], -v[18:19], v[18:19], v[12:13]
	s_delay_alu instid0(VALU_DEP_3) | instskip(NEXT) | instid1(VALU_DEP_2)
	v_mul_f64_e32 v[0:1], v[6:7], v[0:1]
	v_fmac_f64_e32 v[18:19], v[22:23], v[16:17]
	s_delay_alu instid0(VALU_DEP_1) | instskip(NEXT) | instid1(VALU_DEP_1)
	v_fma_f64 v[14:15], -v[18:19], v[18:19], v[12:13]
	v_fmac_f64_e32 v[18:19], v[14:15], v[16:17]
	s_delay_alu instid0(VALU_DEP_1) | instskip(NEXT) | instid1(VALU_DEP_1)
	v_ldexp_f64 v[8:9], v[18:19], v3
	v_dual_cndmask_b32 v7, v9, v13 :: v_dual_cndmask_b32 v6, v8, v12
	s_delay_alu instid0(VALU_DEP_1) | instskip(NEXT) | instid1(VALU_DEP_1)
	v_div_scale_f64 v[8:9], null, v[6:7], v[6:7], v[0:1]
	v_rcp_f64_e32 v[10:11], v[8:9]
	v_nop
	s_delay_alu instid0(TRANS32_DEP_1) | instskip(NEXT) | instid1(VALU_DEP_1)
	v_fma_f64 v[12:13], -v[8:9], v[10:11], 1.0
	v_fmac_f64_e32 v[10:11], v[10:11], v[12:13]
	s_delay_alu instid0(VALU_DEP_1) | instskip(NEXT) | instid1(VALU_DEP_1)
	v_fma_f64 v[12:13], -v[8:9], v[10:11], 1.0
	v_fmac_f64_e32 v[10:11], v[10:11], v[12:13]
	v_div_scale_f64 v[12:13], vcc_lo, v[0:1], v[6:7], v[0:1]
	s_delay_alu instid0(VALU_DEP_1) | instskip(NEXT) | instid1(VALU_DEP_1)
	v_mul_f64_e32 v[14:15], v[12:13], v[10:11]
	v_fma_f64 v[8:9], -v[8:9], v[14:15], v[12:13]
	s_delay_alu instid0(VALU_DEP_1) | instskip(NEXT) | instid1(VALU_DEP_1)
	v_div_fmas_f64 v[8:9], v[8:9], v[10:11], v[14:15]
	v_div_fixup_f64 v[0:1], v[8:9], v[6:7], v[0:1]
.LBB9_710:
	s_or_b32 exec_lo, exec_lo, s0
	v_mov_b32_e32 v3, 0
	s_and_b32 s23, s34, 0xff
	s_delay_alu instid0(SALU_CYCLE_1) | instskip(NEXT) | instid1(VALU_DEP_1)
	s_cmp_lt_i32 s23, 11
	v_add_nc_u64_e32 v[6:7], s[4:5], v[2:3]
	s_cbranch_scc1 .LBB9_718
; %bb.711:
	s_and_b32 s24, 0xffff, s23
	s_delay_alu instid0(SALU_CYCLE_1)
	s_cmp_gt_i32 s24, 25
	s_cbranch_scc0 .LBB9_719
; %bb.712:
	s_cmp_gt_i32 s24, 28
	s_cbranch_scc0 .LBB9_720
; %bb.713:
	;; [unrolled: 3-line block ×4, first 2 shown]
	s_mov_b32 s26, 0
	s_mov_b32 s0, -1
	s_cmp_eq_u32 s24, 46
	s_mov_b32 s25, 0
	s_cbranch_scc0 .LBB9_723
; %bb.716:
	s_delay_alu instid0(VALU_DEP_3) | instskip(SKIP_2) | instid1(VALU_DEP_1)
	v_cvt_f32_f64_e32 v2, v[0:1]
	s_mov_b32 s25, -1
	s_mov_b32 s0, 0
	v_bfe_u32 v3, v2, 16, 1
	v_cmp_o_f32_e32 vcc_lo, v2, v2
	s_delay_alu instid0(VALU_DEP_2) | instskip(NEXT) | instid1(VALU_DEP_1)
	v_add3_u32 v3, v2, v3, 0x7fff
	v_lshrrev_b32_e32 v3, 16, v3
	s_delay_alu instid0(VALU_DEP_1)
	v_cndmask_b32_e32 v2, 0x7fc0, v3, vcc_lo
	global_store_b32 v[6:7], v2, off
	s_branch .LBB9_723
.LBB9_717:
	s_mov_b32 s23, 0
	s_mov_b32 s0, s43
	s_branch .LBB9_834
.LBB9_718:
	s_mov_b32 s24, -1
	s_mov_b32 s25, 0
	s_mov_b32 s0, s43
	s_branch .LBB9_792
.LBB9_719:
	s_mov_b32 s26, -1
	s_mov_b32 s25, 0
	s_mov_b32 s0, s43
	s_branch .LBB9_750
.LBB9_720:
	s_mov_b32 s26, -1
	s_mov_b32 s25, 0
	s_mov_b32 s0, s43
	s_branch .LBB9_733
.LBB9_721:
	s_mov_b32 s26, -1
	s_mov_b32 s25, 0
	s_mov_b32 s0, s43
	s_branch .LBB9_729
.LBB9_722:
	s_mov_b32 s26, -1
	s_mov_b32 s25, 0
	s_mov_b32 s0, s43
.LBB9_723:
	s_and_b32 vcc_lo, exec_lo, s26
	s_cbranch_vccz .LBB9_728
; %bb.724:
	s_cmp_eq_u32 s24, 44
	s_mov_b32 s0, -1
	s_cbranch_scc0 .LBB9_728
; %bb.725:
	s_wait_xcnt 0x0
	s_delay_alu instid0(VALU_DEP_3) | instskip(SKIP_2) | instid1(VALU_DEP_2)
	v_cvt_f32_f64_e32 v2, v[0:1]
	v_mov_b32_e32 v3, 0xff
	s_mov_b32 s25, exec_lo
	v_bfe_u32 v5, v2, 23, 8
	s_delay_alu instid0(VALU_DEP_1)
	v_cmpx_ne_u32_e32 0xff, v5
	s_cbranch_execz .LBB9_727
; %bb.726:
	v_and_b32_e32 v3, 0x400000, v2
	v_and_or_b32 v5, 0x3fffff, v2, v5
	v_lshrrev_b32_e32 v2, 23, v2
	s_delay_alu instid0(VALU_DEP_3) | instskip(NEXT) | instid1(VALU_DEP_3)
	v_cmp_ne_u32_e32 vcc_lo, 0, v3
	v_cmp_ne_u32_e64 s0, 0, v5
	s_and_b32 s0, vcc_lo, s0
	s_delay_alu instid0(SALU_CYCLE_1) | instskip(NEXT) | instid1(VALU_DEP_1)
	v_cndmask_b32_e64 v3, 0, 1, s0
	v_add_nc_u32_e32 v3, v2, v3
.LBB9_727:
	s_or_b32 exec_lo, exec_lo, s25
	s_mov_b32 s25, -1
	s_mov_b32 s0, 0
	global_store_b8 v[6:7], v3, off
.LBB9_728:
	s_mov_b32 s26, 0
.LBB9_729:
	s_delay_alu instid0(SALU_CYCLE_1)
	s_and_b32 vcc_lo, exec_lo, s26
	s_cbranch_vccz .LBB9_732
; %bb.730:
	s_cmp_eq_u32 s24, 29
	s_mov_b32 s0, -1
	s_cbranch_scc0 .LBB9_732
; %bb.731:
	s_wait_xcnt 0x0
	s_delay_alu instid0(VALU_DEP_3) | instskip(SKIP_3) | instid1(VALU_DEP_1)
	v_trunc_f64_e32 v[2:3], v[0:1]
	s_mov_b32 s25, -1
	s_mov_b32 s0, 0
	s_mov_b32 s26, 0
	v_ldexp_f64 v[8:9], v[2:3], 0xffffffe0
	s_delay_alu instid0(VALU_DEP_1) | instskip(NEXT) | instid1(VALU_DEP_1)
	v_floor_f64_e32 v[8:9], v[8:9]
	v_fmamk_f64 v[2:3], v[8:9], 0xc1f00000, v[2:3]
	v_cvt_u32_f64_e32 v9, v[8:9]
	s_delay_alu instid0(VALU_DEP_2)
	v_cvt_u32_f64_e32 v8, v[2:3]
	global_store_b64 v[6:7], v[8:9], off
	s_branch .LBB9_733
.LBB9_732:
	s_mov_b32 s26, 0
.LBB9_733:
	s_delay_alu instid0(SALU_CYCLE_1)
	s_and_b32 vcc_lo, exec_lo, s26
	s_cbranch_vccz .LBB9_749
; %bb.734:
	s_cmp_lt_i32 s24, 27
	s_mov_b32 s25, -1
	s_cbranch_scc1 .LBB9_740
; %bb.735:
	s_wait_xcnt 0x0
	s_delay_alu instid0(VALU_DEP_3)
	v_cvt_u32_f64_e32 v2, v[0:1]
	s_cmp_gt_i32 s24, 27
	s_cbranch_scc0 .LBB9_737
; %bb.736:
	s_mov_b32 s25, 0
	global_store_b32 v[6:7], v2, off
.LBB9_737:
	s_and_not1_b32 vcc_lo, exec_lo, s25
	s_cbranch_vccnz .LBB9_739
; %bb.738:
	global_store_b16 v[6:7], v2, off
.LBB9_739:
	s_mov_b32 s25, 0
.LBB9_740:
	s_delay_alu instid0(SALU_CYCLE_1)
	s_and_not1_b32 vcc_lo, exec_lo, s25
	s_cbranch_vccnz .LBB9_748
; %bb.741:
	s_wait_xcnt 0x0
	s_delay_alu instid0(VALU_DEP_3) | instskip(SKIP_2) | instid1(VALU_DEP_2)
	v_cvt_f32_f64_e32 v2, v[0:1]
	v_mov_b32_e32 v5, 0x80
	s_mov_b32 s25, exec_lo
	v_and_b32_e32 v3, 0x7fffffff, v2
	s_delay_alu instid0(VALU_DEP_1)
	v_cmpx_gt_u32_e32 0x43800000, v3
	s_cbranch_execz .LBB9_747
; %bb.742:
	v_cmp_lt_u32_e32 vcc_lo, 0x3bffffff, v3
	s_mov_b32 s26, 0
                                        ; implicit-def: $vgpr3
	s_and_saveexec_b32 s27, vcc_lo
	s_delay_alu instid0(SALU_CYCLE_1)
	s_xor_b32 s27, exec_lo, s27
	s_cbranch_execz .LBB9_866
; %bb.743:
	v_bfe_u32 v3, v2, 20, 1
	s_mov_b32 s26, exec_lo
	s_delay_alu instid0(VALU_DEP_1) | instskip(NEXT) | instid1(VALU_DEP_1)
	v_add3_u32 v3, v2, v3, 0x487ffff
	v_lshrrev_b32_e32 v3, 20, v3
	s_and_not1_saveexec_b32 s27, s27
	s_cbranch_execnz .LBB9_867
.LBB9_744:
	s_or_b32 exec_lo, exec_lo, s27
	v_mov_b32_e32 v5, 0
	s_and_saveexec_b32 s27, s26
.LBB9_745:
	v_lshrrev_b32_e32 v2, 24, v2
	s_delay_alu instid0(VALU_DEP_1)
	v_and_or_b32 v5, 0x80, v2, v3
.LBB9_746:
	s_or_b32 exec_lo, exec_lo, s27
.LBB9_747:
	s_delay_alu instid0(SALU_CYCLE_1)
	s_or_b32 exec_lo, exec_lo, s25
	global_store_b8 v[6:7], v5, off
.LBB9_748:
	s_mov_b32 s25, -1
.LBB9_749:
	s_mov_b32 s26, 0
.LBB9_750:
	s_delay_alu instid0(SALU_CYCLE_1)
	s_and_b32 vcc_lo, exec_lo, s26
	s_cbranch_vccz .LBB9_791
; %bb.751:
	s_cmp_gt_i32 s24, 22
	s_mov_b32 s26, -1
	s_cbranch_scc0 .LBB9_783
; %bb.752:
	s_cmp_lt_i32 s24, 24
	s_mov_b32 s25, -1
	s_cbranch_scc1 .LBB9_772
; %bb.753:
	s_cmp_gt_i32 s24, 24
	s_cbranch_scc0 .LBB9_761
; %bb.754:
	s_wait_xcnt 0x0
	s_delay_alu instid0(VALU_DEP_3) | instskip(SKIP_2) | instid1(VALU_DEP_2)
	v_cvt_f32_f64_e32 v2, v[0:1]
	v_mov_b32_e32 v5, 0x80
	s_mov_b32 s25, exec_lo
	v_and_b32_e32 v3, 0x7fffffff, v2
	s_delay_alu instid0(VALU_DEP_1)
	v_cmpx_gt_u32_e32 0x47800000, v3
	s_cbranch_execz .LBB9_760
; %bb.755:
	v_cmp_lt_u32_e32 vcc_lo, 0x37ffffff, v3
	s_mov_b32 s26, 0
                                        ; implicit-def: $vgpr3
	s_and_saveexec_b32 s27, vcc_lo
	s_delay_alu instid0(SALU_CYCLE_1)
	s_xor_b32 s27, exec_lo, s27
	s_cbranch_execz .LBB9_869
; %bb.756:
	v_bfe_u32 v3, v2, 21, 1
	s_mov_b32 s26, exec_lo
	s_delay_alu instid0(VALU_DEP_1) | instskip(NEXT) | instid1(VALU_DEP_1)
	v_add3_u32 v3, v2, v3, 0x88fffff
	v_lshrrev_b32_e32 v3, 21, v3
	s_and_not1_saveexec_b32 s27, s27
	s_cbranch_execnz .LBB9_870
.LBB9_757:
	s_or_b32 exec_lo, exec_lo, s27
	v_mov_b32_e32 v5, 0
	s_and_saveexec_b32 s27, s26
.LBB9_758:
	v_lshrrev_b32_e32 v2, 24, v2
	s_delay_alu instid0(VALU_DEP_1)
	v_and_or_b32 v5, 0x80, v2, v3
.LBB9_759:
	s_or_b32 exec_lo, exec_lo, s27
.LBB9_760:
	s_delay_alu instid0(SALU_CYCLE_1)
	s_or_b32 exec_lo, exec_lo, s25
	s_mov_b32 s25, 0
	global_store_b8 v[6:7], v5, off
.LBB9_761:
	s_and_b32 vcc_lo, exec_lo, s25
	s_cbranch_vccz .LBB9_771
; %bb.762:
	s_wait_xcnt 0x0
	s_delay_alu instid0(VALU_DEP_3) | instskip(SKIP_1) | instid1(VALU_DEP_1)
	v_cvt_f32_f64_e32 v2, v[0:1]
	s_mov_b32 s25, exec_lo
                                        ; implicit-def: $vgpr3
	v_and_b32_e32 v5, 0x7fffffff, v2
	s_delay_alu instid0(VALU_DEP_1)
	v_cmpx_gt_u32_e32 0x43f00000, v5
	s_xor_b32 s25, exec_lo, s25
	s_cbranch_execz .LBB9_768
; %bb.763:
	s_mov_b32 s26, exec_lo
                                        ; implicit-def: $vgpr3
	v_cmpx_lt_u32_e32 0x3c7fffff, v5
	s_xor_b32 s26, exec_lo, s26
; %bb.764:
	v_bfe_u32 v3, v2, 20, 1
	s_delay_alu instid0(VALU_DEP_1) | instskip(NEXT) | instid1(VALU_DEP_1)
	v_add3_u32 v3, v2, v3, 0x407ffff
	v_and_b32_e32 v5, 0xff00000, v3
	v_lshrrev_b32_e32 v3, 20, v3
	s_delay_alu instid0(VALU_DEP_2) | instskip(NEXT) | instid1(VALU_DEP_2)
	v_cmp_ne_u32_e32 vcc_lo, 0x7f00000, v5
	v_cndmask_b32_e32 v3, 0x7e, v3, vcc_lo
; %bb.765:
	s_and_not1_saveexec_b32 s26, s26
; %bb.766:
	v_add_f32_e64 v3, 0x46800000, |v2|
; %bb.767:
	s_or_b32 exec_lo, exec_lo, s26
                                        ; implicit-def: $vgpr5
.LBB9_768:
	s_and_not1_saveexec_b32 s25, s25
; %bb.769:
	v_mov_b32_e32 v3, 0x7f
	v_cmp_lt_u32_e32 vcc_lo, 0x7f800000, v5
	s_delay_alu instid0(VALU_DEP_2)
	v_cndmask_b32_e32 v3, 0x7e, v3, vcc_lo
; %bb.770:
	s_or_b32 exec_lo, exec_lo, s25
	v_lshrrev_b32_e32 v2, 24, v2
	s_delay_alu instid0(VALU_DEP_1)
	v_and_or_b32 v2, 0x80, v2, v3
	global_store_b8 v[6:7], v2, off
.LBB9_771:
	s_mov_b32 s25, 0
.LBB9_772:
	s_delay_alu instid0(SALU_CYCLE_1)
	s_and_not1_b32 vcc_lo, exec_lo, s25
	s_cbranch_vccnz .LBB9_782
; %bb.773:
	s_wait_xcnt 0x0
	s_delay_alu instid0(VALU_DEP_3) | instskip(SKIP_1) | instid1(VALU_DEP_1)
	v_cvt_f32_f64_e32 v2, v[0:1]
	s_mov_b32 s25, exec_lo
                                        ; implicit-def: $vgpr3
	v_and_b32_e32 v5, 0x7fffffff, v2
	s_delay_alu instid0(VALU_DEP_1)
	v_cmpx_gt_u32_e32 0x47800000, v5
	s_xor_b32 s25, exec_lo, s25
	s_cbranch_execz .LBB9_779
; %bb.774:
	s_mov_b32 s26, exec_lo
                                        ; implicit-def: $vgpr3
	v_cmpx_lt_u32_e32 0x387fffff, v5
	s_xor_b32 s26, exec_lo, s26
; %bb.775:
	v_bfe_u32 v3, v2, 21, 1
	s_delay_alu instid0(VALU_DEP_1) | instskip(NEXT) | instid1(VALU_DEP_1)
	v_add3_u32 v3, v2, v3, 0x80fffff
	v_lshrrev_b32_e32 v3, 21, v3
; %bb.776:
	s_and_not1_saveexec_b32 s26, s26
; %bb.777:
	v_add_f32_e64 v3, 0x43000000, |v2|
; %bb.778:
	s_or_b32 exec_lo, exec_lo, s26
                                        ; implicit-def: $vgpr5
.LBB9_779:
	s_and_not1_saveexec_b32 s25, s25
; %bb.780:
	v_mov_b32_e32 v3, 0x7f
	v_cmp_lt_u32_e32 vcc_lo, 0x7f800000, v5
	s_delay_alu instid0(VALU_DEP_2)
	v_cndmask_b32_e32 v3, 0x7c, v3, vcc_lo
; %bb.781:
	s_or_b32 exec_lo, exec_lo, s25
	v_lshrrev_b32_e32 v2, 24, v2
	s_delay_alu instid0(VALU_DEP_1)
	v_and_or_b32 v2, 0x80, v2, v3
	global_store_b8 v[6:7], v2, off
.LBB9_782:
	s_mov_b32 s26, 0
	s_mov_b32 s25, -1
.LBB9_783:
	s_and_not1_b32 vcc_lo, exec_lo, s26
	s_cbranch_vccnz .LBB9_791
; %bb.784:
	s_cmp_gt_i32 s24, 14
	s_mov_b32 s26, -1
	s_cbranch_scc0 .LBB9_788
; %bb.785:
	s_cmp_eq_u32 s24, 15
	s_mov_b32 s0, -1
	s_cbranch_scc0 .LBB9_787
; %bb.786:
	s_wait_xcnt 0x0
	s_delay_alu instid0(VALU_DEP_3) | instskip(SKIP_2) | instid1(VALU_DEP_1)
	v_cvt_f32_f64_e32 v2, v[0:1]
	s_mov_b32 s25, -1
	s_mov_b32 s0, 0
	v_bfe_u32 v3, v2, 16, 1
	v_cmp_o_f32_e32 vcc_lo, v2, v2
	s_delay_alu instid0(VALU_DEP_2) | instskip(NEXT) | instid1(VALU_DEP_1)
	v_add3_u32 v3, v2, v3, 0x7fff
	v_lshrrev_b32_e32 v3, 16, v3
	s_delay_alu instid0(VALU_DEP_1)
	v_cndmask_b32_e32 v2, 0x7fc0, v3, vcc_lo
	global_store_b16 v[6:7], v2, off
.LBB9_787:
	s_mov_b32 s26, 0
.LBB9_788:
	s_delay_alu instid0(SALU_CYCLE_1)
	s_and_b32 vcc_lo, exec_lo, s26
	s_cbranch_vccz .LBB9_791
; %bb.789:
	s_cmp_eq_u32 s24, 11
	s_mov_b32 s0, -1
	s_cbranch_scc0 .LBB9_791
; %bb.790:
	s_delay_alu instid0(VALU_DEP_3)
	v_cmp_neq_f64_e32 vcc_lo, 0, v[0:1]
	s_mov_b32 s25, -1
	s_mov_b32 s0, 0
	s_wait_xcnt 0x0
	v_cndmask_b32_e64 v2, 0, 1, vcc_lo
	global_store_b8 v[6:7], v2, off
.LBB9_791:
	s_mov_b32 s24, 0
.LBB9_792:
	s_delay_alu instid0(SALU_CYCLE_1)
	s_and_b32 vcc_lo, exec_lo, s24
	s_cbranch_vccz .LBB9_831
; %bb.793:
	s_and_b32 s23, 0xffff, s23
	s_mov_b32 s24, -1
	s_cmp_lt_i32 s23, 5
	s_cbranch_scc1 .LBB9_814
; %bb.794:
	s_cmp_lt_i32 s23, 8
	s_cbranch_scc1 .LBB9_804
; %bb.795:
	;; [unrolled: 3-line block ×3, first 2 shown]
	s_cmp_gt_i32 s23, 9
	s_cbranch_scc0 .LBB9_798
; %bb.797:
	s_wait_xcnt 0x0
	v_mov_b32_e32 v2, 0
	s_mov_b32 s24, 0
	s_delay_alu instid0(VALU_DEP_1)
	v_mov_b32_e32 v3, v2
	global_store_b128 v[6:7], v[0:3], off
.LBB9_798:
	s_and_not1_b32 vcc_lo, exec_lo, s24
	s_cbranch_vccnz .LBB9_800
; %bb.799:
	s_wait_xcnt 0x0
	s_delay_alu instid0(VALU_DEP_3)
	v_cvt_f32_f64_e32 v2, v[0:1]
	v_mov_b32_e32 v3, 0
	global_store_b64 v[6:7], v[2:3], off
.LBB9_800:
	s_mov_b32 s24, 0
.LBB9_801:
	s_delay_alu instid0(SALU_CYCLE_1)
	s_and_not1_b32 vcc_lo, exec_lo, s24
	s_cbranch_vccnz .LBB9_803
; %bb.802:
	s_wait_xcnt 0x0
	s_delay_alu instid0(VALU_DEP_3) | instskip(SKIP_2) | instid1(VALU_DEP_3)
	v_and_or_b32 v2, 0x1ff, v1, v0
	v_lshrrev_b32_e32 v3, 8, v1
	v_bfe_u32 v5, v1, 20, 11
	v_cmp_ne_u32_e32 vcc_lo, 0, v2
	s_delay_alu instid0(VALU_DEP_2) | instskip(SKIP_2) | instid1(VALU_DEP_1)
	v_sub_nc_u32_e32 v8, 0x3f1, v5
	v_add_nc_u32_e32 v5, 0xfffffc10, v5
	v_cndmask_b32_e64 v2, 0, 1, vcc_lo
	v_and_or_b32 v2, 0xffe, v3, v2
	s_delay_alu instid0(VALU_DEP_4) | instskip(NEXT) | instid1(VALU_DEP_2)
	v_med3_i32 v3, v8, 0, 13
	v_or_b32_e32 v8, 0x1000, v2
	s_delay_alu instid0(VALU_DEP_1) | instskip(NEXT) | instid1(VALU_DEP_1)
	v_lshrrev_b32_e32 v9, v3, v8
	v_lshlrev_b32_e32 v3, v3, v9
	s_delay_alu instid0(VALU_DEP_1) | instskip(SKIP_3) | instid1(VALU_DEP_2)
	v_cmp_ne_u32_e32 vcc_lo, v3, v8
	v_lshl_or_b32 v8, v5, 12, v2
	v_cndmask_b32_e64 v3, 0, 1, vcc_lo
	v_cmp_gt_i32_e32 vcc_lo, 1, v5
	v_or_b32_e32 v3, v9, v3
	s_delay_alu instid0(VALU_DEP_1) | instskip(NEXT) | instid1(VALU_DEP_1)
	v_cndmask_b32_e32 v3, v8, v3, vcc_lo
	v_dual_lshrrev_b32 v3, 2, v3 :: v_dual_bitop2_b32 v8, 7, v3 bitop3:0x40
	s_delay_alu instid0(VALU_DEP_1) | instskip(SKIP_4) | instid1(VALU_DEP_2)
	v_cmp_lt_i32_e32 vcc_lo, 5, v8
	v_cndmask_b32_e64 v9, 0, 1, vcc_lo
	v_cmp_eq_u32_e32 vcc_lo, 3, v8
	v_cndmask_b32_e64 v8, 0, 1, vcc_lo
	v_cmp_ne_u32_e32 vcc_lo, 0, v2
	v_or_b32_e32 v8, v8, v9
	v_mov_b32_e32 v9, 0x7e00
	s_delay_alu instid0(VALU_DEP_1) | instskip(SKIP_1) | instid1(VALU_DEP_2)
	v_dual_cndmask_b32 v2, 0x7c00, v9 :: v_dual_add_nc_u32 v3, v3, v8
	v_cmp_gt_i32_e32 vcc_lo, 31, v5
	v_dual_cndmask_b32 v3, 0x7c00, v3 :: v_dual_lshrrev_b32 v8, 16, v1
	v_cmp_eq_u32_e32 vcc_lo, 0x40f, v5
	s_delay_alu instid0(VALU_DEP_2) | instskip(NEXT) | instid1(VALU_DEP_3)
	v_cndmask_b32_e32 v2, v3, v2, vcc_lo
	v_and_b32_e32 v3, 0x8000, v8
	s_delay_alu instid0(VALU_DEP_1)
	v_bitop3_b32 v2, v3, 0xffff, v2 bitop3:0xc8
	global_store_b32 v[6:7], v2, off
.LBB9_803:
	s_mov_b32 s24, 0
.LBB9_804:
	s_delay_alu instid0(SALU_CYCLE_1)
	s_and_not1_b32 vcc_lo, exec_lo, s24
	s_cbranch_vccnz .LBB9_813
; %bb.805:
	s_cmp_lt_i32 s23, 6
	s_mov_b32 s24, -1
	s_cbranch_scc1 .LBB9_811
; %bb.806:
	s_cmp_gt_i32 s23, 6
	s_cbranch_scc0 .LBB9_808
; %bb.807:
	s_mov_b32 s24, 0
	global_store_b64 v[6:7], v[0:1], off
.LBB9_808:
	s_and_not1_b32 vcc_lo, exec_lo, s24
	s_cbranch_vccnz .LBB9_810
; %bb.809:
	s_wait_xcnt 0x0
	s_delay_alu instid0(VALU_DEP_3)
	v_cvt_f32_f64_e32 v2, v[0:1]
	global_store_b32 v[6:7], v2, off
.LBB9_810:
	s_mov_b32 s24, 0
.LBB9_811:
	s_delay_alu instid0(SALU_CYCLE_1)
	s_and_not1_b32 vcc_lo, exec_lo, s24
	s_cbranch_vccnz .LBB9_813
; %bb.812:
	s_wait_xcnt 0x0
	s_delay_alu instid0(VALU_DEP_3) | instskip(SKIP_2) | instid1(VALU_DEP_3)
	v_and_or_b32 v2, 0x1ff, v1, v0
	v_lshrrev_b32_e32 v3, 8, v1
	v_bfe_u32 v5, v1, 20, 11
	v_cmp_ne_u32_e32 vcc_lo, 0, v2
	s_delay_alu instid0(VALU_DEP_2) | instskip(SKIP_2) | instid1(VALU_DEP_1)
	v_sub_nc_u32_e32 v8, 0x3f1, v5
	v_add_nc_u32_e32 v5, 0xfffffc10, v5
	v_cndmask_b32_e64 v2, 0, 1, vcc_lo
	v_and_or_b32 v2, 0xffe, v3, v2
	s_delay_alu instid0(VALU_DEP_4) | instskip(NEXT) | instid1(VALU_DEP_2)
	v_med3_i32 v3, v8, 0, 13
	v_or_b32_e32 v8, 0x1000, v2
	s_delay_alu instid0(VALU_DEP_1) | instskip(NEXT) | instid1(VALU_DEP_1)
	v_lshrrev_b32_e32 v9, v3, v8
	v_lshlrev_b32_e32 v3, v3, v9
	s_delay_alu instid0(VALU_DEP_1) | instskip(SKIP_3) | instid1(VALU_DEP_2)
	v_cmp_ne_u32_e32 vcc_lo, v3, v8
	v_lshl_or_b32 v8, v5, 12, v2
	v_cndmask_b32_e64 v3, 0, 1, vcc_lo
	v_cmp_gt_i32_e32 vcc_lo, 1, v5
	v_or_b32_e32 v3, v9, v3
	s_delay_alu instid0(VALU_DEP_1) | instskip(NEXT) | instid1(VALU_DEP_1)
	v_cndmask_b32_e32 v3, v8, v3, vcc_lo
	v_dual_lshrrev_b32 v3, 2, v3 :: v_dual_bitop2_b32 v8, 7, v3 bitop3:0x40
	s_delay_alu instid0(VALU_DEP_1) | instskip(SKIP_4) | instid1(VALU_DEP_2)
	v_cmp_lt_i32_e32 vcc_lo, 5, v8
	v_cndmask_b32_e64 v9, 0, 1, vcc_lo
	v_cmp_eq_u32_e32 vcc_lo, 3, v8
	v_cndmask_b32_e64 v8, 0, 1, vcc_lo
	v_cmp_ne_u32_e32 vcc_lo, 0, v2
	v_or_b32_e32 v8, v8, v9
	v_mov_b32_e32 v9, 0x7e00
	s_delay_alu instid0(VALU_DEP_1) | instskip(SKIP_1) | instid1(VALU_DEP_2)
	v_dual_cndmask_b32 v2, 0x7c00, v9 :: v_dual_add_nc_u32 v3, v3, v8
	v_cmp_gt_i32_e32 vcc_lo, 31, v5
	v_cndmask_b32_e32 v3, 0x7c00, v3, vcc_lo
	v_cmp_eq_u32_e32 vcc_lo, 0x40f, v5
	s_delay_alu instid0(VALU_DEP_2) | instskip(NEXT) | instid1(VALU_DEP_1)
	v_dual_cndmask_b32 v2, v3, v2 :: v_dual_lshrrev_b32 v3, 16, v1
	v_and_or_b32 v2, 0x8000, v3, v2
	global_store_b16 v[6:7], v2, off
.LBB9_813:
	s_mov_b32 s24, 0
.LBB9_814:
	s_delay_alu instid0(SALU_CYCLE_1)
	s_and_not1_b32 vcc_lo, exec_lo, s24
	s_cbranch_vccnz .LBB9_830
; %bb.815:
	s_cmp_lt_i32 s23, 2
	s_mov_b32 s24, -1
	s_cbranch_scc1 .LBB9_825
; %bb.816:
	s_cmp_lt_i32 s23, 3
	s_cbranch_scc1 .LBB9_822
; %bb.817:
	s_cmp_gt_i32 s23, 3
	s_cbranch_scc0 .LBB9_819
; %bb.818:
	s_wait_xcnt 0x0
	s_delay_alu instid0(VALU_DEP_3) | instskip(SKIP_1) | instid1(VALU_DEP_1)
	v_trunc_f64_e32 v[2:3], v[0:1]
	s_mov_b32 s24, 0
	v_ldexp_f64 v[8:9], v[2:3], 0xffffffe0
	s_delay_alu instid0(VALU_DEP_1) | instskip(NEXT) | instid1(VALU_DEP_1)
	v_floor_f64_e32 v[8:9], v[8:9]
	v_fmamk_f64 v[2:3], v[8:9], 0xc1f00000, v[2:3]
	v_cvt_i32_f64_e32 v9, v[8:9]
	s_delay_alu instid0(VALU_DEP_2)
	v_cvt_u32_f64_e32 v8, v[2:3]
	global_store_b64 v[6:7], v[8:9], off
.LBB9_819:
	s_and_not1_b32 vcc_lo, exec_lo, s24
	s_cbranch_vccnz .LBB9_821
; %bb.820:
	s_wait_xcnt 0x0
	s_delay_alu instid0(VALU_DEP_3)
	v_cvt_i32_f64_e32 v2, v[0:1]
	global_store_b32 v[6:7], v2, off
.LBB9_821:
	s_mov_b32 s24, 0
.LBB9_822:
	s_delay_alu instid0(SALU_CYCLE_1)
	s_and_not1_b32 vcc_lo, exec_lo, s24
	s_cbranch_vccnz .LBB9_824
; %bb.823:
	s_wait_xcnt 0x0
	s_delay_alu instid0(VALU_DEP_3)
	v_cvt_i32_f64_e32 v2, v[0:1]
	global_store_b16 v[6:7], v2, off
.LBB9_824:
	s_mov_b32 s24, 0
.LBB9_825:
	s_delay_alu instid0(SALU_CYCLE_1)
	s_and_not1_b32 vcc_lo, exec_lo, s24
	s_cbranch_vccnz .LBB9_830
; %bb.826:
	s_cmp_gt_i32 s23, 0
	s_mov_b32 s23, -1
	s_cbranch_scc0 .LBB9_828
; %bb.827:
	s_wait_xcnt 0x0
	s_delay_alu instid0(VALU_DEP_3)
	v_cvt_i32_f64_e32 v2, v[0:1]
	s_mov_b32 s23, 0
	global_store_b8 v[6:7], v2, off
.LBB9_828:
	s_and_not1_b32 vcc_lo, exec_lo, s23
	s_cbranch_vccnz .LBB9_830
; %bb.829:
	s_wait_xcnt 0x0
	s_delay_alu instid0(VALU_DEP_3) | instskip(NEXT) | instid1(VALU_DEP_1)
	v_trunc_f64_e32 v[0:1], v[0:1]
	v_ldexp_f64 v[2:3], v[0:1], 0xffffffe0
	s_delay_alu instid0(VALU_DEP_1) | instskip(NEXT) | instid1(VALU_DEP_1)
	v_floor_f64_e32 v[2:3], v[2:3]
	v_fmamk_f64 v[0:1], v[2:3], 0xc1f00000, v[0:1]
	s_delay_alu instid0(VALU_DEP_1)
	v_cvt_u32_f64_e32 v0, v[0:1]
	global_store_b8 v[6:7], v0, off
.LBB9_830:
	s_mov_b32 s25, -1
.LBB9_831:
	s_delay_alu instid0(SALU_CYCLE_1)
	s_and_not1_b32 vcc_lo, exec_lo, s25
	s_cbranch_vccnz .LBB9_833
; %bb.832:
	v_add_nc_u32_e32 v4, 0x80, v4
	s_mov_b32 s23, -1
	s_branch .LBB9_835
.LBB9_833:
	s_mov_b32 s23, 0
.LBB9_834:
                                        ; implicit-def: $vgpr4
.LBB9_835:
	s_and_not1_b32 s24, s43, exec_lo
	s_and_b32 s0, s0, exec_lo
	s_and_not1_b32 s25, s42, exec_lo
	s_and_b32 s22, s22, exec_lo
	s_or_b32 s26, s24, s0
	s_or_b32 s0, s25, s22
	s_or_not1_b32 s25, s23, exec_lo
.LBB9_836:
	s_wait_xcnt 0x0
	s_or_b32 exec_lo, exec_lo, s45
	s_mov_b32 s23, 0
	s_mov_b32 s22, 0
	s_mov_b32 s24, 0
                                        ; implicit-def: $vgpr0_vgpr1
                                        ; implicit-def: $vgpr2
                                        ; implicit-def: $vgpr6_vgpr7
	s_and_saveexec_b32 s27, s25
	s_cbranch_execz .LBB9_938
; %bb.837:
	v_cmp_gt_i32_e32 vcc_lo, s36, v4
	s_mov_b32 s25, s0
                                        ; implicit-def: $vgpr0_vgpr1
                                        ; implicit-def: $vgpr2
                                        ; implicit-def: $vgpr6_vgpr7
	s_and_saveexec_b32 s36, vcc_lo
	s_cbranch_execz .LBB9_937
; %bb.838:
	s_and_not1_b32 vcc_lo, exec_lo, s31
	s_cbranch_vccnz .LBB9_844
; %bb.839:
	s_and_not1_b32 vcc_lo, exec_lo, s38
	s_cbranch_vccnz .LBB9_845
; %bb.840:
	s_add_co_i32 s37, s37, 1
	s_cmp_eq_u32 s29, 2
	s_cbranch_scc1 .LBB9_846
; %bb.841:
	v_dual_mov_b32 v2, 0 :: v_dual_mov_b32 v0, 0
	v_mov_b32_e32 v1, v4
	s_and_b32 s22, s37, 28
	s_mov_b64 s[24:25], s[2:3]
.LBB9_842:                              ; =>This Inner Loop Header: Depth=1
	s_clause 0x1
	s_load_b256 s[48:55], s[24:25], 0x4
	s_load_b128 s[64:67], s[24:25], 0x24
	s_load_b256 s[56:63], s[20:21], 0x0
	s_add_co_i32 s23, s23, 4
	s_wait_xcnt 0x0
	s_add_nc_u64 s[24:25], s[24:25], 48
	s_cmp_eq_u32 s22, s23
	s_add_nc_u64 s[20:21], s[20:21], 32
	s_wait_kmcnt 0x0
	v_mul_hi_u32 v3, s49, v1
	s_delay_alu instid0(VALU_DEP_1) | instskip(NEXT) | instid1(VALU_DEP_1)
	v_add_nc_u32_e32 v3, v1, v3
	v_lshrrev_b32_e32 v3, s50, v3
	s_delay_alu instid0(VALU_DEP_1) | instskip(NEXT) | instid1(VALU_DEP_1)
	v_mul_hi_u32 v5, s52, v3
	v_add_nc_u32_e32 v5, v3, v5
	s_delay_alu instid0(VALU_DEP_1) | instskip(SKIP_1) | instid1(VALU_DEP_1)
	v_lshrrev_b32_e32 v5, s53, v5
	s_wait_loadcnt 0x0
	v_mul_hi_u32 v6, s55, v5
	s_delay_alu instid0(VALU_DEP_1) | instskip(SKIP_1) | instid1(VALU_DEP_1)
	v_add_nc_u32_e32 v6, v5, v6
	v_mul_lo_u32 v7, v3, s48
	v_sub_nc_u32_e32 v1, v1, v7
	v_mul_lo_u32 v7, v5, s51
	s_delay_alu instid0(VALU_DEP_4) | instskip(NEXT) | instid1(VALU_DEP_3)
	v_lshrrev_b32_e32 v6, s64, v6
	v_mad_u32 v0, v1, s57, v0
	v_mad_u32 v1, v1, s56, v2
	s_delay_alu instid0(VALU_DEP_4) | instskip(NEXT) | instid1(VALU_DEP_4)
	v_sub_nc_u32_e32 v2, v3, v7
	v_mul_hi_u32 v8, s66, v6
	v_mul_lo_u32 v3, v6, s54
	s_delay_alu instid0(VALU_DEP_3) | instskip(SKIP_1) | instid1(VALU_DEP_3)
	v_mad_u32 v0, v2, s59, v0
	v_mad_u32 v2, v2, s58, v1
	v_dual_add_nc_u32 v7, v6, v8 :: v_dual_sub_nc_u32 v3, v5, v3
	s_delay_alu instid0(VALU_DEP_1) | instskip(NEXT) | instid1(VALU_DEP_2)
	v_lshrrev_b32_e32 v1, s67, v7
	v_mad_u32 v0, v3, s61, v0
	s_delay_alu instid0(VALU_DEP_4) | instskip(NEXT) | instid1(VALU_DEP_3)
	v_mad_u32 v2, v3, s60, v2
	v_mul_lo_u32 v5, v1, s65
	s_delay_alu instid0(VALU_DEP_1) | instskip(NEXT) | instid1(VALU_DEP_1)
	v_sub_nc_u32_e32 v3, v6, v5
	v_mad_u32 v0, v3, s63, v0
	s_delay_alu instid0(VALU_DEP_4)
	v_mad_u32 v2, v3, s62, v2
	s_cbranch_scc0 .LBB9_842
; %bb.843:
	s_delay_alu instid0(VALU_DEP_2)
	v_mov_b32_e32 v3, v0
	s_branch .LBB9_847
.LBB9_844:
	s_mov_b32 s20, -1
                                        ; implicit-def: $vgpr0
                                        ; implicit-def: $vgpr2
	s_branch .LBB9_852
.LBB9_845:
	v_dual_mov_b32 v0, 0 :: v_dual_mov_b32 v2, 0
	s_branch .LBB9_851
.LBB9_846:
	v_mov_b64_e32 v[2:3], 0
	v_mov_b32_e32 v1, v4
                                        ; implicit-def: $vgpr0
.LBB9_847:
	s_and_b32 s24, s37, 3
	s_mov_b32 s23, 0
	s_cmp_eq_u32 s24, 0
	s_cbranch_scc1 .LBB9_851
; %bb.848:
	s_lshl_b32 s20, s22, 3
	s_mov_b32 s21, s23
	s_mul_u64 s[22:23], s[22:23], 12
	s_add_nc_u64 s[20:21], s[2:3], s[20:21]
	s_add_nc_u64 s[22:23], s[2:3], s[22:23]
	s_add_nc_u64 s[20:21], s[20:21], 0xc4
.LBB9_849:                              ; =>This Inner Loop Header: Depth=1
	s_load_b96 s[48:50], s[22:23], 0x4
	s_load_b64 s[46:47], s[20:21], 0x0
	s_add_co_i32 s24, s24, -1
	s_wait_xcnt 0x0
	s_add_nc_u64 s[22:23], s[22:23], 12
	s_cmp_lg_u32 s24, 0
	s_add_nc_u64 s[20:21], s[20:21], 8
	s_wait_kmcnt 0x0
	v_mul_hi_u32 v0, s49, v1
	s_delay_alu instid0(VALU_DEP_1) | instskip(NEXT) | instid1(VALU_DEP_1)
	v_add_nc_u32_e32 v0, v1, v0
	v_lshrrev_b32_e32 v0, s50, v0
	s_delay_alu instid0(VALU_DEP_1) | instskip(NEXT) | instid1(VALU_DEP_1)
	v_mul_lo_u32 v5, v0, s48
	v_sub_nc_u32_e32 v1, v1, v5
	s_delay_alu instid0(VALU_DEP_1)
	v_mad_u32 v3, v1, s47, v3
	v_mad_u32 v2, v1, s46, v2
	v_mov_b32_e32 v1, v0
	s_cbranch_scc1 .LBB9_849
; %bb.850:
	s_delay_alu instid0(VALU_DEP_3)
	v_mov_b32_e32 v0, v3
.LBB9_851:
	s_mov_b32 s20, 0
.LBB9_852:
	s_delay_alu instid0(SALU_CYCLE_1)
	s_and_not1_b32 vcc_lo, exec_lo, s20
	s_cbranch_vccnz .LBB9_855
; %bb.853:
	v_mov_b32_e32 v5, 0
	s_and_not1_b32 vcc_lo, exec_lo, s35
	s_delay_alu instid0(VALU_DEP_1) | instskip(NEXT) | instid1(VALU_DEP_1)
	v_mul_u64_e32 v[0:1], s[16:17], v[4:5]
	v_add_nc_u32_e32 v0, v4, v1
	s_wait_loadcnt 0x0
	s_delay_alu instid0(VALU_DEP_1) | instskip(NEXT) | instid1(VALU_DEP_1)
	v_lshrrev_b32_e32 v6, s14, v0
	v_mul_lo_u32 v0, v6, s12
	s_delay_alu instid0(VALU_DEP_1) | instskip(NEXT) | instid1(VALU_DEP_1)
	v_sub_nc_u32_e32 v1, v4, v0
	v_mul_lo_u32 v0, v1, s9
	v_mul_lo_u32 v2, v1, s8
	s_cbranch_vccnz .LBB9_855
; %bb.854:
	v_mov_b32_e32 v7, v5
	s_delay_alu instid0(VALU_DEP_1) | instskip(NEXT) | instid1(VALU_DEP_1)
	v_mul_u64_e32 v[4:5], s[18:19], v[6:7]
	v_add_nc_u32_e32 v1, v6, v5
	s_delay_alu instid0(VALU_DEP_1) | instskip(NEXT) | instid1(VALU_DEP_1)
	v_lshrrev_b32_e32 v1, s1, v1
	v_mul_lo_u32 v1, v1, s15
	s_delay_alu instid0(VALU_DEP_1) | instskip(NEXT) | instid1(VALU_DEP_1)
	v_sub_nc_u32_e32 v1, v6, v1
	v_mad_u32 v2, v1, s10, v2
	v_mad_u32 v0, v1, s11, v0
.LBB9_855:
	v_mov_b32_e32 v1, 0
	s_and_b32 s1, 0xffff, s13
	s_delay_alu instid0(SALU_CYCLE_1) | instskip(NEXT) | instid1(VALU_DEP_1)
	s_cmp_lt_i32 s1, 11
	v_add_nc_u64_e32 v[0:1], s[6:7], v[0:1]
	s_cbranch_scc1 .LBB9_862
; %bb.856:
	s_cmp_gt_i32 s1, 25
	s_mov_b32 s7, 0
	s_cbranch_scc0 .LBB9_863
; %bb.857:
	s_cmp_gt_i32 s1, 28
	s_cbranch_scc0 .LBB9_864
; %bb.858:
	s_cmp_gt_i32 s1, 43
	;; [unrolled: 3-line block ×3, first 2 shown]
	s_cbranch_scc0 .LBB9_868
; %bb.860:
	s_cmp_eq_u32 s1, 46
	s_mov_b32 s9, 0
	s_cbranch_scc0 .LBB9_871
; %bb.861:
	global_load_b32 v3, v[0:1], off
	s_mov_b32 s6, 0
	s_mov_b32 s8, -1
	s_wait_loadcnt 0x0
	v_lshlrev_b32_e32 v3, 16, v3
	s_delay_alu instid0(VALU_DEP_1)
	v_cvt_f64_f32_e32 v[6:7], v3
	s_branch .LBB9_873
.LBB9_862:
	s_mov_b32 s1, -1
	s_mov_b32 s8, 0
	s_mov_b32 s7, 0
	;; [unrolled: 1-line block ×3, first 2 shown]
                                        ; implicit-def: $vgpr6_vgpr7
	s_branch .LBB9_936
.LBB9_863:
	s_mov_b32 s9, -1
	s_mov_b32 s8, 0
	s_mov_b32 s6, s0
                                        ; implicit-def: $vgpr6_vgpr7
	s_branch .LBB9_902
.LBB9_864:
	s_mov_b32 s9, -1
	s_mov_b32 s8, 0
	s_mov_b32 s6, s0
                                        ; implicit-def: $vgpr6_vgpr7
	s_branch .LBB9_883
.LBB9_865:
	s_mov_b32 s9, -1
	s_mov_b32 s8, 0
	s_mov_b32 s6, s0
                                        ; implicit-def: $vgpr6_vgpr7
	s_branch .LBB9_878
.LBB9_866:
	s_and_not1_saveexec_b32 s27, s27
	s_cbranch_execz .LBB9_744
.LBB9_867:
	v_add_f32_e64 v3, 0x46000000, |v2|
	s_and_not1_b32 s26, s26, exec_lo
	s_delay_alu instid0(VALU_DEP_1) | instskip(NEXT) | instid1(VALU_DEP_1)
	v_and_b32_e32 v3, 0xff, v3
	v_cmp_ne_u32_e32 vcc_lo, 0, v3
	s_and_b32 s46, vcc_lo, exec_lo
	s_delay_alu instid0(SALU_CYCLE_1)
	s_or_b32 s26, s26, s46
	s_or_b32 exec_lo, exec_lo, s27
	v_mov_b32_e32 v5, 0
	s_and_saveexec_b32 s27, s26
	s_cbranch_execnz .LBB9_745
	s_branch .LBB9_746
.LBB9_868:
	s_mov_b32 s9, -1
	s_mov_b32 s8, 0
	s_mov_b32 s6, s0
	s_branch .LBB9_872
.LBB9_869:
	s_and_not1_saveexec_b32 s27, s27
	s_cbranch_execz .LBB9_757
.LBB9_870:
	v_add_f32_e64 v3, 0x42800000, |v2|
	s_and_not1_b32 s26, s26, exec_lo
	s_delay_alu instid0(VALU_DEP_1) | instskip(NEXT) | instid1(VALU_DEP_1)
	v_and_b32_e32 v3, 0xff, v3
	v_cmp_ne_u32_e32 vcc_lo, 0, v3
	s_and_b32 s46, vcc_lo, exec_lo
	s_delay_alu instid0(SALU_CYCLE_1)
	s_or_b32 s26, s26, s46
	s_or_b32 exec_lo, exec_lo, s27
	v_mov_b32_e32 v5, 0
	s_and_saveexec_b32 s27, s26
	s_cbranch_execnz .LBB9_758
	s_branch .LBB9_759
.LBB9_871:
	s_mov_b32 s6, -1
	s_mov_b32 s8, 0
.LBB9_872:
                                        ; implicit-def: $vgpr6_vgpr7
.LBB9_873:
	s_and_b32 vcc_lo, exec_lo, s9
	s_cbranch_vccz .LBB9_877
; %bb.874:
	s_cmp_eq_u32 s1, 44
	s_cbranch_scc0 .LBB9_876
; %bb.875:
	global_load_u8 v3, v[0:1], off
	s_mov_b32 s6, 0
	s_mov_b32 s8, -1
	s_wait_loadcnt 0x0
	v_cmp_ne_u32_e32 vcc_lo, 0xff, v3
	v_lshlrev_b32_e32 v4, 23, v3
	s_delay_alu instid0(VALU_DEP_1) | instskip(NEXT) | instid1(VALU_DEP_1)
	v_cvt_f64_f32_e32 v[4:5], v4
	v_cndmask_b32_e32 v4, 0x20000000, v4, vcc_lo
	s_delay_alu instid0(VALU_DEP_2) | instskip(SKIP_1) | instid1(VALU_DEP_2)
	v_cndmask_b32_e32 v5, 0x7ff80000, v5, vcc_lo
	v_cmp_ne_u32_e32 vcc_lo, 0, v3
	v_cndmask_b32_e32 v7, 0x38000000, v5, vcc_lo
	s_delay_alu instid0(VALU_DEP_4)
	v_cndmask_b32_e32 v6, 0, v4, vcc_lo
	s_branch .LBB9_877
.LBB9_876:
	s_mov_b32 s6, -1
                                        ; implicit-def: $vgpr6_vgpr7
.LBB9_877:
	s_mov_b32 s9, 0
.LBB9_878:
	s_delay_alu instid0(SALU_CYCLE_1)
	s_and_b32 vcc_lo, exec_lo, s9
	s_cbranch_vccz .LBB9_882
; %bb.879:
	s_cmp_eq_u32 s1, 29
	s_cbranch_scc0 .LBB9_881
; %bb.880:
	global_load_b64 v[4:5], v[0:1], off
	s_mov_b32 s6, 0
	s_mov_b32 s8, -1
	s_mov_b32 s9, 0
	s_wait_loadcnt 0x0
	v_cvt_f64_u32_e32 v[6:7], v5
	v_cvt_f64_u32_e32 v[4:5], v4
	s_delay_alu instid0(VALU_DEP_2) | instskip(NEXT) | instid1(VALU_DEP_1)
	v_ldexp_f64 v[6:7], v[6:7], 32
	v_add_f64_e32 v[6:7], v[6:7], v[4:5]
	s_branch .LBB9_883
.LBB9_881:
	s_mov_b32 s6, -1
                                        ; implicit-def: $vgpr6_vgpr7
.LBB9_882:
	s_mov_b32 s9, 0
.LBB9_883:
	s_delay_alu instid0(SALU_CYCLE_1)
	s_and_b32 vcc_lo, exec_lo, s9
	s_cbranch_vccz .LBB9_901
; %bb.884:
	s_cmp_lt_i32 s1, 27
	s_cbranch_scc1 .LBB9_887
; %bb.885:
	s_cmp_gt_i32 s1, 27
	s_cbranch_scc0 .LBB9_888
; %bb.886:
	global_load_b32 v3, v[0:1], off
	s_mov_b32 s8, 0
	s_wait_loadcnt 0x0
	v_cvt_f64_u32_e32 v[6:7], v3
	s_branch .LBB9_889
.LBB9_887:
	s_mov_b32 s8, -1
                                        ; implicit-def: $vgpr6_vgpr7
	s_branch .LBB9_892
.LBB9_888:
	s_mov_b32 s8, -1
                                        ; implicit-def: $vgpr6_vgpr7
.LBB9_889:
	s_delay_alu instid0(SALU_CYCLE_1)
	s_and_not1_b32 vcc_lo, exec_lo, s8
	s_cbranch_vccnz .LBB9_891
; %bb.890:
	global_load_u16 v3, v[0:1], off
	s_wait_loadcnt 0x0
	v_cvt_f64_u32_e32 v[6:7], v3
.LBB9_891:
	s_mov_b32 s8, 0
.LBB9_892:
	s_delay_alu instid0(SALU_CYCLE_1)
	s_and_not1_b32 vcc_lo, exec_lo, s8
	s_cbranch_vccnz .LBB9_900
; %bb.893:
	global_load_u8 v3, v[0:1], off
	s_mov_b32 s8, 0
	s_mov_b32 s9, exec_lo
	s_wait_loadcnt 0x0
	v_cmpx_lt_i16_e32 0x7f, v3
	s_xor_b32 s9, exec_lo, s9
	s_cbranch_execz .LBB9_914
; %bb.894:
	s_mov_b32 s8, -1
	s_mov_b32 s10, exec_lo
	v_cmpx_eq_u16_e32 0x80, v3
; %bb.895:
	s_xor_b32 s8, exec_lo, -1
; %bb.896:
	s_or_b32 exec_lo, exec_lo, s10
	s_delay_alu instid0(SALU_CYCLE_1)
	s_and_b32 s8, s8, exec_lo
	s_or_saveexec_b32 s9, s9
	v_mov_b64_e32 v[6:7], 0x7ff8000020000000
	s_xor_b32 exec_lo, exec_lo, s9
	s_cbranch_execnz .LBB9_915
.LBB9_897:
	s_or_b32 exec_lo, exec_lo, s9
	s_and_saveexec_b32 s9, s8
	s_cbranch_execz .LBB9_899
.LBB9_898:
	v_and_b32_e32 v4, 0xffff, v3
	s_delay_alu instid0(VALU_DEP_1) | instskip(SKIP_1) | instid1(VALU_DEP_2)
	v_and_b32_e32 v5, 7, v4
	v_bfe_u32 v8, v4, 3, 4
	v_clz_i32_u32_e32 v6, v5
	s_delay_alu instid0(VALU_DEP_2) | instskip(NEXT) | instid1(VALU_DEP_2)
	v_cmp_eq_u32_e32 vcc_lo, 0, v8
	v_min_u32_e32 v6, 32, v6
	s_delay_alu instid0(VALU_DEP_1) | instskip(NEXT) | instid1(VALU_DEP_1)
	v_subrev_nc_u32_e32 v7, 28, v6
	v_dual_lshlrev_b32 v4, v7, v4 :: v_dual_sub_nc_u32 v6, 29, v6
	s_delay_alu instid0(VALU_DEP_1) | instskip(NEXT) | instid1(VALU_DEP_1)
	v_dual_lshlrev_b32 v3, 24, v3 :: v_dual_bitop2_b32 v4, 7, v4 bitop3:0x40
	v_dual_cndmask_b32 v6, v8, v6, vcc_lo :: v_dual_cndmask_b32 v4, v5, v4, vcc_lo
	s_delay_alu instid0(VALU_DEP_2) | instskip(NEXT) | instid1(VALU_DEP_2)
	v_and_b32_e32 v3, 0x80000000, v3
	v_lshl_add_u32 v5, v6, 23, 0x3b800000
	s_delay_alu instid0(VALU_DEP_3) | instskip(NEXT) | instid1(VALU_DEP_1)
	v_lshlrev_b32_e32 v4, 20, v4
	v_or3_b32 v3, v3, v5, v4
	s_delay_alu instid0(VALU_DEP_1)
	v_cvt_f64_f32_e32 v[6:7], v3
.LBB9_899:
	s_or_b32 exec_lo, exec_lo, s9
.LBB9_900:
	s_mov_b32 s8, -1
.LBB9_901:
	s_mov_b32 s9, 0
.LBB9_902:
	s_delay_alu instid0(SALU_CYCLE_1)
	s_and_b32 vcc_lo, exec_lo, s9
	s_cbranch_vccz .LBB9_935
; %bb.903:
	s_cmp_gt_i32 s1, 22
	s_cbranch_scc0 .LBB9_913
; %bb.904:
	s_cmp_lt_i32 s1, 24
	s_cbranch_scc1 .LBB9_916
; %bb.905:
	s_cmp_gt_i32 s1, 24
	s_cbranch_scc0 .LBB9_917
; %bb.906:
	global_load_u8 v3, v[0:1], off
	s_mov_b32 s8, exec_lo
	s_wait_loadcnt 0x0
	v_cmpx_lt_i16_e32 0x7f, v3
	s_xor_b32 s8, exec_lo, s8
	s_cbranch_execz .LBB9_929
; %bb.907:
	s_mov_b32 s7, -1
	s_mov_b32 s9, exec_lo
	v_cmpx_eq_u16_e32 0x80, v3
; %bb.908:
	s_xor_b32 s7, exec_lo, -1
; %bb.909:
	s_or_b32 exec_lo, exec_lo, s9
	s_delay_alu instid0(SALU_CYCLE_1)
	s_and_b32 s7, s7, exec_lo
	s_or_saveexec_b32 s8, s8
	v_mov_b64_e32 v[6:7], 0x7ff8000020000000
	s_xor_b32 exec_lo, exec_lo, s8
	s_cbranch_execnz .LBB9_930
.LBB9_910:
	s_or_b32 exec_lo, exec_lo, s8
	s_and_saveexec_b32 s8, s7
	s_cbranch_execz .LBB9_912
.LBB9_911:
	v_and_b32_e32 v4, 0xffff, v3
	s_delay_alu instid0(VALU_DEP_1) | instskip(SKIP_1) | instid1(VALU_DEP_2)
	v_and_b32_e32 v5, 3, v4
	v_bfe_u32 v8, v4, 2, 5
	v_clz_i32_u32_e32 v6, v5
	s_delay_alu instid0(VALU_DEP_2) | instskip(NEXT) | instid1(VALU_DEP_2)
	v_cmp_eq_u32_e32 vcc_lo, 0, v8
	v_min_u32_e32 v6, 32, v6
	s_delay_alu instid0(VALU_DEP_1) | instskip(NEXT) | instid1(VALU_DEP_1)
	v_subrev_nc_u32_e32 v7, 29, v6
	v_dual_lshlrev_b32 v4, v7, v4 :: v_dual_sub_nc_u32 v6, 30, v6
	s_delay_alu instid0(VALU_DEP_1) | instskip(NEXT) | instid1(VALU_DEP_1)
	v_dual_lshlrev_b32 v3, 24, v3 :: v_dual_bitop2_b32 v4, 3, v4 bitop3:0x40
	v_dual_cndmask_b32 v6, v8, v6, vcc_lo :: v_dual_cndmask_b32 v4, v5, v4, vcc_lo
	s_delay_alu instid0(VALU_DEP_2) | instskip(NEXT) | instid1(VALU_DEP_2)
	v_and_b32_e32 v3, 0x80000000, v3
	v_lshl_add_u32 v5, v6, 23, 0x37800000
	s_delay_alu instid0(VALU_DEP_3) | instskip(NEXT) | instid1(VALU_DEP_1)
	v_lshlrev_b32_e32 v4, 21, v4
	v_or3_b32 v3, v3, v5, v4
	s_delay_alu instid0(VALU_DEP_1)
	v_cvt_f64_f32_e32 v[6:7], v3
.LBB9_912:
	s_or_b32 exec_lo, exec_lo, s8
	s_mov_b32 s7, 0
	s_branch .LBB9_918
.LBB9_913:
	s_mov_b32 s7, -1
                                        ; implicit-def: $vgpr6_vgpr7
	s_branch .LBB9_924
.LBB9_914:
	s_or_saveexec_b32 s9, s9
	v_mov_b64_e32 v[6:7], 0x7ff8000020000000
	s_xor_b32 exec_lo, exec_lo, s9
	s_cbranch_execz .LBB9_897
.LBB9_915:
	v_cmp_ne_u16_e32 vcc_lo, 0, v3
	v_mov_b64_e32 v[6:7], 0
	s_and_not1_b32 s8, s8, exec_lo
	s_and_b32 s10, vcc_lo, exec_lo
	s_delay_alu instid0(SALU_CYCLE_1)
	s_or_b32 s8, s8, s10
	s_or_b32 exec_lo, exec_lo, s9
	s_and_saveexec_b32 s9, s8
	s_cbranch_execnz .LBB9_898
	s_branch .LBB9_899
.LBB9_916:
	s_mov_b32 s7, -1
                                        ; implicit-def: $vgpr6_vgpr7
	s_branch .LBB9_921
.LBB9_917:
	s_mov_b32 s7, -1
                                        ; implicit-def: $vgpr6_vgpr7
.LBB9_918:
	s_delay_alu instid0(SALU_CYCLE_1)
	s_and_b32 vcc_lo, exec_lo, s7
	s_cbranch_vccz .LBB9_920
; %bb.919:
	global_load_u8 v3, v[0:1], off
	s_wait_loadcnt 0x0
	v_lshlrev_b32_e32 v3, 24, v3
	s_delay_alu instid0(VALU_DEP_1) | instskip(NEXT) | instid1(VALU_DEP_1)
	v_and_b32_e32 v4, 0x7f000000, v3
	v_clz_i32_u32_e32 v5, v4
	v_cmp_ne_u32_e32 vcc_lo, 0, v4
	v_add_nc_u32_e32 v7, 0x1000000, v4
	s_delay_alu instid0(VALU_DEP_3) | instskip(NEXT) | instid1(VALU_DEP_1)
	v_min_u32_e32 v5, 32, v5
	v_sub_nc_u32_e64 v5, v5, 4 clamp
	s_delay_alu instid0(VALU_DEP_1) | instskip(NEXT) | instid1(VALU_DEP_1)
	v_dual_lshlrev_b32 v6, v5, v4 :: v_dual_lshlrev_b32 v5, 23, v5
	v_lshrrev_b32_e32 v6, 4, v6
	s_delay_alu instid0(VALU_DEP_1) | instskip(NEXT) | instid1(VALU_DEP_1)
	v_dual_sub_nc_u32 v5, v6, v5 :: v_dual_ashrrev_i32 v6, 8, v7
	v_add_nc_u32_e32 v5, 0x3c000000, v5
	s_delay_alu instid0(VALU_DEP_1) | instskip(NEXT) | instid1(VALU_DEP_1)
	v_and_or_b32 v5, 0x7f800000, v6, v5
	v_cndmask_b32_e32 v4, 0, v5, vcc_lo
	s_delay_alu instid0(VALU_DEP_1) | instskip(NEXT) | instid1(VALU_DEP_1)
	v_and_or_b32 v3, 0x80000000, v3, v4
	v_cvt_f64_f32_e32 v[6:7], v3
.LBB9_920:
	s_mov_b32 s7, 0
.LBB9_921:
	s_delay_alu instid0(SALU_CYCLE_1)
	s_and_not1_b32 vcc_lo, exec_lo, s7
	s_cbranch_vccnz .LBB9_923
; %bb.922:
	global_load_u8 v3, v[0:1], off
	s_wait_loadcnt 0x0
	v_lshlrev_b32_e32 v4, 25, v3
	v_lshlrev_b16 v3, 8, v3
	s_delay_alu instid0(VALU_DEP_1) | instskip(SKIP_1) | instid1(VALU_DEP_2)
	v_and_or_b32 v6, 0x7f00, v3, 0.5
	v_bfe_i32 v3, v3, 0, 16
	v_dual_add_f32 v6, -0.5, v6 :: v_dual_lshrrev_b32 v5, 4, v4
	v_cmp_gt_u32_e32 vcc_lo, 0x8000000, v4
	s_delay_alu instid0(VALU_DEP_2) | instskip(NEXT) | instid1(VALU_DEP_1)
	v_or_b32_e32 v5, 0x70000000, v5
	v_mul_f32_e32 v5, 0x7800000, v5
	s_delay_alu instid0(VALU_DEP_1) | instskip(NEXT) | instid1(VALU_DEP_1)
	v_cndmask_b32_e32 v4, v5, v6, vcc_lo
	v_and_or_b32 v3, 0x80000000, v3, v4
	s_delay_alu instid0(VALU_DEP_1)
	v_cvt_f64_f32_e32 v[6:7], v3
.LBB9_923:
	s_mov_b32 s7, 0
	s_mov_b32 s8, -1
.LBB9_924:
	s_and_not1_b32 vcc_lo, exec_lo, s7
	s_mov_b32 s7, 0
	s_cbranch_vccnz .LBB9_935
; %bb.925:
	s_cmp_gt_i32 s1, 14
	s_cbranch_scc0 .LBB9_928
; %bb.926:
	s_cmp_eq_u32 s1, 15
	s_cbranch_scc0 .LBB9_931
; %bb.927:
	global_load_u16 v3, v[0:1], off
	s_mov_b32 s6, 0
	s_mov_b32 s8, -1
	s_wait_loadcnt 0x0
	v_lshlrev_b32_e32 v3, 16, v3
	s_delay_alu instid0(VALU_DEP_1)
	v_cvt_f64_f32_e32 v[6:7], v3
	s_branch .LBB9_933
.LBB9_928:
	s_mov_b32 s7, -1
	s_branch .LBB9_932
.LBB9_929:
	s_or_saveexec_b32 s8, s8
	v_mov_b64_e32 v[6:7], 0x7ff8000020000000
	s_xor_b32 exec_lo, exec_lo, s8
	s_cbranch_execz .LBB9_910
.LBB9_930:
	v_cmp_ne_u16_e32 vcc_lo, 0, v3
	v_mov_b64_e32 v[6:7], 0
	s_and_not1_b32 s7, s7, exec_lo
	s_and_b32 s9, vcc_lo, exec_lo
	s_delay_alu instid0(SALU_CYCLE_1)
	s_or_b32 s7, s7, s9
	s_or_b32 exec_lo, exec_lo, s8
	s_and_saveexec_b32 s8, s7
	s_cbranch_execnz .LBB9_911
	s_branch .LBB9_912
.LBB9_931:
	s_mov_b32 s6, -1
.LBB9_932:
                                        ; implicit-def: $vgpr6_vgpr7
.LBB9_933:
	s_and_b32 vcc_lo, exec_lo, s7
	s_mov_b32 s7, 0
	s_cbranch_vccz .LBB9_935
; %bb.934:
	s_cmp_lg_u32 s1, 11
	s_mov_b32 s7, -1
	s_cselect_b32 s1, -1, 0
	s_and_not1_b32 s6, s6, exec_lo
	s_and_b32 s1, s1, exec_lo
	s_delay_alu instid0(SALU_CYCLE_1)
	s_or_b32 s6, s6, s1
.LBB9_935:
	s_mov_b32 s1, 0
.LBB9_936:
	s_delay_alu instid0(SALU_CYCLE_1)
	s_and_b32 s22, s1, exec_lo
	s_and_not1_b32 s1, s0, exec_lo
	s_and_b32 s6, s6, exec_lo
	s_and_b32 s24, s8, exec_lo
	;; [unrolled: 1-line block ×3, first 2 shown]
	s_or_b32 s25, s1, s6
.LBB9_937:
	s_wait_xcnt 0x0
	s_or_b32 exec_lo, exec_lo, s36
	s_delay_alu instid0(SALU_CYCLE_1)
	s_and_not1_b32 s0, s0, exec_lo
	s_and_b32 s1, s25, exec_lo
	s_and_b32 s24, s24, exec_lo
	s_and_b32 s22, s22, exec_lo
	s_and_b32 s23, s23, exec_lo
	s_or_b32 s0, s0, s1
.LBB9_938:
	s_or_b32 exec_lo, exec_lo, s27
	s_delay_alu instid0(SALU_CYCLE_1)
	s_and_not1_b32 s1, s43, exec_lo
	s_and_b32 s6, s26, exec_lo
	s_and_b32 s0, s0, exec_lo
	s_or_b32 s43, s1, s6
	s_and_not1_b32 s1, s42, exec_lo
	s_and_b32 s24, s24, exec_lo
	s_and_b32 s22, s22, exec_lo
	;; [unrolled: 1-line block ×3, first 2 shown]
	s_or_b32 s42, s1, s0
.LBB9_939:
	s_or_b32 exec_lo, exec_lo, s44
	s_delay_alu instid0(SALU_CYCLE_1)
	s_and_not1_b32 s0, s39, exec_lo
	s_and_b32 s1, s43, exec_lo
	s_and_b32 s6, s42, exec_lo
	s_or_b32 s39, s0, s1
	s_and_not1_b32 s1, s40, exec_lo
	s_and_b32 s0, s24, exec_lo
	s_and_b32 s22, s22, exec_lo
	;; [unrolled: 1-line block ×3, first 2 shown]
	s_or_b32 s40, s1, s6
	s_or_b32 exec_lo, exec_lo, s41
	s_mov_b32 s1, 0
	s_and_saveexec_b32 s6, s40
	s_cbranch_execz .LBB9_280
.LBB9_940:
	s_mov_b32 s1, exec_lo
	s_and_not1_b32 s17, s17, exec_lo
	s_trap 2
	s_or_b32 exec_lo, exec_lo, s6
	s_and_saveexec_b32 s6, s17
	s_delay_alu instid0(SALU_CYCLE_1)
	s_xor_b32 s6, exec_lo, s6
	s_cbranch_execnz .LBB9_281
.LBB9_941:
	s_or_b32 exec_lo, exec_lo, s6
	s_and_saveexec_b32 s6, s22
	s_cbranch_execz .LBB9_987
.LBB9_942:
	s_sext_i32_i16 s7, s13
	s_delay_alu instid0(SALU_CYCLE_1)
	s_cmp_lt_i32 s7, 5
	s_cbranch_scc1 .LBB9_947
; %bb.943:
	s_cmp_lt_i32 s7, 8
	s_cbranch_scc1 .LBB9_948
; %bb.944:
	s_cmp_lt_i32 s7, 9
	s_cbranch_scc1 .LBB9_949
; %bb.945:
	s_cmp_gt_i32 s7, 9
	s_cbranch_scc0 .LBB9_950
; %bb.946:
	s_wait_loadcnt 0x0
	global_load_b64 v[6:7], v[0:1], off
	s_mov_b32 s7, 0
	s_branch .LBB9_951
.LBB9_947:
                                        ; implicit-def: $vgpr6_vgpr7
	s_branch .LBB9_968
.LBB9_948:
                                        ; implicit-def: $vgpr6_vgpr7
	s_branch .LBB9_957
.LBB9_949:
	s_mov_b32 s7, -1
                                        ; implicit-def: $vgpr6_vgpr7
	s_branch .LBB9_954
.LBB9_950:
	s_mov_b32 s7, -1
                                        ; implicit-def: $vgpr6_vgpr7
.LBB9_951:
	s_delay_alu instid0(SALU_CYCLE_1)
	s_and_not1_b32 vcc_lo, exec_lo, s7
	s_cbranch_vccnz .LBB9_953
; %bb.952:
	global_load_b32 v3, v[0:1], off
	s_wait_loadcnt 0x0
	v_cvt_f64_f32_e32 v[6:7], v3
.LBB9_953:
	s_mov_b32 s7, 0
.LBB9_954:
	s_delay_alu instid0(SALU_CYCLE_1)
	s_and_not1_b32 vcc_lo, exec_lo, s7
	s_cbranch_vccnz .LBB9_956
; %bb.955:
	global_load_b32 v3, v[0:1], off
	s_wait_loadcnt 0x0
	v_cvt_f32_f16_e32 v3, v3
	s_delay_alu instid0(VALU_DEP_1)
	v_cvt_f64_f32_e32 v[6:7], v3
.LBB9_956:
	s_cbranch_execnz .LBB9_967
.LBB9_957:
	s_sext_i32_i16 s7, s13
	s_delay_alu instid0(SALU_CYCLE_1)
	s_cmp_lt_i32 s7, 6
	s_cbranch_scc1 .LBB9_960
; %bb.958:
	s_cmp_gt_i32 s7, 6
	s_cbranch_scc0 .LBB9_961
; %bb.959:
	s_wait_loadcnt 0x0
	global_load_b64 v[6:7], v[0:1], off
	s_mov_b32 s7, 0
	s_branch .LBB9_962
.LBB9_960:
	s_mov_b32 s7, -1
                                        ; implicit-def: $vgpr6_vgpr7
	s_branch .LBB9_965
.LBB9_961:
	s_mov_b32 s7, -1
                                        ; implicit-def: $vgpr6_vgpr7
.LBB9_962:
	s_delay_alu instid0(SALU_CYCLE_1)
	s_and_not1_b32 vcc_lo, exec_lo, s7
	s_cbranch_vccnz .LBB9_964
; %bb.963:
	global_load_b32 v3, v[0:1], off
	s_wait_loadcnt 0x0
	v_cvt_f64_f32_e32 v[6:7], v3
.LBB9_964:
	s_mov_b32 s7, 0
.LBB9_965:
	s_delay_alu instid0(SALU_CYCLE_1)
	s_and_not1_b32 vcc_lo, exec_lo, s7
	s_cbranch_vccnz .LBB9_967
; %bb.966:
	global_load_u16 v3, v[0:1], off
	s_wait_loadcnt 0x0
	v_cvt_f32_f16_e32 v3, v3
	s_delay_alu instid0(VALU_DEP_1)
	v_cvt_f64_f32_e32 v[6:7], v3
.LBB9_967:
	s_cbranch_execnz .LBB9_986
.LBB9_968:
	s_sext_i32_i16 s7, s13
	s_delay_alu instid0(SALU_CYCLE_1)
	s_cmp_lt_i32 s7, 2
	s_cbranch_scc1 .LBB9_972
; %bb.969:
	s_cmp_lt_i32 s7, 3
	s_cbranch_scc1 .LBB9_973
; %bb.970:
	s_cmp_gt_i32 s7, 3
	s_cbranch_scc0 .LBB9_974
; %bb.971:
	global_load_b64 v[4:5], v[0:1], off
	s_mov_b32 s7, 0
	s_wait_loadcnt 0x0
	v_cvt_f64_i32_e32 v[6:7], v5
	v_cvt_f64_u32_e32 v[4:5], v4
	s_delay_alu instid0(VALU_DEP_2) | instskip(NEXT) | instid1(VALU_DEP_1)
	v_ldexp_f64 v[6:7], v[6:7], 32
	v_add_f64_e32 v[6:7], v[6:7], v[4:5]
	s_branch .LBB9_975
.LBB9_972:
                                        ; implicit-def: $vgpr6_vgpr7
	s_branch .LBB9_981
.LBB9_973:
	s_mov_b32 s7, -1
                                        ; implicit-def: $vgpr6_vgpr7
	s_branch .LBB9_978
.LBB9_974:
	s_mov_b32 s7, -1
                                        ; implicit-def: $vgpr6_vgpr7
.LBB9_975:
	s_delay_alu instid0(SALU_CYCLE_1)
	s_and_not1_b32 vcc_lo, exec_lo, s7
	s_cbranch_vccnz .LBB9_977
; %bb.976:
	global_load_b32 v3, v[0:1], off
	s_wait_loadcnt 0x0
	v_cvt_f64_i32_e32 v[6:7], v3
.LBB9_977:
	s_mov_b32 s7, 0
.LBB9_978:
	s_delay_alu instid0(SALU_CYCLE_1)
	s_and_not1_b32 vcc_lo, exec_lo, s7
	s_cbranch_vccnz .LBB9_980
; %bb.979:
	global_load_i16 v3, v[0:1], off
	s_wait_loadcnt 0x0
	v_cvt_f64_i32_e32 v[6:7], v3
.LBB9_980:
	s_cbranch_execnz .LBB9_986
.LBB9_981:
	s_sext_i32_i16 s7, s13
	s_delay_alu instid0(SALU_CYCLE_1)
	s_cmp_gt_i32 s7, 0
	s_mov_b32 s7, 0
	s_cbranch_scc0 .LBB9_983
; %bb.982:
	global_load_i8 v3, v[0:1], off
	s_wait_loadcnt 0x0
	v_cvt_f64_i32_e32 v[6:7], v3
	s_branch .LBB9_984
.LBB9_983:
	s_mov_b32 s7, -1
                                        ; implicit-def: $vgpr6_vgpr7
.LBB9_984:
	s_delay_alu instid0(SALU_CYCLE_1)
	s_and_not1_b32 vcc_lo, exec_lo, s7
	s_cbranch_vccnz .LBB9_986
; %bb.985:
	global_load_u8 v0, v[0:1], off
	s_wait_loadcnt 0x0
	v_cvt_f64_u32_e32 v[6:7], v0
.LBB9_986:
	s_or_b32 s0, s0, exec_lo
.LBB9_987:
	s_wait_xcnt 0x0
	s_or_b32 exec_lo, exec_lo, s6
	s_mov_b32 s9, 0
	s_mov_b32 s8, 0
                                        ; implicit-def: $sgpr6
                                        ; implicit-def: $vgpr4_vgpr5
                                        ; implicit-def: $vgpr0_vgpr1
	s_and_saveexec_b32 s7, s0
	s_cbranch_execz .LBB9_999
; %bb.988:
	s_wait_loadcnt 0x0
	s_delay_alu instid0(VALU_DEP_1) | instskip(SKIP_1) | instid1(SALU_CYCLE_1)
	v_cmp_ge_f64_e64 s0, 0x40200000, |v[6:7]|
                                        ; implicit-def: $vgpr0_vgpr1
	s_and_saveexec_b32 s6, s0
	s_xor_b32 s0, exec_lo, s6
	s_cbranch_execz .LBB9_990
; %bb.989:
	v_fma_f64 v[0:1], |v[6:7]|, 0.5, -2.0
	s_mov_b64 s[8:9], 0xbc545cb72134d0ef
	s_delay_alu instid0(VALU_DEP_1) | instid1(SALU_CYCLE_1)
	v_fmaak_f64 v[4:5], s[8:9], v[0:1], 0x3c833362977da589
	s_mov_b64 s[8:9], 0x3ff71547652b82fe
	s_delay_alu instid0(SALU_CYCLE_1) | instskip(SKIP_1) | instid1(VALU_DEP_2)
	v_mul_f64_e64 v[10:11], |v[6:7]|, s[8:9]
	s_mov_b64 s[8:9], 0xbfe62e42fefa39ef
	v_fmaak_f64 v[8:9], v[0:1], v[4:5], 0x3c545cb72134d0ef
	s_delay_alu instid0(VALU_DEP_1) | instskip(NEXT) | instid1(VALU_DEP_3)
	v_add_f64_e32 v[8:9], 0xbcb184eb721ebbb4, v[8:9]
	v_rndne_f64_e32 v[10:11], v[10:11]
	s_delay_alu instid0(VALU_DEP_2) | instskip(NEXT) | instid1(VALU_DEP_2)
	v_fma_f64 v[4:5], v[0:1], v[8:9], -v[4:5]
	v_fma_f64 v[6:7], v[10:11], s[8:9], |v[6:7]|
	s_mov_b64 s[8:9], 0x3e5ade156a5dcb37
	v_cvt_i32_f64_e32 v3, v[10:11]
	s_delay_alu instid0(VALU_DEP_3) | instskip(NEXT) | instid1(VALU_DEP_3)
	v_add_f64_e32 v[4:5], 0x3cdee6d893f65eba, v[4:5]
	v_fmamk_f64 v[6:7], v[10:11], 0xbc7abc9e3b39803f, v[6:7]
	s_delay_alu instid0(VALU_DEP_1) | instskip(NEXT) | instid1(VALU_DEP_3)
	v_fmaak_f64 v[12:13], s[8:9], v[6:7], 0x3e928af3fca7ab0c
	v_fma_f64 v[8:9], v[0:1], v[4:5], -v[8:9]
	s_delay_alu instid0(VALU_DEP_2) | instskip(NEXT) | instid1(VALU_DEP_1)
	v_fmaak_f64 v[12:13], v[6:7], v[12:13], 0x3ec71dee623fde64
	v_fmaak_f64 v[12:13], v[6:7], v[12:13], 0x3efa01997c89e6b0
	s_delay_alu instid0(VALU_DEP_1) | instskip(NEXT) | instid1(VALU_DEP_1)
	v_fmaak_f64 v[12:13], v[6:7], v[12:13], 0x3f2a01a014761f6e
	v_fmaak_f64 v[12:13], v[6:7], v[12:13], 0x3f56c16c1852b7b0
	v_add_f64_e32 v[8:9], 0xbd0a5022c297fbeb, v[8:9]
	s_delay_alu instid0(VALU_DEP_1) | instskip(NEXT) | instid1(VALU_DEP_1)
	v_fma_f64 v[4:5], v[0:1], v[8:9], -v[4:5]
	v_add_f64_e32 v[4:5], 0x3d359b464b262627, v[4:5]
	s_delay_alu instid0(VALU_DEP_1) | instskip(NEXT) | instid1(VALU_DEP_1)
	v_fma_f64 v[8:9], v[0:1], v[4:5], -v[8:9]
	v_add_f64_e32 v[8:9], 0xbd61164c62ee1af0, v[8:9]
	s_delay_alu instid0(VALU_DEP_1) | instskip(NEXT) | instid1(VALU_DEP_1)
	v_fma_f64 v[4:5], v[0:1], v[8:9], -v[4:5]
	v_add_f64_e32 v[4:5], 0x3d89fe2fe19bd324, v[4:5]
	s_delay_alu instid0(VALU_DEP_1) | instskip(NEXT) | instid1(VALU_DEP_1)
	v_fma_f64 v[8:9], v[0:1], v[4:5], -v[8:9]
	v_add_f64_e32 v[8:9], 0xbdb2fc957a946abc, v[8:9]
	s_delay_alu instid0(VALU_DEP_1) | instskip(NEXT) | instid1(VALU_DEP_1)
	v_fma_f64 v[4:5], v[0:1], v[8:9], -v[4:5]
	v_add_f64_e32 v[4:5], 0x3dda98becc743c10, v[4:5]
	s_delay_alu instid0(VALU_DEP_1) | instskip(NEXT) | instid1(VALU_DEP_1)
	v_fma_f64 v[8:9], v[0:1], v[4:5], -v[8:9]
	v_add_f64_e32 v[8:9], 0xbe01d4fe13ae9556, v[8:9]
	s_delay_alu instid0(VALU_DEP_1) | instskip(NEXT) | instid1(VALU_DEP_1)
	v_fma_f64 v[4:5], v[0:1], v[8:9], -v[4:5]
	v_add_f64_e32 v[4:5], 0x3e26d903a454cb34, v[4:5]
	s_delay_alu instid0(VALU_DEP_1) | instskip(NEXT) | instid1(VALU_DEP_1)
	v_fma_f64 v[8:9], v[0:1], v[4:5], -v[8:9]
	v_add_f64_e32 v[8:9], 0xbe4beaf68c0b30ab, v[8:9]
	s_delay_alu instid0(VALU_DEP_1) | instskip(NEXT) | instid1(VALU_DEP_1)
	v_fma_f64 v[4:5], v[0:1], v[8:9], -v[4:5]
	v_add_f64_e32 v[4:5], 0x3e703b769d4d6435, v[4:5]
	s_delay_alu instid0(VALU_DEP_1) | instskip(NEXT) | instid1(VALU_DEP_1)
	v_fma_f64 v[8:9], v[0:1], v[4:5], -v[8:9]
	v_add_f64_e32 v[8:9], 0xbe91ec638f227f8d, v[8:9]
	s_delay_alu instid0(VALU_DEP_1) | instskip(NEXT) | instid1(VALU_DEP_1)
	v_fma_f64 v[4:5], v[0:1], v[8:9], -v[4:5]
	v_add_f64_e32 v[4:5], 0x3eb2bf24978cf4ac, v[4:5]
	s_delay_alu instid0(VALU_DEP_1) | instskip(NEXT) | instid1(VALU_DEP_1)
	v_fma_f64 v[8:9], v[0:1], v[4:5], -v[8:9]
	v_add_f64_e32 v[8:9], 0xbed2866fcba56427, v[8:9]
	s_delay_alu instid0(VALU_DEP_1) | instskip(NEXT) | instid1(VALU_DEP_1)
	v_fma_f64 v[4:5], v[0:1], v[8:9], -v[4:5]
	v_add_f64_e32 v[4:5], 0x3ef13f58be9a2859, v[4:5]
	s_delay_alu instid0(VALU_DEP_1) | instskip(NEXT) | instid1(VALU_DEP_1)
	v_fma_f64 v[8:9], v[0:1], v[4:5], -v[8:9]
	v_add_f64_e32 v[8:9], 0xbf0e2b2659c41d5a, v[8:9]
	s_delay_alu instid0(VALU_DEP_1) | instskip(NEXT) | instid1(VALU_DEP_1)
	v_fma_f64 v[4:5], v[0:1], v[8:9], -v[4:5]
	v_add_f64_e32 v[4:5], 0x3f28b51b74107cab, v[4:5]
	s_delay_alu instid0(VALU_DEP_1) | instskip(NEXT) | instid1(VALU_DEP_1)
	v_fma_f64 v[8:9], v[0:1], v[4:5], -v[8:9]
	v_add_f64_e32 v[8:9], 0xbf42e2fd1f15eb52, v[8:9]
	s_delay_alu instid0(VALU_DEP_1) | instskip(NEXT) | instid1(VALU_DEP_1)
	v_fma_f64 v[4:5], v[0:1], v[8:9], -v[4:5]
	v_add_f64_e32 v[4:5], 0x3f5adc758a12100e, v[4:5]
	s_delay_alu instid0(VALU_DEP_1) | instskip(NEXT) | instid1(VALU_DEP_1)
	v_fma_f64 v[8:9], v[0:1], v[4:5], -v[8:9]
	v_add_f64_e32 v[8:9], 0xbf71b65e201aa849, v[8:9]
	s_delay_alu instid0(VALU_DEP_1) | instskip(NEXT) | instid1(VALU_DEP_1)
	v_fma_f64 v[4:5], v[0:1], v[8:9], -v[4:5]
	v_add_f64_e32 v[4:5], 0x3f859961f3dde3dd, v[4:5]
	s_delay_alu instid0(VALU_DEP_1) | instskip(NEXT) | instid1(VALU_DEP_1)
	v_fma_f64 v[8:9], v[0:1], v[4:5], -v[8:9]
	v_add_f64_e32 v[8:9], 0xbf984e9ef121b6f0, v[8:9]
	s_delay_alu instid0(VALU_DEP_1) | instskip(NEXT) | instid1(VALU_DEP_1)
	v_fma_f64 v[4:5], v[0:1], v[8:9], -v[4:5]
	v_add_f64_e32 v[4:5], 0x3fa93e8acea8a32d, v[4:5]
	s_delay_alu instid0(VALU_DEP_1) | instskip(NEXT) | instid1(VALU_DEP_1)
	v_fma_f64 v[8:9], v[0:1], v[4:5], -v[8:9]
	v_add_f64_e32 v[8:9], 0xbfb84b70342d06ea, v[8:9]
	s_delay_alu instid0(VALU_DEP_1) | instskip(NEXT) | instid1(VALU_DEP_1)
	v_fma_f64 v[4:5], v[0:1], v[8:9], -v[4:5]
	v_add_f64_e32 v[4:5], 0x3fc5f7ac77ac88c0, v[4:5]
	s_delay_alu instid0(VALU_DEP_1) | instskip(NEXT) | instid1(VALU_DEP_1)
	v_fma_f64 v[8:9], v[0:1], v[4:5], -v[8:9]
	v_add_f64_e32 v[8:9], 0xbfd37febc057cd8d, v[8:9]
	s_delay_alu instid0(VALU_DEP_1) | instskip(SKIP_1) | instid1(VALU_DEP_1)
	v_fma_f64 v[0:1], v[0:1], v[8:9], -v[4:5]
	v_fmaak_f64 v[8:9], v[6:7], v[12:13], 0x3f81111111122322
	v_fmaak_f64 v[8:9], v[6:7], v[8:9], 0x3fa55555555502a1
	s_delay_alu instid0(VALU_DEP_1) | instskip(NEXT) | instid1(VALU_DEP_1)
	v_fmaak_f64 v[8:9], v[6:7], v[8:9], 0x3fc5555555555511
	v_fmaak_f64 v[8:9], v[6:7], v[8:9], 0x3fe000000000000b
	s_delay_alu instid0(VALU_DEP_1) | instskip(SKIP_1) | instid1(VALU_DEP_2)
	v_fma_f64 v[8:9], v[6:7], v[8:9], 1.0
	v_add_f64_e32 v[0:1], 0x3fe5a84e9035a22a, v[0:1]
	v_fma_f64 v[6:7], v[6:7], v[8:9], 1.0
	s_delay_alu instid0(VALU_DEP_2) | instskip(NEXT) | instid1(VALU_DEP_2)
	v_add_f64_e64 v[0:1], v[0:1], -v[4:5]
	v_ldexp_f64 v[4:5], v[6:7], v3
                                        ; implicit-def: $vgpr6_vgpr7
	s_delay_alu instid0(VALU_DEP_2) | instskip(NEXT) | instid1(VALU_DEP_1)
	v_mul_f64_e32 v[0:1], 0.5, v[0:1]
	v_mul_f64_e32 v[0:1], v[4:5], v[0:1]
.LBB9_990:
	s_and_not1_saveexec_b32 s0, s0
	s_cbranch_execz .LBB9_992
; %bb.991:
	v_and_b32_e32 v1, 0x7fffffff, v7
	v_mov_b32_e32 v0, v6
	v_cmp_gt_f64_e64 s6, 0x10000000, |v[6:7]|
	s_mov_b64 s[8:9], 0xbc60adb754ca8b19
	v_div_scale_f64 v[4:5], null, v[0:1], v[0:1], 0x40400000
	v_div_scale_f64 v[0:1], vcc_lo, 0x40400000, v[0:1], 0x40400000
	v_cndmask_b32_e64 v3, 0, 0x100, s6
	s_delay_alu instid0(VALU_DEP_3) | instskip(SKIP_1) | instid1(TRANS32_DEP_1)
	v_rcp_f64_e32 v[8:9], v[4:5]
	v_nop
	v_fma_f64 v[10:11], -v[4:5], v[8:9], 1.0
	s_delay_alu instid0(VALU_DEP_1) | instskip(NEXT) | instid1(VALU_DEP_1)
	v_fmac_f64_e32 v[8:9], v[8:9], v[10:11]
	v_fma_f64 v[10:11], -v[4:5], v[8:9], 1.0
	s_delay_alu instid0(VALU_DEP_1) | instskip(NEXT) | instid1(VALU_DEP_1)
	v_fmac_f64_e32 v[8:9], v[8:9], v[10:11]
	v_mul_f64_e32 v[10:11], v[0:1], v[8:9]
	s_delay_alu instid0(VALU_DEP_1) | instskip(NEXT) | instid1(VALU_DEP_1)
	v_fma_f64 v[0:1], -v[4:5], v[10:11], v[0:1]
	v_div_fmas_f64 v[0:1], v[0:1], v[8:9], v[10:11]
	v_ldexp_f64 v[10:11], |v[6:7]|, v3
	v_cmp_nlt_f64_e64 vcc_lo, 0x40900000, |v[6:7]|
	s_delay_alu instid0(VALU_DEP_3) | instskip(NEXT) | instid1(VALU_DEP_3)
	v_div_fixup_f64 v[0:1], v[0:1], |v[6:7]|, 0x40400000
	v_rsq_f64_e32 v[14:15], v[10:11]
	s_delay_alu instid0(VALU_DEP_1) | instskip(NEXT) | instid1(TRANS32_DEP_1)
	v_add_f64_e32 v[0:1], -2.0, v[0:1]
	v_mul_f64_e32 v[16:17], v[10:11], v[14:15]
	v_mul_f64_e32 v[14:15], 0.5, v[14:15]
	s_delay_alu instid0(VALU_DEP_3) | instskip(SKIP_1) | instid1(SALU_CYCLE_1)
	v_fmaak_f64 v[4:5], s[8:9], v[0:1], 0xbc5646da66119130
	s_mov_b64 s[8:9], 0x3ff71547652b82fe
	v_mul_f64_e64 v[12:13], |v[6:7]|, s[8:9]
	s_mov_b64 s[8:9], 0xbfe62e42fefa39ef
	s_delay_alu instid0(VALU_DEP_2) | instskip(NEXT) | instid1(VALU_DEP_4)
	v_fmaak_f64 v[8:9], v[0:1], v[4:5], 0x3c60adb754ca8b19
	v_fma_f64 v[20:21], -v[14:15], v[16:17], 0.5
	s_delay_alu instid0(VALU_DEP_2) | instskip(NEXT) | instid1(VALU_DEP_4)
	v_add_f64_e32 v[8:9], 0x3c89be1812d98421, v[8:9]
	v_rndne_f64_e32 v[12:13], v[12:13]
	s_delay_alu instid0(VALU_DEP_3) | instskip(SKIP_1) | instid1(VALU_DEP_4)
	v_fmac_f64_e32 v[16:17], v[16:17], v[20:21]
	v_fmac_f64_e32 v[14:15], v[14:15], v[20:21]
	v_fma_f64 v[4:5], v[0:1], v[8:9], -v[4:5]
	s_delay_alu instid0(VALU_DEP_4) | instskip(SKIP_3) | instid1(VALU_DEP_4)
	v_fma_f64 v[18:19], v[12:13], s[8:9], |v[6:7]|
	s_mov_b64 s[8:9], 0x3e5ade156a5dcb37
	v_cvt_i32_f64_e32 v3, v[12:13]
	v_fma_f64 v[20:21], -v[16:17], v[16:17], v[10:11]
	v_add_f64_e32 v[4:5], 0x3c83f3dd076041cd, v[4:5]
	s_delay_alu instid0(VALU_DEP_4) | instskip(NEXT) | instid1(VALU_DEP_3)
	v_fmamk_f64 v[18:19], v[12:13], 0xbc7abc9e3b39803f, v[18:19]
	v_fmac_f64_e32 v[16:17], v[20:21], v[14:15]
	s_delay_alu instid0(VALU_DEP_2) | instskip(NEXT) | instid1(VALU_DEP_4)
	v_fmaak_f64 v[22:23], s[8:9], v[18:19], 0x3e928af3fca7ab0c
	v_fma_f64 v[8:9], v[0:1], v[4:5], -v[8:9]
	s_delay_alu instid0(VALU_DEP_2) | instskip(NEXT) | instid1(VALU_DEP_1)
	v_fmaak_f64 v[22:23], v[18:19], v[22:23], 0x3ec71dee623fde64
	v_fmaak_f64 v[22:23], v[18:19], v[22:23], 0x3efa01997c89e6b0
	s_delay_alu instid0(VALU_DEP_1) | instskip(NEXT) | instid1(VALU_DEP_1)
	v_fmaak_f64 v[22:23], v[18:19], v[22:23], 0x3f2a01a014761f6e
	v_fmaak_f64 v[22:23], v[18:19], v[22:23], 0x3f56c16c1852b7b0
	v_fma_f64 v[12:13], -v[16:17], v[16:17], v[10:11]
	s_delay_alu instid0(VALU_DEP_2) | instskip(SKIP_1) | instid1(VALU_DEP_3)
	v_fmaak_f64 v[22:23], v[18:19], v[22:23], 0x3f81111111122322
	v_add_f64_e32 v[8:9], 0xbcb4600babd21fe4, v[8:9]
	v_fmac_f64_e32 v[16:17], v[12:13], v[14:15]
	s_delay_alu instid0(VALU_DEP_2) | instskip(NEXT) | instid1(VALU_DEP_1)
	v_fma_f64 v[4:5], v[0:1], v[8:9], -v[4:5]
	v_add_f64_e32 v[4:5], 0xbcb8aee7d908de38, v[4:5]
	s_delay_alu instid0(VALU_DEP_1) | instskip(NEXT) | instid1(VALU_DEP_1)
	v_fma_f64 v[8:9], v[0:1], v[4:5], -v[8:9]
	v_add_f64_e32 v[8:9], 0x3cdfee7da3eafb1f, v[8:9]
	s_delay_alu instid0(VALU_DEP_1) | instskip(NEXT) | instid1(VALU_DEP_1)
	;; [unrolled: 3-line block ×18, first 2 shown]
	v_fma_f64 v[4:5], v[0:1], v[8:9], -v[4:5]
	v_add_f64_e32 v[4:5], 0x3f6b998ca2e59049, v[4:5]
	s_delay_alu instid0(VALU_DEP_1) | instskip(SKIP_1) | instid1(VALU_DEP_1)
	v_fma_f64 v[0:1], v[0:1], v[4:5], -v[8:9]
	v_fmaak_f64 v[4:5], v[18:19], v[22:23], 0x3fa55555555502a1
	v_fmaak_f64 v[4:5], v[18:19], v[4:5], 0x3fc5555555555511
	s_delay_alu instid0(VALU_DEP_1) | instskip(NEXT) | instid1(VALU_DEP_1)
	v_fmaak_f64 v[4:5], v[18:19], v[4:5], 0x3fe000000000000b
	v_fma_f64 v[4:5], v[18:19], v[4:5], 1.0
	v_add_f64_e32 v[0:1], 0x3fe9be62aca809cb, v[0:1]
	s_delay_alu instid0(VALU_DEP_2) | instskip(NEXT) | instid1(VALU_DEP_2)
	v_fma_f64 v[4:5], v[18:19], v[4:5], 1.0
	v_add_f64_e64 v[0:1], v[0:1], -v[8:9]
	s_delay_alu instid0(VALU_DEP_2) | instskip(SKIP_1) | instid1(VALU_DEP_1)
	v_ldexp_f64 v[4:5], v[4:5], v3
	v_cndmask_b32_e64 v3, 0, 0xffffff80, s6
	v_ldexp_f64 v[6:7], v[16:17], v3
	s_delay_alu instid0(VALU_DEP_4) | instskip(NEXT) | instid1(VALU_DEP_4)
	v_mul_f64_e32 v[0:1], 0.5, v[0:1]
	v_cndmask_b32_e32 v5, 0x7ff00000, v5, vcc_lo
	v_cndmask_b32_e32 v4, 0, v4, vcc_lo
	v_cmp_class_f64_e64 vcc_lo, v[10:11], 0x260
	s_delay_alu instid0(VALU_DEP_1) | instskip(SKIP_1) | instid1(VALU_DEP_1)
	v_dual_mul_f64 v[0:1], v[4:5], v[0:1] :: v_dual_cndmask_b32 v5, v7, v11, vcc_lo
	v_cndmask_b32_e32 v4, v6, v10, vcc_lo
	v_div_scale_f64 v[6:7], null, v[4:5], v[4:5], v[0:1]
	s_delay_alu instid0(VALU_DEP_1) | instskip(SKIP_1) | instid1(TRANS32_DEP_1)
	v_rcp_f64_e32 v[8:9], v[6:7]
	v_nop
	v_fma_f64 v[10:11], -v[6:7], v[8:9], 1.0
	s_delay_alu instid0(VALU_DEP_1) | instskip(NEXT) | instid1(VALU_DEP_1)
	v_fmac_f64_e32 v[8:9], v[8:9], v[10:11]
	v_fma_f64 v[10:11], -v[6:7], v[8:9], 1.0
	s_delay_alu instid0(VALU_DEP_1) | instskip(SKIP_1) | instid1(VALU_DEP_1)
	v_fmac_f64_e32 v[8:9], v[8:9], v[10:11]
	v_div_scale_f64 v[10:11], vcc_lo, v[0:1], v[4:5], v[0:1]
	v_mul_f64_e32 v[12:13], v[10:11], v[8:9]
	s_delay_alu instid0(VALU_DEP_1) | instskip(NEXT) | instid1(VALU_DEP_1)
	v_fma_f64 v[6:7], -v[6:7], v[12:13], v[10:11]
	v_div_fmas_f64 v[6:7], v[6:7], v[8:9], v[12:13]
	s_delay_alu instid0(VALU_DEP_1)
	v_div_fixup_f64 v[0:1], v[6:7], v[4:5], v[0:1]
.LBB9_992:
	s_or_b32 exec_lo, exec_lo, s0
	v_mov_b32_e32 v3, 0
	s_and_b32 s6, s34, 0xff
	s_delay_alu instid0(SALU_CYCLE_1) | instskip(NEXT) | instid1(VALU_DEP_1)
	s_cmp_lt_i32 s6, 11
	v_add_nc_u64_e32 v[4:5], s[4:5], v[2:3]
	s_cbranch_scc1 .LBB9_1002
; %bb.993:
	s_and_b32 s4, 0xffff, s6
	s_mov_b32 s5, -1
	s_cmp_gt_i32 s4, 25
	s_mov_b32 s0, s39
	s_cbranch_scc0 .LBB9_1030
; %bb.994:
	s_cmp_gt_i32 s4, 28
	s_mov_b32 s0, s39
	s_cbranch_scc0 .LBB9_1014
; %bb.995:
	s_cmp_gt_i32 s4, 43
	s_mov_b32 s0, s39
	s_cbranch_scc0 .LBB9_1010
; %bb.996:
	s_cmp_gt_i32 s4, 45
	s_mov_b32 s0, s39
	s_cbranch_scc0 .LBB9_1004
; %bb.997:
	s_cmp_eq_u32 s4, 46
	s_mov_b32 s0, -1
	s_cbranch_scc0 .LBB9_1003
; %bb.998:
	s_delay_alu instid0(VALU_DEP_3) | instskip(SKIP_2) | instid1(VALU_DEP_1)
	v_cvt_f32_f64_e32 v2, v[0:1]
	s_mov_b32 s0, 0
	s_mov_b32 s5, 0
	v_bfe_u32 v3, v2, 16, 1
	v_cmp_o_f32_e32 vcc_lo, v2, v2
	s_delay_alu instid0(VALU_DEP_2) | instskip(NEXT) | instid1(VALU_DEP_1)
	v_add3_u32 v3, v2, v3, 0x7fff
	v_lshrrev_b32_e32 v3, 16, v3
	s_delay_alu instid0(VALU_DEP_1)
	v_cndmask_b32_e32 v2, 0x7fc0, v3, vcc_lo
	global_store_b32 v[4:5], v2, off
	s_branch .LBB9_1004
.LBB9_999:
	s_or_b32 exec_lo, exec_lo, s7
	s_and_saveexec_b32 s0, s39
	s_cbranch_execnz .LBB9_1072
.LBB9_1000:
	s_or_b32 exec_lo, exec_lo, s0
	s_and_saveexec_b32 s0, s9
	s_delay_alu instid0(SALU_CYCLE_1)
	s_xor_b32 s0, exec_lo, s0
	s_cbranch_execz .LBB9_1073
.LBB9_1001:
	s_delay_alu instid0(VALU_DEP_3)
	v_cmp_neq_f64_e32 vcc_lo, 0, v[0:1]
	v_cndmask_b32_e64 v2, 0, 1, vcc_lo
	global_store_b8 v[4:5], v2, off
	s_wait_xcnt 0x0
	s_or_b32 exec_lo, exec_lo, s0
	s_and_saveexec_b32 s0, s8
	s_delay_alu instid0(SALU_CYCLE_1)
	s_xor_b32 s0, exec_lo, s0
	s_cbranch_execz .LBB9_1111
	s_branch .LBB9_1074
.LBB9_1002:
	s_mov_b32 s9, 0
	s_mov_b32 s5, -1
	s_mov_b32 s0, s39
	s_branch .LBB9_1071
.LBB9_1003:
	s_mov_b32 s5, 0
.LBB9_1004:
	s_delay_alu instid0(SALU_CYCLE_1)
	s_and_b32 vcc_lo, exec_lo, s5
	s_cbranch_vccz .LBB9_1009
; %bb.1005:
	s_cmp_eq_u32 s4, 44
	s_mov_b32 s0, -1
	s_cbranch_scc0 .LBB9_1009
; %bb.1006:
	s_wait_xcnt 0x0
	s_delay_alu instid0(VALU_DEP_3) | instskip(SKIP_2) | instid1(VALU_DEP_2)
	v_cvt_f32_f64_e32 v2, v[0:1]
	v_mov_b32_e32 v3, 0xff
	s_mov_b32 s5, exec_lo
	v_bfe_u32 v6, v2, 23, 8
	s_delay_alu instid0(VALU_DEP_1)
	v_cmpx_ne_u32_e32 0xff, v6
	s_cbranch_execz .LBB9_1008
; %bb.1007:
	v_and_b32_e32 v3, 0x400000, v2
	v_and_or_b32 v6, 0x3fffff, v2, v6
	v_lshrrev_b32_e32 v2, 23, v2
	s_delay_alu instid0(VALU_DEP_3) | instskip(NEXT) | instid1(VALU_DEP_3)
	v_cmp_ne_u32_e32 vcc_lo, 0, v3
	v_cmp_ne_u32_e64 s0, 0, v6
	s_and_b32 s0, vcc_lo, s0
	s_delay_alu instid0(SALU_CYCLE_1) | instskip(NEXT) | instid1(VALU_DEP_1)
	v_cndmask_b32_e64 v3, 0, 1, s0
	v_add_nc_u32_e32 v3, v2, v3
.LBB9_1008:
	s_or_b32 exec_lo, exec_lo, s5
	s_mov_b32 s0, 0
	global_store_b8 v[4:5], v3, off
.LBB9_1009:
	s_mov_b32 s5, 0
.LBB9_1010:
	s_delay_alu instid0(SALU_CYCLE_1)
	s_and_b32 vcc_lo, exec_lo, s5
	s_cbranch_vccz .LBB9_1013
; %bb.1011:
	s_cmp_eq_u32 s4, 29
	s_mov_b32 s0, -1
	s_cbranch_scc0 .LBB9_1013
; %bb.1012:
	s_wait_xcnt 0x0
	s_delay_alu instid0(VALU_DEP_3) | instskip(SKIP_2) | instid1(VALU_DEP_1)
	v_trunc_f64_e32 v[2:3], v[0:1]
	s_mov_b32 s0, 0
	s_mov_b32 s5, 0
	v_ldexp_f64 v[6:7], v[2:3], 0xffffffe0
	s_delay_alu instid0(VALU_DEP_1) | instskip(NEXT) | instid1(VALU_DEP_1)
	v_floor_f64_e32 v[6:7], v[6:7]
	v_fmamk_f64 v[2:3], v[6:7], 0xc1f00000, v[2:3]
	v_cvt_u32_f64_e32 v7, v[6:7]
	s_delay_alu instid0(VALU_DEP_2)
	v_cvt_u32_f64_e32 v6, v[2:3]
	global_store_b64 v[4:5], v[6:7], off
	s_branch .LBB9_1014
.LBB9_1013:
	s_mov_b32 s5, 0
.LBB9_1014:
	s_delay_alu instid0(SALU_CYCLE_1)
	s_and_b32 vcc_lo, exec_lo, s5
	s_cbranch_vccz .LBB9_1029
; %bb.1015:
	s_cmp_lt_i32 s4, 27
	s_mov_b32 s5, -1
	s_cbranch_scc1 .LBB9_1021
; %bb.1016:
	s_cmp_gt_i32 s4, 27
	s_cbranch_scc0 .LBB9_1018
; %bb.1017:
	s_wait_xcnt 0x0
	s_delay_alu instid0(VALU_DEP_3)
	v_cvt_u32_f64_e32 v2, v[0:1]
	s_mov_b32 s5, 0
	global_store_b32 v[4:5], v2, off
.LBB9_1018:
	s_and_not1_b32 vcc_lo, exec_lo, s5
	s_cbranch_vccnz .LBB9_1020
; %bb.1019:
	s_wait_xcnt 0x0
	s_delay_alu instid0(VALU_DEP_3)
	v_cvt_u32_f64_e32 v2, v[0:1]
	global_store_b16 v[4:5], v2, off
.LBB9_1020:
	s_mov_b32 s5, 0
.LBB9_1021:
	s_delay_alu instid0(SALU_CYCLE_1)
	s_and_not1_b32 vcc_lo, exec_lo, s5
	s_cbranch_vccnz .LBB9_1029
; %bb.1022:
	s_wait_xcnt 0x0
	s_delay_alu instid0(VALU_DEP_3) | instskip(SKIP_2) | instid1(VALU_DEP_2)
	v_cvt_f32_f64_e32 v2, v[0:1]
	v_mov_b32_e32 v6, 0x80
	s_mov_b32 s5, exec_lo
	v_and_b32_e32 v3, 0x7fffffff, v2
	s_delay_alu instid0(VALU_DEP_1)
	v_cmpx_gt_u32_e32 0x43800000, v3
	s_cbranch_execz .LBB9_1028
; %bb.1023:
	v_cmp_lt_u32_e32 vcc_lo, 0x3bffffff, v3
	s_mov_b32 s8, 0
                                        ; implicit-def: $vgpr3
	s_and_saveexec_b32 s9, vcc_lo
	s_delay_alu instid0(SALU_CYCLE_1)
	s_xor_b32 s9, exec_lo, s9
	s_cbranch_execz .LBB9_1186
; %bb.1024:
	v_bfe_u32 v3, v2, 20, 1
	s_mov_b32 s8, exec_lo
	s_delay_alu instid0(VALU_DEP_1) | instskip(NEXT) | instid1(VALU_DEP_1)
	v_add3_u32 v3, v2, v3, 0x487ffff
	v_lshrrev_b32_e32 v3, 20, v3
	s_and_not1_saveexec_b32 s9, s9
	s_cbranch_execnz .LBB9_1187
.LBB9_1025:
	s_or_b32 exec_lo, exec_lo, s9
	v_mov_b32_e32 v6, 0
	s_and_saveexec_b32 s9, s8
.LBB9_1026:
	v_lshrrev_b32_e32 v2, 24, v2
	s_delay_alu instid0(VALU_DEP_1)
	v_and_or_b32 v6, 0x80, v2, v3
.LBB9_1027:
	s_or_b32 exec_lo, exec_lo, s9
.LBB9_1028:
	s_delay_alu instid0(SALU_CYCLE_1)
	s_or_b32 exec_lo, exec_lo, s5
	global_store_b8 v[4:5], v6, off
.LBB9_1029:
	s_mov_b32 s5, 0
.LBB9_1030:
	s_delay_alu instid0(SALU_CYCLE_1)
	s_and_b32 vcc_lo, exec_lo, s5
	s_mov_b32 s5, 0
	s_cbranch_vccz .LBB9_1070
; %bb.1031:
	s_cmp_gt_i32 s4, 22
	s_mov_b32 s8, -1
	s_cbranch_scc0 .LBB9_1063
; %bb.1032:
	s_cmp_lt_i32 s4, 24
	s_cbranch_scc1 .LBB9_1052
; %bb.1033:
	s_cmp_gt_i32 s4, 24
	s_cbranch_scc0 .LBB9_1041
; %bb.1034:
	s_wait_xcnt 0x0
	s_delay_alu instid0(VALU_DEP_3) | instskip(SKIP_2) | instid1(VALU_DEP_2)
	v_cvt_f32_f64_e32 v2, v[0:1]
	v_mov_b32_e32 v6, 0x80
	s_mov_b32 s8, exec_lo
	v_and_b32_e32 v3, 0x7fffffff, v2
	s_delay_alu instid0(VALU_DEP_1)
	v_cmpx_gt_u32_e32 0x47800000, v3
	s_cbranch_execz .LBB9_1040
; %bb.1035:
	v_cmp_lt_u32_e32 vcc_lo, 0x37ffffff, v3
	s_mov_b32 s9, 0
                                        ; implicit-def: $vgpr3
	s_and_saveexec_b32 s10, vcc_lo
	s_delay_alu instid0(SALU_CYCLE_1)
	s_xor_b32 s10, exec_lo, s10
	s_cbranch_execz .LBB9_1316
; %bb.1036:
	v_bfe_u32 v3, v2, 21, 1
	s_mov_b32 s9, exec_lo
	s_delay_alu instid0(VALU_DEP_1) | instskip(NEXT) | instid1(VALU_DEP_1)
	v_add3_u32 v3, v2, v3, 0x88fffff
	v_lshrrev_b32_e32 v3, 21, v3
	s_and_not1_saveexec_b32 s10, s10
	s_cbranch_execnz .LBB9_1317
.LBB9_1037:
	s_or_b32 exec_lo, exec_lo, s10
	v_mov_b32_e32 v6, 0
	s_and_saveexec_b32 s10, s9
.LBB9_1038:
	v_lshrrev_b32_e32 v2, 24, v2
	s_delay_alu instid0(VALU_DEP_1)
	v_and_or_b32 v6, 0x80, v2, v3
.LBB9_1039:
	s_or_b32 exec_lo, exec_lo, s10
.LBB9_1040:
	s_delay_alu instid0(SALU_CYCLE_1)
	s_or_b32 exec_lo, exec_lo, s8
	s_mov_b32 s8, 0
	global_store_b8 v[4:5], v6, off
.LBB9_1041:
	s_and_b32 vcc_lo, exec_lo, s8
	s_cbranch_vccz .LBB9_1051
; %bb.1042:
	s_wait_xcnt 0x0
	s_delay_alu instid0(VALU_DEP_3) | instskip(SKIP_1) | instid1(VALU_DEP_1)
	v_cvt_f32_f64_e32 v2, v[0:1]
	s_mov_b32 s8, exec_lo
                                        ; implicit-def: $vgpr3
	v_and_b32_e32 v6, 0x7fffffff, v2
	s_delay_alu instid0(VALU_DEP_1)
	v_cmpx_gt_u32_e32 0x43f00000, v6
	s_xor_b32 s8, exec_lo, s8
	s_cbranch_execz .LBB9_1048
; %bb.1043:
	s_mov_b32 s9, exec_lo
                                        ; implicit-def: $vgpr3
	v_cmpx_lt_u32_e32 0x3c7fffff, v6
	s_xor_b32 s9, exec_lo, s9
; %bb.1044:
	v_bfe_u32 v3, v2, 20, 1
	s_delay_alu instid0(VALU_DEP_1) | instskip(NEXT) | instid1(VALU_DEP_1)
	v_add3_u32 v3, v2, v3, 0x407ffff
	v_and_b32_e32 v6, 0xff00000, v3
	v_lshrrev_b32_e32 v3, 20, v3
	s_delay_alu instid0(VALU_DEP_2) | instskip(NEXT) | instid1(VALU_DEP_2)
	v_cmp_ne_u32_e32 vcc_lo, 0x7f00000, v6
	v_cndmask_b32_e32 v3, 0x7e, v3, vcc_lo
; %bb.1045:
	s_and_not1_saveexec_b32 s9, s9
; %bb.1046:
	v_add_f32_e64 v3, 0x46800000, |v2|
; %bb.1047:
	s_or_b32 exec_lo, exec_lo, s9
                                        ; implicit-def: $vgpr6
.LBB9_1048:
	s_and_not1_saveexec_b32 s8, s8
; %bb.1049:
	v_mov_b32_e32 v3, 0x7f
	v_cmp_lt_u32_e32 vcc_lo, 0x7f800000, v6
	s_delay_alu instid0(VALU_DEP_2)
	v_cndmask_b32_e32 v3, 0x7e, v3, vcc_lo
; %bb.1050:
	s_or_b32 exec_lo, exec_lo, s8
	v_lshrrev_b32_e32 v2, 24, v2
	s_delay_alu instid0(VALU_DEP_1)
	v_and_or_b32 v2, 0x80, v2, v3
	global_store_b8 v[4:5], v2, off
.LBB9_1051:
	s_mov_b32 s8, 0
.LBB9_1052:
	s_delay_alu instid0(SALU_CYCLE_1)
	s_and_not1_b32 vcc_lo, exec_lo, s8
	s_cbranch_vccnz .LBB9_1062
; %bb.1053:
	s_wait_xcnt 0x0
	s_delay_alu instid0(VALU_DEP_3) | instskip(SKIP_1) | instid1(VALU_DEP_1)
	v_cvt_f32_f64_e32 v2, v[0:1]
	s_mov_b32 s8, exec_lo
                                        ; implicit-def: $vgpr3
	v_and_b32_e32 v6, 0x7fffffff, v2
	s_delay_alu instid0(VALU_DEP_1)
	v_cmpx_gt_u32_e32 0x47800000, v6
	s_xor_b32 s8, exec_lo, s8
	s_cbranch_execz .LBB9_1059
; %bb.1054:
	s_mov_b32 s9, exec_lo
                                        ; implicit-def: $vgpr3
	v_cmpx_lt_u32_e32 0x387fffff, v6
	s_xor_b32 s9, exec_lo, s9
; %bb.1055:
	v_bfe_u32 v3, v2, 21, 1
	s_delay_alu instid0(VALU_DEP_1) | instskip(NEXT) | instid1(VALU_DEP_1)
	v_add3_u32 v3, v2, v3, 0x80fffff
	v_lshrrev_b32_e32 v3, 21, v3
; %bb.1056:
	s_and_not1_saveexec_b32 s9, s9
; %bb.1057:
	v_add_f32_e64 v3, 0x43000000, |v2|
; %bb.1058:
	s_or_b32 exec_lo, exec_lo, s9
                                        ; implicit-def: $vgpr6
.LBB9_1059:
	s_and_not1_saveexec_b32 s8, s8
; %bb.1060:
	v_mov_b32_e32 v3, 0x7f
	v_cmp_lt_u32_e32 vcc_lo, 0x7f800000, v6
	s_delay_alu instid0(VALU_DEP_2)
	v_cndmask_b32_e32 v3, 0x7c, v3, vcc_lo
; %bb.1061:
	s_or_b32 exec_lo, exec_lo, s8
	v_lshrrev_b32_e32 v2, 24, v2
	s_delay_alu instid0(VALU_DEP_1)
	v_and_or_b32 v2, 0x80, v2, v3
	global_store_b8 v[4:5], v2, off
.LBB9_1062:
	s_mov_b32 s8, 0
.LBB9_1063:
	s_delay_alu instid0(SALU_CYCLE_1)
	s_and_not1_b32 vcc_lo, exec_lo, s8
	s_mov_b32 s9, 0
	s_cbranch_vccnz .LBB9_1071
; %bb.1064:
	s_cmp_gt_i32 s4, 14
	s_mov_b32 s8, -1
	s_cbranch_scc0 .LBB9_1068
; %bb.1065:
	s_cmp_eq_u32 s4, 15
	s_mov_b32 s0, -1
	s_cbranch_scc0 .LBB9_1067
; %bb.1066:
	s_wait_xcnt 0x0
	s_delay_alu instid0(VALU_DEP_3) | instskip(SKIP_1) | instid1(VALU_DEP_1)
	v_cvt_f32_f64_e32 v2, v[0:1]
	s_mov_b32 s0, 0
	v_bfe_u32 v3, v2, 16, 1
	v_cmp_o_f32_e32 vcc_lo, v2, v2
	s_delay_alu instid0(VALU_DEP_2) | instskip(NEXT) | instid1(VALU_DEP_1)
	v_add3_u32 v3, v2, v3, 0x7fff
	v_lshrrev_b32_e32 v3, 16, v3
	s_delay_alu instid0(VALU_DEP_1)
	v_cndmask_b32_e32 v2, 0x7fc0, v3, vcc_lo
	global_store_b16 v[4:5], v2, off
.LBB9_1067:
	s_mov_b32 s8, 0
.LBB9_1068:
	s_delay_alu instid0(SALU_CYCLE_1)
	s_and_b32 vcc_lo, exec_lo, s8
	s_cbranch_vccz .LBB9_1071
; %bb.1069:
	s_cmp_lg_u32 s4, 11
	s_mov_b32 s9, -1
	s_cselect_b32 s4, -1, 0
	s_and_not1_b32 s0, s0, exec_lo
	s_and_b32 s4, s4, exec_lo
	s_delay_alu instid0(SALU_CYCLE_1)
	s_or_b32 s0, s0, s4
	s_branch .LBB9_1071
.LBB9_1070:
	s_mov_b32 s9, 0
.LBB9_1071:
	s_and_not1_b32 s4, s39, exec_lo
	s_and_b32 s0, s0, exec_lo
	s_and_b32 s8, s5, exec_lo
	;; [unrolled: 1-line block ×3, first 2 shown]
	s_or_b32 s39, s4, s0
	s_wait_xcnt 0x0
	s_or_b32 exec_lo, exec_lo, s7
	s_and_saveexec_b32 s0, s39
	s_cbranch_execz .LBB9_1000
.LBB9_1072:
	s_or_b32 s1, s1, exec_lo
	s_and_not1_b32 s9, s9, exec_lo
	s_trap 2
	s_or_b32 exec_lo, exec_lo, s0
	s_and_saveexec_b32 s0, s9
	s_delay_alu instid0(SALU_CYCLE_1)
	s_xor_b32 s0, exec_lo, s0
	s_cbranch_execnz .LBB9_1001
.LBB9_1073:
	s_or_b32 exec_lo, exec_lo, s0
	s_and_saveexec_b32 s0, s8
	s_delay_alu instid0(SALU_CYCLE_1)
	s_xor_b32 s0, exec_lo, s0
	s_cbranch_execz .LBB9_1111
.LBB9_1074:
	s_sext_i32_i16 s5, s6
	s_mov_b32 s4, -1
	s_cmp_lt_i32 s5, 5
	s_cbranch_scc1 .LBB9_1095
; %bb.1075:
	s_cmp_lt_i32 s5, 8
	s_cbranch_scc1 .LBB9_1085
; %bb.1076:
	;; [unrolled: 3-line block ×3, first 2 shown]
	s_cmp_gt_i32 s5, 9
	s_cbranch_scc0 .LBB9_1079
; %bb.1078:
	v_mov_b32_e32 v2, 0
	s_mov_b32 s4, 0
	s_delay_alu instid0(VALU_DEP_1)
	v_mov_b32_e32 v3, v2
	global_store_b128 v[4:5], v[0:3], off
.LBB9_1079:
	s_and_not1_b32 vcc_lo, exec_lo, s4
	s_cbranch_vccnz .LBB9_1081
; %bb.1080:
	s_wait_xcnt 0x0
	v_cvt_f32_f64_e32 v2, v[0:1]
	v_mov_b32_e32 v3, 0
	global_store_b64 v[4:5], v[2:3], off
.LBB9_1081:
	s_mov_b32 s4, 0
.LBB9_1082:
	s_delay_alu instid0(SALU_CYCLE_1)
	s_and_not1_b32 vcc_lo, exec_lo, s4
	s_cbranch_vccnz .LBB9_1084
; %bb.1083:
	s_wait_xcnt 0x0
	v_and_or_b32 v2, 0x1ff, v1, v0
	v_lshrrev_b32_e32 v3, 8, v1
	s_wait_loadcnt 0x0
	v_bfe_u32 v6, v1, 20, 11
	s_delay_alu instid0(VALU_DEP_3) | instskip(NEXT) | instid1(VALU_DEP_2)
	v_cmp_ne_u32_e32 vcc_lo, 0, v2
	v_sub_nc_u32_e32 v7, 0x3f1, v6
	v_cndmask_b32_e64 v2, 0, 1, vcc_lo
	s_delay_alu instid0(VALU_DEP_1) | instskip(NEXT) | instid1(VALU_DEP_3)
	v_and_or_b32 v2, 0xffe, v3, v2
	v_med3_i32 v3, v7, 0, 13
	s_delay_alu instid0(VALU_DEP_2) | instskip(NEXT) | instid1(VALU_DEP_1)
	v_or_b32_e32 v7, 0x1000, v2
	v_lshrrev_b32_e32 v8, v3, v7
	s_delay_alu instid0(VALU_DEP_1) | instskip(NEXT) | instid1(VALU_DEP_1)
	v_lshlrev_b32_e32 v3, v3, v8
	v_cmp_ne_u32_e32 vcc_lo, v3, v7
	v_cndmask_b32_e64 v3, 0, 1, vcc_lo
	s_delay_alu instid0(VALU_DEP_1) | instskip(SKIP_1) | instid1(VALU_DEP_1)
	v_or_b32_e32 v3, v8, v3
	v_add_nc_u32_e32 v6, 0xfffffc10, v6
	v_lshl_or_b32 v7, v6, 12, v2
	v_cmp_gt_i32_e32 vcc_lo, 1, v6
	s_delay_alu instid0(VALU_DEP_2) | instskip(NEXT) | instid1(VALU_DEP_1)
	v_cndmask_b32_e32 v3, v7, v3, vcc_lo
	v_dual_lshrrev_b32 v3, 2, v3 :: v_dual_bitop2_b32 v7, 7, v3 bitop3:0x40
	s_delay_alu instid0(VALU_DEP_1) | instskip(SKIP_4) | instid1(VALU_DEP_2)
	v_cmp_lt_i32_e32 vcc_lo, 5, v7
	v_cndmask_b32_e64 v8, 0, 1, vcc_lo
	v_cmp_eq_u32_e32 vcc_lo, 3, v7
	v_cndmask_b32_e64 v7, 0, 1, vcc_lo
	v_cmp_ne_u32_e32 vcc_lo, 0, v2
	v_or_b32_e32 v7, v7, v8
	s_delay_alu instid0(VALU_DEP_1) | instskip(NEXT) | instid1(VALU_DEP_1)
	v_dual_mov_b32 v8, 0x7e00 :: v_dual_add_nc_u32 v3, v3, v7
	v_cndmask_b32_e32 v2, 0x7c00, v8, vcc_lo
	v_cmp_gt_i32_e32 vcc_lo, 31, v6
	v_lshrrev_b32_e32 v7, 16, v1
	s_delay_alu instid0(VALU_DEP_4) | instskip(SKIP_1) | instid1(VALU_DEP_2)
	v_cndmask_b32_e32 v3, 0x7c00, v3, vcc_lo
	v_cmp_eq_u32_e32 vcc_lo, 0x40f, v6
	v_cndmask_b32_e32 v2, v3, v2, vcc_lo
	s_delay_alu instid0(VALU_DEP_4) | instskip(NEXT) | instid1(VALU_DEP_1)
	v_and_b32_e32 v3, 0x8000, v7
	v_bitop3_b32 v2, v3, 0xffff, v2 bitop3:0xc8
	global_store_b32 v[4:5], v2, off
.LBB9_1084:
	s_mov_b32 s4, 0
.LBB9_1085:
	s_delay_alu instid0(SALU_CYCLE_1)
	s_and_not1_b32 vcc_lo, exec_lo, s4
	s_cbranch_vccnz .LBB9_1094
; %bb.1086:
	s_sext_i32_i16 s5, s6
	s_mov_b32 s4, -1
	s_cmp_lt_i32 s5, 6
	s_cbranch_scc1 .LBB9_1092
; %bb.1087:
	s_cmp_gt_i32 s5, 6
	s_cbranch_scc0 .LBB9_1089
; %bb.1088:
	s_mov_b32 s4, 0
	global_store_b64 v[4:5], v[0:1], off
.LBB9_1089:
	s_and_not1_b32 vcc_lo, exec_lo, s4
	s_cbranch_vccnz .LBB9_1091
; %bb.1090:
	s_wait_xcnt 0x0
	v_cvt_f32_f64_e32 v2, v[0:1]
	global_store_b32 v[4:5], v2, off
.LBB9_1091:
	s_mov_b32 s4, 0
.LBB9_1092:
	s_delay_alu instid0(SALU_CYCLE_1)
	s_and_not1_b32 vcc_lo, exec_lo, s4
	s_cbranch_vccnz .LBB9_1094
; %bb.1093:
	s_wait_xcnt 0x0
	v_and_or_b32 v2, 0x1ff, v1, v0
	v_lshrrev_b32_e32 v3, 8, v1
	s_wait_loadcnt 0x0
	v_bfe_u32 v6, v1, 20, 11
	s_delay_alu instid0(VALU_DEP_3) | instskip(NEXT) | instid1(VALU_DEP_2)
	v_cmp_ne_u32_e32 vcc_lo, 0, v2
	v_sub_nc_u32_e32 v7, 0x3f1, v6
	v_cndmask_b32_e64 v2, 0, 1, vcc_lo
	s_delay_alu instid0(VALU_DEP_1) | instskip(NEXT) | instid1(VALU_DEP_3)
	v_and_or_b32 v2, 0xffe, v3, v2
	v_med3_i32 v3, v7, 0, 13
	s_delay_alu instid0(VALU_DEP_2) | instskip(NEXT) | instid1(VALU_DEP_1)
	v_or_b32_e32 v7, 0x1000, v2
	v_lshrrev_b32_e32 v8, v3, v7
	s_delay_alu instid0(VALU_DEP_1) | instskip(NEXT) | instid1(VALU_DEP_1)
	v_lshlrev_b32_e32 v3, v3, v8
	v_cmp_ne_u32_e32 vcc_lo, v3, v7
	v_cndmask_b32_e64 v3, 0, 1, vcc_lo
	s_delay_alu instid0(VALU_DEP_1) | instskip(SKIP_1) | instid1(VALU_DEP_1)
	v_or_b32_e32 v3, v8, v3
	v_add_nc_u32_e32 v6, 0xfffffc10, v6
	v_lshl_or_b32 v7, v6, 12, v2
	v_cmp_gt_i32_e32 vcc_lo, 1, v6
	s_delay_alu instid0(VALU_DEP_2) | instskip(NEXT) | instid1(VALU_DEP_1)
	v_cndmask_b32_e32 v3, v7, v3, vcc_lo
	v_dual_lshrrev_b32 v3, 2, v3 :: v_dual_bitop2_b32 v7, 7, v3 bitop3:0x40
	s_delay_alu instid0(VALU_DEP_1) | instskip(SKIP_4) | instid1(VALU_DEP_2)
	v_cmp_lt_i32_e32 vcc_lo, 5, v7
	v_cndmask_b32_e64 v8, 0, 1, vcc_lo
	v_cmp_eq_u32_e32 vcc_lo, 3, v7
	v_cndmask_b32_e64 v7, 0, 1, vcc_lo
	v_cmp_ne_u32_e32 vcc_lo, 0, v2
	v_or_b32_e32 v7, v7, v8
	s_delay_alu instid0(VALU_DEP_1) | instskip(NEXT) | instid1(VALU_DEP_1)
	v_dual_mov_b32 v8, 0x7e00 :: v_dual_add_nc_u32 v3, v3, v7
	v_cndmask_b32_e32 v2, 0x7c00, v8, vcc_lo
	v_cmp_gt_i32_e32 vcc_lo, 31, v6
	s_delay_alu instid0(VALU_DEP_3) | instskip(SKIP_1) | instid1(VALU_DEP_2)
	v_cndmask_b32_e32 v3, 0x7c00, v3, vcc_lo
	v_cmp_eq_u32_e32 vcc_lo, 0x40f, v6
	v_dual_cndmask_b32 v2, v3, v2 :: v_dual_lshrrev_b32 v3, 16, v1
	s_delay_alu instid0(VALU_DEP_1)
	v_and_or_b32 v2, 0x8000, v3, v2
	global_store_b16 v[4:5], v2, off
.LBB9_1094:
	s_mov_b32 s4, 0
.LBB9_1095:
	s_delay_alu instid0(SALU_CYCLE_1)
	s_and_not1_b32 vcc_lo, exec_lo, s4
	s_cbranch_vccnz .LBB9_1111
; %bb.1096:
	s_sext_i32_i16 s5, s6
	s_mov_b32 s4, -1
	s_cmp_lt_i32 s5, 2
	s_cbranch_scc1 .LBB9_1106
; %bb.1097:
	s_cmp_lt_i32 s5, 3
	s_cbranch_scc1 .LBB9_1103
; %bb.1098:
	s_cmp_gt_i32 s5, 3
	s_cbranch_scc0 .LBB9_1100
; %bb.1099:
	s_wait_xcnt 0x0
	v_trunc_f64_e32 v[2:3], v[0:1]
	s_mov_b32 s4, 0
	s_wait_loadcnt 0x0
	s_delay_alu instid0(VALU_DEP_1) | instskip(NEXT) | instid1(VALU_DEP_1)
	v_ldexp_f64 v[6:7], v[2:3], 0xffffffe0
	v_floor_f64_e32 v[6:7], v[6:7]
	s_delay_alu instid0(VALU_DEP_1) | instskip(SKIP_1) | instid1(VALU_DEP_2)
	v_fmamk_f64 v[2:3], v[6:7], 0xc1f00000, v[2:3]
	v_cvt_i32_f64_e32 v7, v[6:7]
	v_cvt_u32_f64_e32 v6, v[2:3]
	global_store_b64 v[4:5], v[6:7], off
.LBB9_1100:
	s_and_not1_b32 vcc_lo, exec_lo, s4
	s_cbranch_vccnz .LBB9_1102
; %bb.1101:
	s_wait_xcnt 0x0
	v_cvt_i32_f64_e32 v2, v[0:1]
	global_store_b32 v[4:5], v2, off
.LBB9_1102:
	s_mov_b32 s4, 0
.LBB9_1103:
	s_delay_alu instid0(SALU_CYCLE_1)
	s_and_not1_b32 vcc_lo, exec_lo, s4
	s_cbranch_vccnz .LBB9_1105
; %bb.1104:
	s_wait_xcnt 0x0
	v_cvt_i32_f64_e32 v2, v[0:1]
	global_store_b16 v[4:5], v2, off
.LBB9_1105:
	s_mov_b32 s4, 0
.LBB9_1106:
	s_delay_alu instid0(SALU_CYCLE_1)
	s_and_not1_b32 vcc_lo, exec_lo, s4
	s_cbranch_vccnz .LBB9_1111
; %bb.1107:
	s_sext_i32_i16 s4, s6
	s_delay_alu instid0(SALU_CYCLE_1)
	s_cmp_gt_i32 s4, 0
	s_mov_b32 s4, -1
	s_cbranch_scc0 .LBB9_1109
; %bb.1108:
	s_wait_xcnt 0x0
	v_cvt_i32_f64_e32 v2, v[0:1]
	s_mov_b32 s4, 0
	global_store_b8 v[4:5], v2, off
.LBB9_1109:
	s_and_not1_b32 vcc_lo, exec_lo, s4
	s_cbranch_vccnz .LBB9_1111
; %bb.1110:
	s_wait_xcnt 0x0
	v_trunc_f64_e32 v[0:1], v[0:1]
	s_delay_alu instid0(VALU_DEP_1) | instskip(NEXT) | instid1(VALU_DEP_1)
	v_ldexp_f64 v[2:3], v[0:1], 0xffffffe0
	v_floor_f64_e32 v[2:3], v[2:3]
	s_delay_alu instid0(VALU_DEP_1) | instskip(NEXT) | instid1(VALU_DEP_1)
	v_fmamk_f64 v[0:1], v[2:3], 0xc1f00000, v[0:1]
	v_cvt_u32_f64_e32 v0, v[0:1]
	global_store_b8 v[4:5], v0, off
.LBB9_1111:
	s_wait_xcnt 0x0
	s_or_b32 exec_lo, exec_lo, s0
	s_delay_alu instid0(SALU_CYCLE_1)
	s_and_b32 s8, s1, exec_lo
                                        ; implicit-def: $vgpr5
                                        ; implicit-def: $vgpr4
.LBB9_1112:
	s_or_saveexec_b32 s9, s33
	s_mov_b32 s0, 0
                                        ; implicit-def: $vgpr0_vgpr1
                                        ; implicit-def: $sgpr6
                                        ; implicit-def: $vgpr12_vgpr13
	s_xor_b32 exec_lo, exec_lo, s9
	s_cbranch_execz .LBB9_1785
; %bb.1113:
	v_cndmask_b32_e64 v1, 0, 1, s31
	s_and_not1_b32 vcc_lo, exec_lo, s31
	s_cbranch_vccnz .LBB9_1119
; %bb.1114:
	s_cmp_lg_u32 s28, 0
	s_mov_b32 s10, 0
	s_cbranch_scc0 .LBB9_1120
; %bb.1115:
	s_min_u32 s1, s29, 15
	s_delay_alu instid0(SALU_CYCLE_1)
	s_add_co_i32 s1, s1, 1
	s_cmp_eq_u32 s29, 2
	s_cbranch_scc1 .LBB9_1121
; %bb.1116:
	v_dual_mov_b32 v2, 0 :: v_dual_mov_b32 v0, 0
	s_wait_loadcnt 0x0
	v_mov_b32_e32 v6, v4
	s_and_b32 s0, s1, 28
	s_add_nc_u64 s[4:5], s[2:3], 0xc4
	s_mov_b32 s11, 0
	s_mov_b64 s[6:7], s[2:3]
.LBB9_1117:                             ; =>This Inner Loop Header: Depth=1
	s_clause 0x1
	s_load_b256 s[12:19], s[6:7], 0x4
	s_load_b128 s[36:39], s[6:7], 0x24
	s_load_b256 s[20:27], s[4:5], 0x0
	s_add_co_i32 s11, s11, 4
	s_wait_xcnt 0x0
	s_add_nc_u64 s[6:7], s[6:7], 48
	s_cmp_lg_u32 s0, s11
	s_add_nc_u64 s[4:5], s[4:5], 32
	s_wait_kmcnt 0x0
	v_mul_hi_u32 v3, s13, v6
	s_delay_alu instid0(VALU_DEP_1) | instskip(NEXT) | instid1(VALU_DEP_1)
	v_add_nc_u32_e32 v3, v6, v3
	v_lshrrev_b32_e32 v3, s14, v3
	s_delay_alu instid0(VALU_DEP_1) | instskip(NEXT) | instid1(VALU_DEP_1)
	v_mul_lo_u32 v9, v3, s12
	v_sub_nc_u32_e32 v6, v6, v9
	v_mul_hi_u32 v7, s16, v3
	s_delay_alu instid0(VALU_DEP_2) | instskip(SKIP_1) | instid1(VALU_DEP_3)
	v_mad_u32 v0, v6, s21, v0
	v_mad_u32 v2, v6, s20, v2
	v_add_nc_u32_e32 v7, v3, v7
	s_delay_alu instid0(VALU_DEP_1) | instskip(NEXT) | instid1(VALU_DEP_1)
	v_lshrrev_b32_e32 v7, s17, v7
	v_mul_lo_u32 v9, v7, s15
	s_delay_alu instid0(VALU_DEP_1) | instskip(SKIP_1) | instid1(VALU_DEP_2)
	v_sub_nc_u32_e32 v3, v3, v9
	v_mul_hi_u32 v8, s19, v7
	v_mad_u32 v0, v3, s23, v0
	v_mad_u32 v2, v3, s22, v2
	s_delay_alu instid0(VALU_DEP_3) | instskip(NEXT) | instid1(VALU_DEP_1)
	v_add_nc_u32_e32 v8, v7, v8
	v_lshrrev_b32_e32 v8, s36, v8
	s_delay_alu instid0(VALU_DEP_1) | instskip(SKIP_1) | instid1(VALU_DEP_1)
	v_mul_hi_u32 v10, s38, v8
	v_mul_lo_u32 v9, v8, s18
	v_dual_add_nc_u32 v6, v8, v10 :: v_dual_sub_nc_u32 v3, v7, v9
	s_delay_alu instid0(VALU_DEP_1) | instskip(NEXT) | instid1(VALU_DEP_2)
	v_lshrrev_b32_e32 v6, s39, v6
	v_mad_u32 v0, v3, s25, v0
	v_mad_u32 v2, v3, s24, v2
	s_delay_alu instid0(VALU_DEP_3) | instskip(NEXT) | instid1(VALU_DEP_1)
	v_mul_lo_u32 v7, v6, s37
	v_sub_nc_u32_e32 v3, v8, v7
	s_delay_alu instid0(VALU_DEP_1) | instskip(NEXT) | instid1(VALU_DEP_4)
	v_mad_u32 v0, v3, s27, v0
	v_mad_u32 v2, v3, s26, v2
	s_cbranch_scc1 .LBB9_1117
; %bb.1118:
	s_delay_alu instid0(VALU_DEP_2)
	v_mov_b32_e32 v3, v0
	s_and_b32 s6, s1, 3
	s_mov_b32 s1, 0
	s_cmp_eq_u32 s6, 0
	s_cbranch_scc0 .LBB9_1122
	s_branch .LBB9_1125
.LBB9_1119:
	s_mov_b32 s10, -1
                                        ; implicit-def: $vgpr0
                                        ; implicit-def: $vgpr2
	s_branch .LBB9_1125
.LBB9_1120:
	v_dual_mov_b32 v0, 0 :: v_dual_mov_b32 v2, 0
	s_branch .LBB9_1125
.LBB9_1121:
	v_mov_b64_e32 v[2:3], 0
	s_wait_loadcnt 0x0
	v_mov_b32_e32 v6, v4
                                        ; implicit-def: $vgpr0
	s_and_b32 s6, s1, 3
	s_mov_b32 s1, 0
	s_cmp_eq_u32 s6, 0
	s_cbranch_scc1 .LBB9_1125
.LBB9_1122:
	s_lshl_b32 s4, s0, 3
	s_mov_b32 s5, s1
	s_mul_u64 s[12:13], s[0:1], 12
	s_add_nc_u64 s[4:5], s[2:3], s[4:5]
	s_delay_alu instid0(SALU_CYCLE_1)
	s_add_nc_u64 s[0:1], s[4:5], 0xc4
	s_add_nc_u64 s[4:5], s[2:3], s[12:13]
.LBB9_1123:                             ; =>This Inner Loop Header: Depth=1
	s_load_b96 s[12:14], s[4:5], 0x4
	s_add_co_i32 s6, s6, -1
	s_wait_xcnt 0x0
	s_add_nc_u64 s[4:5], s[4:5], 12
	s_cmp_lg_u32 s6, 0
	s_wait_kmcnt 0x0
	v_mul_hi_u32 v0, s13, v6
	s_delay_alu instid0(VALU_DEP_1) | instskip(NEXT) | instid1(VALU_DEP_1)
	v_add_nc_u32_e32 v0, v6, v0
	v_lshrrev_b32_e32 v0, s14, v0
	s_load_b64 s[14:15], s[0:1], 0x0
	s_wait_xcnt 0x0
	s_add_nc_u64 s[0:1], s[0:1], 8
	s_delay_alu instid0(VALU_DEP_1) | instskip(NEXT) | instid1(VALU_DEP_1)
	v_mul_lo_u32 v7, v0, s12
	v_sub_nc_u32_e32 v6, v6, v7
	s_wait_kmcnt 0x0
	s_delay_alu instid0(VALU_DEP_1)
	v_mad_u32 v3, v6, s15, v3
	v_mad_u32 v2, v6, s14, v2
	v_mov_b32_e32 v6, v0
	s_cbranch_scc1 .LBB9_1123
; %bb.1124:
	s_delay_alu instid0(VALU_DEP_3)
	v_mov_b32_e32 v0, v3
.LBB9_1125:
	s_and_not1_b32 vcc_lo, exec_lo, s10
	s_cbranch_vccnz .LBB9_1128
; %bb.1126:
	s_clause 0x1
	s_load_b96 s[4:6], s[2:3], 0x4
	s_load_b64 s[0:1], s[2:3], 0xc4
	s_cmp_lt_u32 s28, 2
	s_wait_kmcnt 0x0
	v_mul_hi_u32 v0, s5, v4
	s_delay_alu instid0(VALU_DEP_1) | instskip(NEXT) | instid1(VALU_DEP_1)
	v_add_nc_u32_e32 v0, v4, v0
	v_lshrrev_b32_e32 v3, s6, v0
	s_delay_alu instid0(VALU_DEP_1) | instskip(NEXT) | instid1(VALU_DEP_1)
	v_mul_lo_u32 v0, v3, s4
	v_sub_nc_u32_e32 v2, v4, v0
	s_delay_alu instid0(VALU_DEP_1)
	v_mul_lo_u32 v0, v2, s1
	v_mul_lo_u32 v2, v2, s0
	s_cbranch_scc1 .LBB9_1128
; %bb.1127:
	s_clause 0x1
	s_load_b96 s[4:6], s[2:3], 0x10
	s_load_b64 s[0:1], s[2:3], 0xcc
	s_wait_loadcnt 0x0
	s_wait_kmcnt 0x0
	v_mul_hi_u32 v6, s5, v3
	s_delay_alu instid0(VALU_DEP_1) | instskip(NEXT) | instid1(VALU_DEP_1)
	v_add_nc_u32_e32 v6, v3, v6
	v_lshrrev_b32_e32 v6, s6, v6
	s_delay_alu instid0(VALU_DEP_1) | instskip(NEXT) | instid1(VALU_DEP_1)
	v_mul_lo_u32 v6, v6, s4
	v_sub_nc_u32_e32 v3, v3, v6
	s_delay_alu instid0(VALU_DEP_1)
	v_mad_u32 v2, v3, s0, v2
	v_mad_u32 v0, v3, s1, v0
.LBB9_1128:
	v_cmp_ne_u32_e32 vcc_lo, 1, v1
	v_add_nc_u32_e32 v3, 0x80, v4
	s_cbranch_vccnz .LBB9_1134
; %bb.1129:
	s_cmp_lg_u32 s28, 0
	s_mov_b32 s10, 0
	s_cbranch_scc0 .LBB9_1135
; %bb.1130:
	s_min_u32 s1, s29, 15
	s_delay_alu instid0(SALU_CYCLE_1)
	s_add_co_i32 s1, s1, 1
	s_cmp_eq_u32 s29, 2
	s_cbranch_scc1 .LBB9_1136
; %bb.1131:
	s_wait_loadcnt 0x0
	v_dual_mov_b32 v6, 0 :: v_dual_mov_b32 v16, 0
	v_mov_b32_e32 v8, v3
	s_and_b32 s0, s1, 28
	s_add_nc_u64 s[4:5], s[2:3], 0xc4
	s_mov_b32 s11, 0
	s_mov_b64 s[6:7], s[2:3]
.LBB9_1132:                             ; =>This Inner Loop Header: Depth=1
	s_clause 0x1
	s_load_b256 s[12:19], s[6:7], 0x4
	s_load_b128 s[36:39], s[6:7], 0x24
	s_load_b256 s[20:27], s[4:5], 0x0
	s_add_co_i32 s11, s11, 4
	s_wait_xcnt 0x0
	s_add_nc_u64 s[6:7], s[6:7], 48
	s_cmp_lg_u32 s0, s11
	s_add_nc_u64 s[4:5], s[4:5], 32
	s_wait_kmcnt 0x0
	v_mul_hi_u32 v7, s13, v8
	s_delay_alu instid0(VALU_DEP_1) | instskip(NEXT) | instid1(VALU_DEP_1)
	v_add_nc_u32_e32 v7, v8, v7
	v_lshrrev_b32_e32 v7, s14, v7
	s_delay_alu instid0(VALU_DEP_1) | instskip(NEXT) | instid1(VALU_DEP_1)
	v_mul_hi_u32 v9, s16, v7
	v_add_nc_u32_e32 v9, v7, v9
	s_delay_alu instid0(VALU_DEP_1) | instskip(NEXT) | instid1(VALU_DEP_1)
	v_lshrrev_b32_e32 v9, s17, v9
	v_mul_hi_u32 v10, s19, v9
	s_delay_alu instid0(VALU_DEP_1) | instskip(SKIP_1) | instid1(VALU_DEP_1)
	v_add_nc_u32_e32 v10, v9, v10
	v_mul_lo_u32 v11, v7, s12
	v_sub_nc_u32_e32 v8, v8, v11
	v_mul_lo_u32 v11, v9, s15
	s_delay_alu instid0(VALU_DEP_4) | instskip(NEXT) | instid1(VALU_DEP_3)
	v_lshrrev_b32_e32 v10, s36, v10
	v_mad_u32 v13, v8, s21, v16
	v_mad_u32 v6, v8, s20, v6
	s_delay_alu instid0(VALU_DEP_4) | instskip(NEXT) | instid1(VALU_DEP_4)
	v_sub_nc_u32_e32 v7, v7, v11
	v_mul_hi_u32 v12, s38, v10
	v_mul_lo_u32 v11, v10, s18
	s_delay_alu instid0(VALU_DEP_3) | instskip(NEXT) | instid1(VALU_DEP_3)
	v_mad_u32 v6, v7, s22, v6
	v_add_nc_u32_e32 v8, v10, v12
	v_mad_u32 v12, v7, s23, v13
	s_delay_alu instid0(VALU_DEP_2) | instskip(NEXT) | instid1(VALU_DEP_1)
	v_dual_sub_nc_u32 v7, v9, v11 :: v_dual_lshrrev_b32 v8, s39, v8
	v_mad_u32 v6, v7, s24, v6
	s_delay_alu instid0(VALU_DEP_2) | instskip(NEXT) | instid1(VALU_DEP_4)
	v_mul_lo_u32 v9, v8, s37
	v_mad_u32 v11, v7, s25, v12
	s_delay_alu instid0(VALU_DEP_2) | instskip(NEXT) | instid1(VALU_DEP_1)
	v_sub_nc_u32_e32 v7, v10, v9
	v_mad_u32 v16, v7, s27, v11
	v_mad_u32 v6, v7, s26, v6
	s_cbranch_scc1 .LBB9_1132
; %bb.1133:
	s_delay_alu instid0(VALU_DEP_2)
	v_mov_b32_e32 v7, v16
	s_and_b32 s6, s1, 3
	s_mov_b32 s1, 0
	s_cmp_eq_u32 s6, 0
	s_cbranch_scc0 .LBB9_1137
	s_branch .LBB9_1140
.LBB9_1134:
	s_mov_b32 s10, -1
                                        ; implicit-def: $vgpr16
                                        ; implicit-def: $vgpr6
	s_branch .LBB9_1140
.LBB9_1135:
	s_wait_loadcnt 0x0
	v_dual_mov_b32 v16, 0 :: v_dual_mov_b32 v6, 0
	s_branch .LBB9_1140
.LBB9_1136:
	s_wait_loadcnt 0x0
	v_mov_b64_e32 v[6:7], 0
	v_mov_b32_e32 v8, v3
	s_mov_b32 s0, 0
                                        ; implicit-def: $vgpr16
	s_and_b32 s6, s1, 3
	s_mov_b32 s1, 0
	s_cmp_eq_u32 s6, 0
	s_cbranch_scc1 .LBB9_1140
.LBB9_1137:
	s_lshl_b32 s4, s0, 3
	s_mov_b32 s5, s1
	s_mul_u64 s[12:13], s[0:1], 12
	s_add_nc_u64 s[4:5], s[2:3], s[4:5]
	s_delay_alu instid0(SALU_CYCLE_1)
	s_add_nc_u64 s[0:1], s[4:5], 0xc4
	s_add_nc_u64 s[4:5], s[2:3], s[12:13]
.LBB9_1138:                             ; =>This Inner Loop Header: Depth=1
	s_load_b96 s[12:14], s[4:5], 0x4
	s_add_co_i32 s6, s6, -1
	s_wait_xcnt 0x0
	s_add_nc_u64 s[4:5], s[4:5], 12
	s_cmp_lg_u32 s6, 0
	s_wait_kmcnt 0x0
	v_mul_hi_u32 v9, s13, v8
	s_delay_alu instid0(VALU_DEP_1) | instskip(NEXT) | instid1(VALU_DEP_1)
	v_add_nc_u32_e32 v9, v8, v9
	v_lshrrev_b32_e32 v9, s14, v9
	s_load_b64 s[14:15], s[0:1], 0x0
	s_wait_xcnt 0x0
	s_add_nc_u64 s[0:1], s[0:1], 8
	s_delay_alu instid0(VALU_DEP_1) | instskip(NEXT) | instid1(VALU_DEP_1)
	v_mul_lo_u32 v10, v9, s12
	v_sub_nc_u32_e32 v8, v8, v10
	s_wait_kmcnt 0x0
	s_delay_alu instid0(VALU_DEP_1)
	v_mad_u32 v7, v8, s15, v7
	v_mad_u32 v6, v8, s14, v6
	v_mov_b32_e32 v8, v9
	s_cbranch_scc1 .LBB9_1138
; %bb.1139:
	s_delay_alu instid0(VALU_DEP_3)
	v_mov_b32_e32 v16, v7
.LBB9_1140:
	s_and_not1_b32 vcc_lo, exec_lo, s10
	s_cbranch_vccnz .LBB9_1143
; %bb.1141:
	s_clause 0x1
	s_load_b96 s[4:6], s[2:3], 0x4
	s_load_b64 s[0:1], s[2:3], 0xc4
	s_cmp_lt_u32 s28, 2
	s_wait_loadcnt 0x0
	s_wait_kmcnt 0x0
	v_mul_hi_u32 v6, s5, v3
	s_delay_alu instid0(VALU_DEP_1) | instskip(NEXT) | instid1(VALU_DEP_1)
	v_add_nc_u32_e32 v6, v3, v6
	v_lshrrev_b32_e32 v7, s6, v6
	s_delay_alu instid0(VALU_DEP_1) | instskip(NEXT) | instid1(VALU_DEP_1)
	v_mul_lo_u32 v6, v7, s4
	v_sub_nc_u32_e32 v3, v3, v6
	s_delay_alu instid0(VALU_DEP_1)
	v_mul_lo_u32 v16, v3, s1
	v_mul_lo_u32 v6, v3, s0
	s_cbranch_scc1 .LBB9_1143
; %bb.1142:
	s_clause 0x1
	s_load_b96 s[4:6], s[2:3], 0x10
	s_load_b64 s[0:1], s[2:3], 0xcc
	s_wait_kmcnt 0x0
	v_mul_hi_u32 v3, s5, v7
	s_delay_alu instid0(VALU_DEP_1) | instskip(NEXT) | instid1(VALU_DEP_1)
	v_add_nc_u32_e32 v3, v7, v3
	v_lshrrev_b32_e32 v3, s6, v3
	s_delay_alu instid0(VALU_DEP_1) | instskip(NEXT) | instid1(VALU_DEP_1)
	v_mul_lo_u32 v3, v3, s4
	v_sub_nc_u32_e32 v3, v7, v3
	s_delay_alu instid0(VALU_DEP_1)
	v_mad_u32 v6, v3, s0, v6
	v_mad_u32 v16, v3, s1, v16
.LBB9_1143:
	v_cmp_ne_u32_e32 vcc_lo, 1, v1
	v_add_nc_u32_e32 v3, 0x100, v4
	s_cbranch_vccnz .LBB9_1149
; %bb.1144:
	s_cmp_lg_u32 s28, 0
	s_mov_b32 s10, 0
	s_cbranch_scc0 .LBB9_1150
; %bb.1145:
	s_min_u32 s1, s29, 15
	s_delay_alu instid0(SALU_CYCLE_1)
	s_add_co_i32 s1, s1, 1
	s_cmp_eq_u32 s29, 2
	s_cbranch_scc1 .LBB9_1151
; %bb.1146:
	v_dual_mov_b32 v10, 0 :: v_dual_mov_b32 v8, 0
	v_mov_b32_e32 v4, v3
	s_and_b32 s0, s1, 28
	s_add_nc_u64 s[4:5], s[2:3], 0xc4
	s_mov_b32 s11, 0
	s_mov_b64 s[6:7], s[2:3]
.LBB9_1147:                             ; =>This Inner Loop Header: Depth=1
	s_clause 0x1
	s_load_b256 s[12:19], s[6:7], 0x4
	s_load_b128 s[36:39], s[6:7], 0x24
	s_load_b256 s[20:27], s[4:5], 0x0
	s_add_co_i32 s11, s11, 4
	s_wait_xcnt 0x0
	s_add_nc_u64 s[6:7], s[6:7], 48
	s_cmp_lg_u32 s0, s11
	s_add_nc_u64 s[4:5], s[4:5], 32
	s_wait_loadcnt 0x0
	s_wait_kmcnt 0x0
	v_mul_hi_u32 v7, s13, v4
	s_delay_alu instid0(VALU_DEP_1) | instskip(NEXT) | instid1(VALU_DEP_1)
	v_add_nc_u32_e32 v7, v4, v7
	v_lshrrev_b32_e32 v7, s14, v7
	s_delay_alu instid0(VALU_DEP_1) | instskip(NEXT) | instid1(VALU_DEP_1)
	v_mul_lo_u32 v12, v7, s12
	v_sub_nc_u32_e32 v4, v4, v12
	v_mul_hi_u32 v9, s16, v7
	s_delay_alu instid0(VALU_DEP_2) | instskip(SKIP_1) | instid1(VALU_DEP_3)
	v_mad_u32 v8, v4, s21, v8
	v_mad_u32 v4, v4, s20, v10
	v_add_nc_u32_e32 v9, v7, v9
	s_delay_alu instid0(VALU_DEP_1) | instskip(NEXT) | instid1(VALU_DEP_1)
	v_lshrrev_b32_e32 v9, s17, v9
	v_mul_hi_u32 v11, s19, v9
	v_mul_lo_u32 v12, v9, s15
	s_delay_alu instid0(VALU_DEP_1) | instskip(NEXT) | instid1(VALU_DEP_1)
	v_dual_add_nc_u32 v11, v9, v11 :: v_dual_sub_nc_u32 v7, v7, v12
	v_lshrrev_b32_e32 v11, s36, v11
	s_delay_alu instid0(VALU_DEP_2) | instskip(SKIP_1) | instid1(VALU_DEP_3)
	v_mad_u32 v8, v7, s23, v8
	v_mad_u32 v7, v7, s22, v4
	v_mul_hi_u32 v13, s38, v11
	v_mul_lo_u32 v10, v11, s18
	s_delay_alu instid0(VALU_DEP_1) | instskip(NEXT) | instid1(VALU_DEP_1)
	v_dual_add_nc_u32 v12, v11, v13 :: v_dual_sub_nc_u32 v9, v9, v10
	v_lshrrev_b32_e32 v4, s39, v12
	s_delay_alu instid0(VALU_DEP_2) | instskip(SKIP_1) | instid1(VALU_DEP_3)
	v_mad_u32 v8, v9, s25, v8
	v_mad_u32 v7, v9, s24, v7
	v_mul_lo_u32 v10, v4, s37
	s_delay_alu instid0(VALU_DEP_1) | instskip(NEXT) | instid1(VALU_DEP_1)
	v_sub_nc_u32_e32 v9, v11, v10
	v_mad_u32 v8, v9, s27, v8
	s_delay_alu instid0(VALU_DEP_4)
	v_mad_u32 v10, v9, s26, v7
	s_cbranch_scc1 .LBB9_1147
; %bb.1148:
	s_delay_alu instid0(VALU_DEP_2)
	v_mov_b32_e32 v11, v8
	s_and_b32 s6, s1, 3
	s_mov_b32 s1, 0
	s_cmp_eq_u32 s6, 0
	s_cbranch_scc0 .LBB9_1152
	s_branch .LBB9_1155
.LBB9_1149:
	s_mov_b32 s10, -1
                                        ; implicit-def: $vgpr8
                                        ; implicit-def: $vgpr10
	s_branch .LBB9_1155
.LBB9_1150:
	v_dual_mov_b32 v8, 0 :: v_dual_mov_b32 v10, 0
	s_branch .LBB9_1155
.LBB9_1151:
	v_mov_b64_e32 v[10:11], 0
	v_mov_b32_e32 v4, v3
	s_mov_b32 s0, 0
                                        ; implicit-def: $vgpr8
	s_and_b32 s6, s1, 3
	s_mov_b32 s1, 0
	s_cmp_eq_u32 s6, 0
	s_cbranch_scc1 .LBB9_1155
.LBB9_1152:
	s_lshl_b32 s4, s0, 3
	s_mov_b32 s5, s1
	s_mul_u64 s[12:13], s[0:1], 12
	s_add_nc_u64 s[4:5], s[2:3], s[4:5]
	s_delay_alu instid0(SALU_CYCLE_1)
	s_add_nc_u64 s[0:1], s[4:5], 0xc4
	s_add_nc_u64 s[4:5], s[2:3], s[12:13]
.LBB9_1153:                             ; =>This Inner Loop Header: Depth=1
	s_load_b96 s[12:14], s[4:5], 0x4
	s_add_co_i32 s6, s6, -1
	s_wait_xcnt 0x0
	s_add_nc_u64 s[4:5], s[4:5], 12
	s_cmp_lg_u32 s6, 0
	s_wait_loadcnt 0x0
	s_wait_kmcnt 0x0
	v_mul_hi_u32 v7, s13, v4
	s_delay_alu instid0(VALU_DEP_1) | instskip(NEXT) | instid1(VALU_DEP_1)
	v_add_nc_u32_e32 v7, v4, v7
	v_lshrrev_b32_e32 v7, s14, v7
	s_load_b64 s[14:15], s[0:1], 0x0
	s_wait_xcnt 0x0
	s_add_nc_u64 s[0:1], s[0:1], 8
	s_delay_alu instid0(VALU_DEP_1) | instskip(NEXT) | instid1(VALU_DEP_1)
	v_mul_lo_u32 v8, v7, s12
	v_sub_nc_u32_e32 v4, v4, v8
	s_wait_kmcnt 0x0
	s_delay_alu instid0(VALU_DEP_1)
	v_mad_u32 v11, v4, s15, v11
	v_mad_u32 v10, v4, s14, v10
	v_mov_b32_e32 v4, v7
	s_cbranch_scc1 .LBB9_1153
; %bb.1154:
	s_delay_alu instid0(VALU_DEP_3)
	v_mov_b32_e32 v8, v11
.LBB9_1155:
	s_and_not1_b32 vcc_lo, exec_lo, s10
	s_cbranch_vccnz .LBB9_1158
; %bb.1156:
	s_clause 0x1
	s_load_b96 s[4:6], s[2:3], 0x4
	s_load_b64 s[0:1], s[2:3], 0xc4
	s_cmp_lt_u32 s28, 2
	s_wait_kmcnt 0x0
	v_mul_hi_u32 v4, s5, v3
	s_delay_alu instid0(VALU_DEP_1) | instskip(NEXT) | instid1(VALU_DEP_1)
	v_add_nc_u32_e32 v4, v3, v4
	v_lshrrev_b32_e32 v4, s6, v4
	s_wait_loadcnt 0x0
	s_delay_alu instid0(VALU_DEP_1) | instskip(NEXT) | instid1(VALU_DEP_1)
	v_mul_lo_u32 v7, v4, s4
	v_sub_nc_u32_e32 v3, v3, v7
	s_delay_alu instid0(VALU_DEP_1)
	v_mul_lo_u32 v8, v3, s1
	v_mul_lo_u32 v10, v3, s0
	s_cbranch_scc1 .LBB9_1158
; %bb.1157:
	s_clause 0x1
	s_load_b96 s[4:6], s[2:3], 0x10
	s_load_b64 s[0:1], s[2:3], 0xcc
	s_wait_kmcnt 0x0
	v_mul_hi_u32 v3, s5, v4
	s_delay_alu instid0(VALU_DEP_1) | instskip(NEXT) | instid1(VALU_DEP_1)
	v_add_nc_u32_e32 v3, v4, v3
	v_lshrrev_b32_e32 v3, s6, v3
	s_delay_alu instid0(VALU_DEP_1) | instskip(NEXT) | instid1(VALU_DEP_1)
	v_mul_lo_u32 v3, v3, s4
	v_sub_nc_u32_e32 v3, v4, v3
	s_delay_alu instid0(VALU_DEP_1)
	v_mad_u32 v10, v3, s0, v10
	v_mad_u32 v8, v3, s1, v8
.LBB9_1158:
	v_cmp_ne_u32_e32 vcc_lo, 1, v1
	s_cbranch_vccnz .LBB9_1164
; %bb.1159:
	s_cmp_lg_u32 s28, 0
	s_mov_b32 s10, 0
	s_cbranch_scc0 .LBB9_1165
; %bb.1160:
	s_min_u32 s1, s29, 15
	s_delay_alu instid0(SALU_CYCLE_1)
	s_add_co_i32 s1, s1, 1
	s_cmp_eq_u32 s29, 2
	s_cbranch_scc1 .LBB9_1166
; %bb.1161:
	v_dual_mov_b32 v14, 0 :: v_dual_mov_b32 v12, 0
	v_mov_b32_e32 v1, v5
	s_and_b32 s0, s1, 28
	s_add_nc_u64 s[4:5], s[2:3], 0xc4
	s_mov_b32 s11, 0
	s_mov_b64 s[6:7], s[2:3]
.LBB9_1162:                             ; =>This Inner Loop Header: Depth=1
	s_clause 0x1
	s_load_b256 s[12:19], s[6:7], 0x4
	s_load_b128 s[36:39], s[6:7], 0x24
	s_load_b256 s[20:27], s[4:5], 0x0
	s_add_co_i32 s11, s11, 4
	s_wait_xcnt 0x0
	s_add_nc_u64 s[6:7], s[6:7], 48
	s_cmp_lg_u32 s0, s11
	s_add_nc_u64 s[4:5], s[4:5], 32
	s_wait_kmcnt 0x0
	v_mul_hi_u32 v3, s13, v1
	s_delay_alu instid0(VALU_DEP_1) | instskip(NEXT) | instid1(VALU_DEP_1)
	v_add_nc_u32_e32 v3, v1, v3
	v_lshrrev_b32_e32 v3, s14, v3
	s_delay_alu instid0(VALU_DEP_1) | instskip(NEXT) | instid1(VALU_DEP_1)
	v_mul_lo_u32 v9, v3, s12
	v_sub_nc_u32_e32 v1, v1, v9
	v_mul_hi_u32 v4, s16, v3
	s_delay_alu instid0(VALU_DEP_2) | instskip(SKIP_1) | instid1(VALU_DEP_3)
	v_mad_u32 v12, v1, s21, v12
	v_mad_u32 v1, v1, s20, v14
	v_add_nc_u32_e32 v4, v3, v4
	s_delay_alu instid0(VALU_DEP_1) | instskip(SKIP_1) | instid1(VALU_DEP_1)
	v_lshrrev_b32_e32 v4, s17, v4
	s_wait_loadcnt 0x0
	v_mul_hi_u32 v7, s19, v4
	v_mul_lo_u32 v9, v4, s15
	s_delay_alu instid0(VALU_DEP_1) | instskip(NEXT) | instid1(VALU_DEP_1)
	v_dual_add_nc_u32 v7, v4, v7 :: v_dual_sub_nc_u32 v3, v3, v9
	v_lshrrev_b32_e32 v7, s36, v7
	s_delay_alu instid0(VALU_DEP_2) | instskip(SKIP_1) | instid1(VALU_DEP_3)
	v_mad_u32 v12, v3, s23, v12
	v_mad_u32 v3, v3, s22, v1
	v_mul_hi_u32 v11, s38, v7
	v_mul_lo_u32 v9, v7, s18
	s_delay_alu instid0(VALU_DEP_1) | instskip(NEXT) | instid1(VALU_DEP_1)
	v_dual_add_nc_u32 v11, v7, v11 :: v_dual_sub_nc_u32 v4, v4, v9
	v_lshrrev_b32_e32 v1, s39, v11
	s_delay_alu instid0(VALU_DEP_2) | instskip(SKIP_1) | instid1(VALU_DEP_3)
	v_mad_u32 v11, v4, s25, v12
	v_mad_u32 v3, v4, s24, v3
	v_mul_lo_u32 v9, v1, s37
	s_delay_alu instid0(VALU_DEP_1) | instskip(NEXT) | instid1(VALU_DEP_1)
	v_sub_nc_u32_e32 v4, v7, v9
	v_mad_u32 v12, v4, s27, v11
	s_delay_alu instid0(VALU_DEP_4)
	v_mad_u32 v14, v4, s26, v3
	s_cbranch_scc1 .LBB9_1162
; %bb.1163:
	s_delay_alu instid0(VALU_DEP_2)
	v_mov_b32_e32 v15, v12
	s_and_b32 s6, s1, 3
	s_mov_b32 s1, 0
	s_cmp_eq_u32 s6, 0
	s_cbranch_scc0 .LBB9_1167
	s_branch .LBB9_1170
.LBB9_1164:
	s_mov_b32 s10, -1
                                        ; implicit-def: $vgpr12
                                        ; implicit-def: $vgpr14
	s_branch .LBB9_1170
.LBB9_1165:
	v_dual_mov_b32 v12, 0 :: v_dual_mov_b32 v14, 0
	s_branch .LBB9_1170
.LBB9_1166:
	v_mov_b64_e32 v[14:15], 0
	v_mov_b32_e32 v1, v5
	s_mov_b32 s0, 0
                                        ; implicit-def: $vgpr12
	s_and_b32 s6, s1, 3
	s_mov_b32 s1, 0
	s_cmp_eq_u32 s6, 0
	s_cbranch_scc1 .LBB9_1170
.LBB9_1167:
	s_lshl_b32 s4, s0, 3
	s_mov_b32 s5, s1
	s_mul_u64 s[12:13], s[0:1], 12
	s_add_nc_u64 s[4:5], s[2:3], s[4:5]
	s_delay_alu instid0(SALU_CYCLE_1)
	s_add_nc_u64 s[0:1], s[4:5], 0xc4
	s_add_nc_u64 s[4:5], s[2:3], s[12:13]
.LBB9_1168:                             ; =>This Inner Loop Header: Depth=1
	s_load_b96 s[12:14], s[4:5], 0x4
	s_add_co_i32 s6, s6, -1
	s_wait_xcnt 0x0
	s_add_nc_u64 s[4:5], s[4:5], 12
	s_cmp_lg_u32 s6, 0
	s_wait_kmcnt 0x0
	v_mul_hi_u32 v3, s13, v1
	s_delay_alu instid0(VALU_DEP_1) | instskip(NEXT) | instid1(VALU_DEP_1)
	v_add_nc_u32_e32 v3, v1, v3
	v_lshrrev_b32_e32 v3, s14, v3
	s_load_b64 s[14:15], s[0:1], 0x0
	s_wait_xcnt 0x0
	s_add_nc_u64 s[0:1], s[0:1], 8
	s_delay_alu instid0(VALU_DEP_1) | instskip(NEXT) | instid1(VALU_DEP_1)
	v_mul_lo_u32 v4, v3, s12
	v_sub_nc_u32_e32 v1, v1, v4
	s_wait_kmcnt 0x0
	s_delay_alu instid0(VALU_DEP_1)
	v_mad_u32 v15, v1, s15, v15
	v_mad_u32 v14, v1, s14, v14
	v_mov_b32_e32 v1, v3
	s_cbranch_scc1 .LBB9_1168
; %bb.1169:
	s_delay_alu instid0(VALU_DEP_3)
	v_mov_b32_e32 v12, v15
.LBB9_1170:
	s_and_not1_b32 vcc_lo, exec_lo, s10
	s_cbranch_vccnz .LBB9_1173
; %bb.1171:
	s_clause 0x1
	s_load_b96 s[4:6], s[2:3], 0x4
	s_load_b64 s[0:1], s[2:3], 0xc4
	s_cmp_lt_u32 s28, 2
	s_wait_kmcnt 0x0
	v_mul_hi_u32 v1, s5, v5
	s_delay_alu instid0(VALU_DEP_1) | instskip(NEXT) | instid1(VALU_DEP_1)
	v_add_nc_u32_e32 v1, v5, v1
	v_lshrrev_b32_e32 v1, s6, v1
	s_delay_alu instid0(VALU_DEP_1) | instskip(NEXT) | instid1(VALU_DEP_1)
	v_mul_lo_u32 v3, v1, s4
	v_sub_nc_u32_e32 v3, v5, v3
	s_delay_alu instid0(VALU_DEP_1)
	v_mul_lo_u32 v12, v3, s1
	v_mul_lo_u32 v14, v3, s0
	s_cbranch_scc1 .LBB9_1173
; %bb.1172:
	s_clause 0x1
	s_load_b96 s[4:6], s[2:3], 0x10
	s_load_b64 s[0:1], s[2:3], 0xcc
	s_wait_kmcnt 0x0
	v_mul_hi_u32 v3, s5, v1
	s_delay_alu instid0(VALU_DEP_1) | instskip(NEXT) | instid1(VALU_DEP_1)
	v_add_nc_u32_e32 v3, v1, v3
	v_lshrrev_b32_e32 v3, s6, v3
	s_delay_alu instid0(VALU_DEP_1) | instskip(NEXT) | instid1(VALU_DEP_1)
	v_mul_lo_u32 v3, v3, s4
	v_sub_nc_u32_e32 v1, v1, v3
	s_delay_alu instid0(VALU_DEP_1)
	v_mad_u32 v14, v1, s0, v14
	v_mad_u32 v12, v1, s1, v12
.LBB9_1173:
	v_mov_b32_e32 v1, 0
	s_load_b128 s[4:7], s[2:3], 0x148
	global_load_u8 v3, v1, s[2:3] offset:346
	s_wait_kmcnt 0x0
	v_add_nc_u64_e32 v[0:1], s[6:7], v[0:1]
	s_wait_loadcnt 0x0
	v_and_b32_e32 v4, 0xffff, v3
	v_readfirstlane_b32 s0, v3
	s_delay_alu instid0(VALU_DEP_2)
	v_cmp_gt_i32_e32 vcc_lo, 11, v4
	s_cbranch_vccnz .LBB9_1180
; %bb.1174:
	s_and_b32 s1, 0xffff, s0
	s_mov_b32 s11, 0
	s_cmp_gt_i32 s1, 25
	s_cbranch_scc0 .LBB9_1182
; %bb.1175:
	s_cmp_gt_i32 s1, 28
	s_cbranch_scc0 .LBB9_1183
; %bb.1176:
	;; [unrolled: 3-line block ×4, first 2 shown]
	s_cmp_eq_u32 s1, 46
	s_mov_b32 s13, 0
	s_cbranch_scc0 .LBB9_1188
; %bb.1179:
	global_load_b32 v3, v[0:1], off
	s_mov_b32 s10, 0
	s_mov_b32 s12, -1
	s_wait_loadcnt 0x0
	v_lshlrev_b32_e32 v3, 16, v3
	s_delay_alu instid0(VALU_DEP_1)
	v_cvt_f64_f32_e32 v[4:5], v3
	s_branch .LBB9_1190
.LBB9_1180:
	s_mov_b32 s12, 0
	s_mov_b32 s1, s8
                                        ; implicit-def: $vgpr4_vgpr5
	s_cbranch_execnz .LBB9_1253
.LBB9_1181:
	s_and_not1_b32 vcc_lo, exec_lo, s12
	s_cbranch_vccz .LBB9_1298
	s_branch .LBB9_1783
.LBB9_1182:
	s_mov_b32 s12, 0
	s_mov_b32 s10, 0
                                        ; implicit-def: $vgpr4_vgpr5
	s_cbranch_execnz .LBB9_1218
	s_branch .LBB9_1249
.LBB9_1183:
	s_mov_b32 s13, -1
	s_mov_b32 s12, 0
	s_mov_b32 s10, 0
                                        ; implicit-def: $vgpr4_vgpr5
	s_branch .LBB9_1199
.LBB9_1184:
	s_mov_b32 s12, 0
	s_mov_b32 s10, 0
                                        ; implicit-def: $vgpr4_vgpr5
	s_cbranch_execnz .LBB9_1195
	s_branch .LBB9_1198
.LBB9_1185:
	s_mov_b32 s13, -1
	s_mov_b32 s12, 0
	s_mov_b32 s10, 0
	s_branch .LBB9_1189
.LBB9_1186:
	s_and_not1_saveexec_b32 s9, s9
	s_cbranch_execz .LBB9_1025
.LBB9_1187:
	v_add_f32_e64 v3, 0x46000000, |v2|
	s_and_not1_b32 s8, s8, exec_lo
	s_delay_alu instid0(VALU_DEP_1) | instskip(NEXT) | instid1(VALU_DEP_1)
	v_and_b32_e32 v3, 0xff, v3
	v_cmp_ne_u32_e32 vcc_lo, 0, v3
	s_and_b32 s10, vcc_lo, exec_lo
	s_delay_alu instid0(SALU_CYCLE_1)
	s_or_b32 s8, s8, s10
	s_or_b32 exec_lo, exec_lo, s9
	v_mov_b32_e32 v6, 0
	s_and_saveexec_b32 s9, s8
	s_cbranch_execnz .LBB9_1026
	s_branch .LBB9_1027
.LBB9_1188:
	s_mov_b32 s10, -1
	s_mov_b32 s12, 0
.LBB9_1189:
                                        ; implicit-def: $vgpr4_vgpr5
.LBB9_1190:
	s_and_b32 vcc_lo, exec_lo, s13
	s_cbranch_vccz .LBB9_1193
; %bb.1191:
	s_cmp_eq_u32 s1, 44
	s_cbranch_scc0 .LBB9_1194
; %bb.1192:
	global_load_u8 v3, v[0:1], off
	s_mov_b32 s10, 0
	s_mov_b32 s12, -1
	s_wait_loadcnt 0x0
	v_cmp_ne_u32_e32 vcc_lo, 0xff, v3
	v_lshlrev_b32_e32 v4, 23, v3
	s_delay_alu instid0(VALU_DEP_1) | instskip(NEXT) | instid1(VALU_DEP_1)
	v_cvt_f64_f32_e32 v[4:5], v4
	v_cndmask_b32_e32 v4, 0x20000000, v4, vcc_lo
	s_delay_alu instid0(VALU_DEP_2) | instskip(SKIP_1) | instid1(VALU_DEP_2)
	v_cndmask_b32_e32 v5, 0x7ff80000, v5, vcc_lo
	v_cmp_ne_u32_e32 vcc_lo, 0, v3
	v_cndmask_b32_e32 v5, 0x38000000, v5, vcc_lo
	s_delay_alu instid0(VALU_DEP_4)
	v_cndmask_b32_e32 v4, 0, v4, vcc_lo
.LBB9_1193:
	s_branch .LBB9_1198
.LBB9_1194:
	s_mov_b32 s10, -1
                                        ; implicit-def: $vgpr4_vgpr5
	s_branch .LBB9_1198
.LBB9_1195:
	s_cmp_eq_u32 s1, 29
	s_cbranch_scc0 .LBB9_1197
; %bb.1196:
	global_load_b64 v[4:5], v[0:1], off
	s_mov_b32 s10, 0
	s_mov_b32 s12, -1
	s_mov_b32 s13, 0
	s_wait_loadcnt 0x0
	v_cvt_f64_u32_e32 v[18:19], v5
	v_cvt_f64_u32_e32 v[4:5], v4
	s_delay_alu instid0(VALU_DEP_2) | instskip(NEXT) | instid1(VALU_DEP_1)
	v_ldexp_f64 v[18:19], v[18:19], 32
	v_add_f64_e32 v[4:5], v[18:19], v[4:5]
	s_branch .LBB9_1199
.LBB9_1197:
	s_mov_b32 s10, -1
                                        ; implicit-def: $vgpr4_vgpr5
.LBB9_1198:
	s_mov_b32 s13, 0
.LBB9_1199:
	s_delay_alu instid0(SALU_CYCLE_1)
	s_and_b32 vcc_lo, exec_lo, s13
	s_cbranch_vccz .LBB9_1217
; %bb.1200:
	s_cmp_lt_i32 s1, 27
	s_cbranch_scc1 .LBB9_1203
; %bb.1201:
	s_cmp_gt_i32 s1, 27
	s_cbranch_scc0 .LBB9_1204
; %bb.1202:
	global_load_b32 v3, v[0:1], off
	s_mov_b32 s12, 0
	s_wait_loadcnt 0x0
	v_cvt_f64_u32_e32 v[4:5], v3
	s_branch .LBB9_1205
.LBB9_1203:
	s_mov_b32 s12, -1
                                        ; implicit-def: $vgpr4_vgpr5
	s_branch .LBB9_1208
.LBB9_1204:
	s_mov_b32 s12, -1
                                        ; implicit-def: $vgpr4_vgpr5
.LBB9_1205:
	s_delay_alu instid0(SALU_CYCLE_1)
	s_and_not1_b32 vcc_lo, exec_lo, s12
	s_cbranch_vccnz .LBB9_1207
; %bb.1206:
	global_load_u16 v3, v[0:1], off
	s_wait_loadcnt 0x0
	v_cvt_f64_u32_e32 v[4:5], v3
.LBB9_1207:
	s_mov_b32 s12, 0
.LBB9_1208:
	s_delay_alu instid0(SALU_CYCLE_1)
	s_and_not1_b32 vcc_lo, exec_lo, s12
	s_cbranch_vccnz .LBB9_1216
; %bb.1209:
	global_load_u8 v3, v[0:1], off
	s_mov_b32 s12, 0
	s_mov_b32 s13, exec_lo
	s_wait_loadcnt 0x0
	v_cmpx_lt_i16_e32 0x7f, v3
	s_xor_b32 s13, exec_lo, s13
	s_cbranch_execz .LBB9_1229
; %bb.1210:
	s_mov_b32 s12, -1
	s_mov_b32 s14, exec_lo
	v_cmpx_eq_u16_e32 0x80, v3
; %bb.1211:
	s_xor_b32 s12, exec_lo, -1
; %bb.1212:
	s_or_b32 exec_lo, exec_lo, s14
	s_delay_alu instid0(SALU_CYCLE_1)
	s_and_b32 s12, s12, exec_lo
	s_or_saveexec_b32 s13, s13
	v_mov_b64_e32 v[4:5], 0x7ff8000020000000
	s_xor_b32 exec_lo, exec_lo, s13
	s_cbranch_execnz .LBB9_1230
.LBB9_1213:
	s_or_b32 exec_lo, exec_lo, s13
	s_and_saveexec_b32 s13, s12
	s_cbranch_execz .LBB9_1215
.LBB9_1214:
	v_and_b32_e32 v4, 0xffff, v3
	s_delay_alu instid0(VALU_DEP_1) | instskip(SKIP_1) | instid1(VALU_DEP_2)
	v_and_b32_e32 v5, 7, v4
	v_bfe_u32 v11, v4, 3, 4
	v_clz_i32_u32_e32 v7, v5
	s_delay_alu instid0(VALU_DEP_2) | instskip(NEXT) | instid1(VALU_DEP_2)
	v_cmp_eq_u32_e32 vcc_lo, 0, v11
	v_min_u32_e32 v7, 32, v7
	s_delay_alu instid0(VALU_DEP_1) | instskip(NEXT) | instid1(VALU_DEP_1)
	v_subrev_nc_u32_e32 v9, 28, v7
	v_dual_lshlrev_b32 v4, v9, v4 :: v_dual_sub_nc_u32 v7, 29, v7
	s_delay_alu instid0(VALU_DEP_1) | instskip(NEXT) | instid1(VALU_DEP_1)
	v_dual_lshlrev_b32 v3, 24, v3 :: v_dual_bitop2_b32 v4, 7, v4 bitop3:0x40
	v_dual_cndmask_b32 v4, v5, v4 :: v_dual_cndmask_b32 v7, v11, v7
	s_delay_alu instid0(VALU_DEP_2) | instskip(NEXT) | instid1(VALU_DEP_2)
	v_and_b32_e32 v3, 0x80000000, v3
	v_lshlrev_b32_e32 v4, 20, v4
	s_delay_alu instid0(VALU_DEP_3) | instskip(NEXT) | instid1(VALU_DEP_1)
	v_lshl_add_u32 v5, v7, 23, 0x3b800000
	v_or3_b32 v3, v3, v5, v4
	s_delay_alu instid0(VALU_DEP_1)
	v_cvt_f64_f32_e32 v[4:5], v3
.LBB9_1215:
	s_or_b32 exec_lo, exec_lo, s13
.LBB9_1216:
	s_mov_b32 s12, -1
.LBB9_1217:
	s_branch .LBB9_1249
.LBB9_1218:
	s_cmp_gt_i32 s1, 22
	s_cbranch_scc0 .LBB9_1228
; %bb.1219:
	s_cmp_lt_i32 s1, 24
	s_cbranch_scc1 .LBB9_1231
; %bb.1220:
	s_cmp_gt_i32 s1, 24
	s_cbranch_scc0 .LBB9_1232
; %bb.1221:
	global_load_u8 v3, v[0:1], off
	s_mov_b32 s12, exec_lo
	s_wait_loadcnt 0x0
	v_cmpx_lt_i16_e32 0x7f, v3
	s_xor_b32 s12, exec_lo, s12
	s_cbranch_execz .LBB9_1243
; %bb.1222:
	s_mov_b32 s11, -1
	s_mov_b32 s13, exec_lo
	v_cmpx_eq_u16_e32 0x80, v3
; %bb.1223:
	s_xor_b32 s11, exec_lo, -1
; %bb.1224:
	s_or_b32 exec_lo, exec_lo, s13
	s_delay_alu instid0(SALU_CYCLE_1)
	s_and_b32 s11, s11, exec_lo
	s_or_saveexec_b32 s12, s12
	v_mov_b64_e32 v[4:5], 0x7ff8000020000000
	s_xor_b32 exec_lo, exec_lo, s12
	s_cbranch_execnz .LBB9_1244
.LBB9_1225:
	s_or_b32 exec_lo, exec_lo, s12
	s_and_saveexec_b32 s12, s11
	s_cbranch_execz .LBB9_1227
.LBB9_1226:
	v_and_b32_e32 v4, 0xffff, v3
	s_delay_alu instid0(VALU_DEP_1) | instskip(SKIP_1) | instid1(VALU_DEP_2)
	v_and_b32_e32 v5, 3, v4
	v_bfe_u32 v11, v4, 2, 5
	v_clz_i32_u32_e32 v7, v5
	s_delay_alu instid0(VALU_DEP_2) | instskip(NEXT) | instid1(VALU_DEP_2)
	v_cmp_eq_u32_e32 vcc_lo, 0, v11
	v_min_u32_e32 v7, 32, v7
	s_delay_alu instid0(VALU_DEP_1) | instskip(NEXT) | instid1(VALU_DEP_1)
	v_subrev_nc_u32_e32 v9, 29, v7
	v_dual_lshlrev_b32 v4, v9, v4 :: v_dual_sub_nc_u32 v7, 30, v7
	s_delay_alu instid0(VALU_DEP_1) | instskip(NEXT) | instid1(VALU_DEP_1)
	v_dual_lshlrev_b32 v3, 24, v3 :: v_dual_bitop2_b32 v4, 3, v4 bitop3:0x40
	v_dual_cndmask_b32 v4, v5, v4 :: v_dual_cndmask_b32 v7, v11, v7
	s_delay_alu instid0(VALU_DEP_2) | instskip(NEXT) | instid1(VALU_DEP_2)
	v_and_b32_e32 v3, 0x80000000, v3
	v_lshlrev_b32_e32 v4, 21, v4
	s_delay_alu instid0(VALU_DEP_3) | instskip(NEXT) | instid1(VALU_DEP_1)
	v_lshl_add_u32 v5, v7, 23, 0x37800000
	v_or3_b32 v3, v3, v5, v4
	s_delay_alu instid0(VALU_DEP_1)
	v_cvt_f64_f32_e32 v[4:5], v3
.LBB9_1227:
	s_or_b32 exec_lo, exec_lo, s12
	s_mov_b32 s11, 0
	s_branch .LBB9_1233
.LBB9_1228:
                                        ; implicit-def: $vgpr4_vgpr5
	s_mov_b32 s11, 0
	s_branch .LBB9_1239
.LBB9_1229:
	s_or_saveexec_b32 s13, s13
	v_mov_b64_e32 v[4:5], 0x7ff8000020000000
	s_xor_b32 exec_lo, exec_lo, s13
	s_cbranch_execz .LBB9_1213
.LBB9_1230:
	v_cmp_ne_u16_e32 vcc_lo, 0, v3
	v_mov_b64_e32 v[4:5], 0
	s_and_not1_b32 s12, s12, exec_lo
	s_and_b32 s14, vcc_lo, exec_lo
	s_delay_alu instid0(SALU_CYCLE_1)
	s_or_b32 s12, s12, s14
	s_or_b32 exec_lo, exec_lo, s13
	s_and_saveexec_b32 s13, s12
	s_cbranch_execnz .LBB9_1214
	s_branch .LBB9_1215
.LBB9_1231:
	s_mov_b32 s11, -1
                                        ; implicit-def: $vgpr4_vgpr5
	s_branch .LBB9_1236
.LBB9_1232:
	s_mov_b32 s11, -1
                                        ; implicit-def: $vgpr4_vgpr5
.LBB9_1233:
	s_delay_alu instid0(SALU_CYCLE_1)
	s_and_b32 vcc_lo, exec_lo, s11
	s_cbranch_vccz .LBB9_1235
; %bb.1234:
	global_load_u8 v3, v[0:1], off
	s_wait_loadcnt 0x0
	v_lshlrev_b32_e32 v3, 24, v3
	s_delay_alu instid0(VALU_DEP_1) | instskip(NEXT) | instid1(VALU_DEP_1)
	v_and_b32_e32 v4, 0x7f000000, v3
	v_clz_i32_u32_e32 v5, v4
	v_cmp_ne_u32_e32 vcc_lo, 0, v4
	v_add_nc_u32_e32 v9, 0x1000000, v4
	s_delay_alu instid0(VALU_DEP_3) | instskip(NEXT) | instid1(VALU_DEP_1)
	v_min_u32_e32 v5, 32, v5
	v_sub_nc_u32_e64 v5, v5, 4 clamp
	s_delay_alu instid0(VALU_DEP_1) | instskip(NEXT) | instid1(VALU_DEP_1)
	v_dual_lshlrev_b32 v7, v5, v4 :: v_dual_lshlrev_b32 v5, 23, v5
	v_lshrrev_b32_e32 v7, 4, v7
	s_delay_alu instid0(VALU_DEP_1) | instskip(SKIP_1) | instid1(VALU_DEP_2)
	v_sub_nc_u32_e32 v5, v7, v5
	v_ashrrev_i32_e32 v7, 8, v9
	v_add_nc_u32_e32 v5, 0x3c000000, v5
	s_delay_alu instid0(VALU_DEP_1) | instskip(NEXT) | instid1(VALU_DEP_1)
	v_and_or_b32 v5, 0x7f800000, v7, v5
	v_cndmask_b32_e32 v4, 0, v5, vcc_lo
	s_delay_alu instid0(VALU_DEP_1) | instskip(NEXT) | instid1(VALU_DEP_1)
	v_and_or_b32 v3, 0x80000000, v3, v4
	v_cvt_f64_f32_e32 v[4:5], v3
.LBB9_1235:
	s_mov_b32 s11, 0
.LBB9_1236:
	s_delay_alu instid0(SALU_CYCLE_1)
	s_and_not1_b32 vcc_lo, exec_lo, s11
	s_cbranch_vccnz .LBB9_1238
; %bb.1237:
	global_load_u8 v3, v[0:1], off
	s_wait_loadcnt 0x0
	v_lshlrev_b32_e32 v4, 25, v3
	v_lshlrev_b16 v3, 8, v3
	s_delay_alu instid0(VALU_DEP_1) | instskip(NEXT) | instid1(VALU_DEP_3)
	v_and_or_b32 v7, 0x7f00, v3, 0.5
	v_lshrrev_b32_e32 v5, 4, v4
	v_bfe_i32 v3, v3, 0, 16
	s_delay_alu instid0(VALU_DEP_3) | instskip(NEXT) | instid1(VALU_DEP_3)
	v_add_f32_e32 v7, -0.5, v7
	v_or_b32_e32 v5, 0x70000000, v5
	s_delay_alu instid0(VALU_DEP_1) | instskip(SKIP_1) | instid1(VALU_DEP_2)
	v_mul_f32_e32 v5, 0x7800000, v5
	v_cmp_gt_u32_e32 vcc_lo, 0x8000000, v4
	v_cndmask_b32_e32 v4, v5, v7, vcc_lo
	s_delay_alu instid0(VALU_DEP_1) | instskip(NEXT) | instid1(VALU_DEP_1)
	v_and_or_b32 v3, 0x80000000, v3, v4
	v_cvt_f64_f32_e32 v[4:5], v3
.LBB9_1238:
	s_mov_b32 s12, -1
	s_mov_b32 s11, 0
	s_cbranch_execnz .LBB9_1249
.LBB9_1239:
	s_cmp_gt_i32 s1, 14
	s_cbranch_scc0 .LBB9_1242
; %bb.1240:
	s_cmp_eq_u32 s1, 15
	s_cbranch_scc0 .LBB9_1245
; %bb.1241:
	global_load_u16 v3, v[0:1], off
	s_mov_b32 s10, 0
	s_mov_b32 s12, -1
	s_wait_loadcnt 0x0
	v_lshlrev_b32_e32 v3, 16, v3
	s_delay_alu instid0(VALU_DEP_1)
	v_cvt_f64_f32_e32 v[4:5], v3
	s_branch .LBB9_1247
.LBB9_1242:
	s_mov_b32 s11, -1
	s_branch .LBB9_1246
.LBB9_1243:
	s_or_saveexec_b32 s12, s12
	v_mov_b64_e32 v[4:5], 0x7ff8000020000000
	s_xor_b32 exec_lo, exec_lo, s12
	s_cbranch_execz .LBB9_1225
.LBB9_1244:
	v_cmp_ne_u16_e32 vcc_lo, 0, v3
	v_mov_b64_e32 v[4:5], 0
	s_and_not1_b32 s11, s11, exec_lo
	s_and_b32 s13, vcc_lo, exec_lo
	s_delay_alu instid0(SALU_CYCLE_1)
	s_or_b32 s11, s11, s13
	s_or_b32 exec_lo, exec_lo, s12
	s_and_saveexec_b32 s12, s11
	s_cbranch_execnz .LBB9_1226
	s_branch .LBB9_1227
.LBB9_1245:
	s_mov_b32 s10, -1
.LBB9_1246:
                                        ; implicit-def: $vgpr4_vgpr5
.LBB9_1247:
	s_and_b32 vcc_lo, exec_lo, s11
	s_mov_b32 s11, 0
	s_cbranch_vccz .LBB9_1249
; %bb.1248:
	s_cmp_lg_u32 s1, 11
	s_mov_b32 s11, -1
	s_cselect_b32 s10, -1, 0
.LBB9_1249:
	s_delay_alu instid0(SALU_CYCLE_1)
	s_and_b32 vcc_lo, exec_lo, s10
	s_mov_b32 s1, s8
	s_cbranch_vccnz .LBB9_1314
; %bb.1250:
	s_and_not1_b32 vcc_lo, exec_lo, s11
	s_cbranch_vccnz .LBB9_1252
.LBB9_1251:
	global_load_u8 v3, v[0:1], off
	v_mov_b32_e32 v4, 0
	s_mov_b32 s12, -1
	s_wait_loadcnt 0x0
	v_cmp_ne_u16_e32 vcc_lo, 0, v3
	v_cndmask_b32_e64 v5, 0, 0x3ff00000, vcc_lo
.LBB9_1252:
	s_branch .LBB9_1181
.LBB9_1253:
	s_and_b32 s10, 0xffff, s0
	s_delay_alu instid0(SALU_CYCLE_1)
	s_cmp_lt_i32 s10, 5
	s_cbranch_scc1 .LBB9_1258
; %bb.1254:
	s_cmp_lt_i32 s10, 8
	s_cbranch_scc1 .LBB9_1259
; %bb.1255:
	;; [unrolled: 3-line block ×3, first 2 shown]
	s_cmp_gt_i32 s10, 9
	s_cbranch_scc0 .LBB9_1261
; %bb.1257:
	global_load_b64 v[4:5], v[0:1], off
	s_mov_b32 s11, 0
	s_branch .LBB9_1262
.LBB9_1258:
                                        ; implicit-def: $vgpr4_vgpr5
	s_branch .LBB9_1279
.LBB9_1259:
                                        ; implicit-def: $vgpr4_vgpr5
	s_branch .LBB9_1268
.LBB9_1260:
	s_mov_b32 s11, -1
                                        ; implicit-def: $vgpr4_vgpr5
	s_branch .LBB9_1265
.LBB9_1261:
	s_mov_b32 s11, -1
                                        ; implicit-def: $vgpr4_vgpr5
.LBB9_1262:
	s_delay_alu instid0(SALU_CYCLE_1)
	s_and_not1_b32 vcc_lo, exec_lo, s11
	s_cbranch_vccnz .LBB9_1264
; %bb.1263:
	global_load_b32 v3, v[0:1], off
	s_wait_loadcnt 0x0
	v_cvt_f64_f32_e32 v[4:5], v3
.LBB9_1264:
	s_mov_b32 s11, 0
.LBB9_1265:
	s_delay_alu instid0(SALU_CYCLE_1)
	s_and_not1_b32 vcc_lo, exec_lo, s11
	s_cbranch_vccnz .LBB9_1267
; %bb.1266:
	global_load_b32 v3, v[0:1], off
	s_wait_loadcnt 0x0
	v_cvt_f32_f16_e32 v3, v3
	s_delay_alu instid0(VALU_DEP_1)
	v_cvt_f64_f32_e32 v[4:5], v3
.LBB9_1267:
	s_cbranch_execnz .LBB9_1278
.LBB9_1268:
	s_cmp_lt_i32 s10, 6
	s_cbranch_scc1 .LBB9_1271
; %bb.1269:
	s_cmp_gt_i32 s10, 6
	s_cbranch_scc0 .LBB9_1272
; %bb.1270:
	s_wait_loadcnt 0x0
	global_load_b64 v[4:5], v[0:1], off
	s_mov_b32 s11, 0
	s_branch .LBB9_1273
.LBB9_1271:
	s_mov_b32 s11, -1
                                        ; implicit-def: $vgpr4_vgpr5
	s_branch .LBB9_1276
.LBB9_1272:
	s_mov_b32 s11, -1
                                        ; implicit-def: $vgpr4_vgpr5
.LBB9_1273:
	s_delay_alu instid0(SALU_CYCLE_1)
	s_and_not1_b32 vcc_lo, exec_lo, s11
	s_cbranch_vccnz .LBB9_1275
; %bb.1274:
	global_load_b32 v3, v[0:1], off
	s_wait_loadcnt 0x0
	v_cvt_f64_f32_e32 v[4:5], v3
.LBB9_1275:
	s_mov_b32 s11, 0
.LBB9_1276:
	s_delay_alu instid0(SALU_CYCLE_1)
	s_and_not1_b32 vcc_lo, exec_lo, s11
	s_cbranch_vccnz .LBB9_1278
; %bb.1277:
	global_load_u16 v3, v[0:1], off
	s_wait_loadcnt 0x0
	v_cvt_f32_f16_e32 v3, v3
	s_delay_alu instid0(VALU_DEP_1)
	v_cvt_f64_f32_e32 v[4:5], v3
.LBB9_1278:
	s_cbranch_execnz .LBB9_1297
.LBB9_1279:
	s_cmp_lt_i32 s10, 2
	s_cbranch_scc1 .LBB9_1283
; %bb.1280:
	s_cmp_lt_i32 s10, 3
	s_cbranch_scc1 .LBB9_1284
; %bb.1281:
	s_cmp_gt_i32 s10, 3
	s_cbranch_scc0 .LBB9_1285
; %bb.1282:
	s_wait_loadcnt 0x0
	global_load_b64 v[4:5], v[0:1], off
	s_mov_b32 s11, 0
	s_wait_loadcnt 0x0
	v_cvt_f64_i32_e32 v[18:19], v5
	v_cvt_f64_u32_e32 v[4:5], v4
	s_delay_alu instid0(VALU_DEP_2) | instskip(NEXT) | instid1(VALU_DEP_1)
	v_ldexp_f64 v[18:19], v[18:19], 32
	v_add_f64_e32 v[4:5], v[18:19], v[4:5]
	s_branch .LBB9_1286
.LBB9_1283:
                                        ; implicit-def: $vgpr4_vgpr5
	s_branch .LBB9_1292
.LBB9_1284:
	s_mov_b32 s11, -1
                                        ; implicit-def: $vgpr4_vgpr5
	s_branch .LBB9_1289
.LBB9_1285:
	s_mov_b32 s11, -1
                                        ; implicit-def: $vgpr4_vgpr5
.LBB9_1286:
	s_delay_alu instid0(SALU_CYCLE_1)
	s_and_not1_b32 vcc_lo, exec_lo, s11
	s_cbranch_vccnz .LBB9_1288
; %bb.1287:
	global_load_b32 v3, v[0:1], off
	s_wait_loadcnt 0x0
	v_cvt_f64_i32_e32 v[4:5], v3
.LBB9_1288:
	s_mov_b32 s11, 0
.LBB9_1289:
	s_delay_alu instid0(SALU_CYCLE_1)
	s_and_not1_b32 vcc_lo, exec_lo, s11
	s_cbranch_vccnz .LBB9_1291
; %bb.1290:
	global_load_i16 v3, v[0:1], off
	s_wait_loadcnt 0x0
	v_cvt_f64_i32_e32 v[4:5], v3
.LBB9_1291:
	s_cbranch_execnz .LBB9_1297
.LBB9_1292:
	s_cmp_gt_i32 s10, 0
	s_mov_b32 s10, 0
	s_cbranch_scc0 .LBB9_1294
; %bb.1293:
	global_load_i8 v3, v[0:1], off
	s_wait_loadcnt 0x0
	v_cvt_f64_i32_e32 v[4:5], v3
	s_branch .LBB9_1295
.LBB9_1294:
	s_mov_b32 s10, -1
                                        ; implicit-def: $vgpr4_vgpr5
.LBB9_1295:
	s_delay_alu instid0(SALU_CYCLE_1)
	s_and_not1_b32 vcc_lo, exec_lo, s10
	s_cbranch_vccnz .LBB9_1297
; %bb.1296:
	global_load_u8 v0, v[0:1], off
	s_wait_loadcnt 0x0
	v_cvt_f64_u32_e32 v[4:5], v0
.LBB9_1297:
.LBB9_1298:
	s_wait_loadcnt 0x0
	s_delay_alu instid0(VALU_DEP_1) | instskip(SKIP_2) | instid1(SALU_CYCLE_1)
	v_cmp_ge_f64_e64 s10, 0x40200000, |v[4:5]|
                                        ; implicit-def: $vgpr0_vgpr1
	s_wait_xcnt 0x0
	s_and_saveexec_b32 s11, s10
	s_xor_b32 s10, exec_lo, s11
	s_cbranch_execz .LBB9_1300
; %bb.1299:
	v_fma_f64 v[0:1], |v[4:5]|, 0.5, -2.0
	s_mov_b64 s[12:13], 0xbc545cb72134d0ef
	s_delay_alu instid0(VALU_DEP_1) | instid1(SALU_CYCLE_1)
	v_fmaak_f64 v[18:19], s[12:13], v[0:1], 0x3c833362977da589
	s_mov_b64 s[12:13], 0x3ff71547652b82fe
	s_delay_alu instid0(SALU_CYCLE_1) | instskip(SKIP_1) | instid1(VALU_DEP_2)
	v_mul_f64_e64 v[22:23], |v[4:5]|, s[12:13]
	s_mov_b64 s[12:13], 0xbfe62e42fefa39ef
	v_fmaak_f64 v[20:21], v[0:1], v[18:19], 0x3c545cb72134d0ef
	s_delay_alu instid0(VALU_DEP_1) | instskip(NEXT) | instid1(VALU_DEP_3)
	v_add_f64_e32 v[20:21], 0xbcb184eb721ebbb4, v[20:21]
	v_rndne_f64_e32 v[22:23], v[22:23]
	s_delay_alu instid0(VALU_DEP_2) | instskip(NEXT) | instid1(VALU_DEP_2)
	v_fma_f64 v[18:19], v[0:1], v[20:21], -v[18:19]
	v_fma_f64 v[4:5], v[22:23], s[12:13], |v[4:5]|
	s_mov_b64 s[12:13], 0x3e5ade156a5dcb37
	v_cvt_i32_f64_e32 v3, v[22:23]
	s_delay_alu instid0(VALU_DEP_3) | instskip(NEXT) | instid1(VALU_DEP_3)
	v_add_f64_e32 v[18:19], 0x3cdee6d893f65eba, v[18:19]
	v_fmamk_f64 v[4:5], v[22:23], 0xbc7abc9e3b39803f, v[4:5]
	s_delay_alu instid0(VALU_DEP_1) | instskip(NEXT) | instid1(VALU_DEP_3)
	v_fmaak_f64 v[24:25], s[12:13], v[4:5], 0x3e928af3fca7ab0c
	v_fma_f64 v[20:21], v[0:1], v[18:19], -v[20:21]
	s_delay_alu instid0(VALU_DEP_2) | instskip(NEXT) | instid1(VALU_DEP_1)
	v_fmaak_f64 v[24:25], v[4:5], v[24:25], 0x3ec71dee623fde64
	v_fmaak_f64 v[24:25], v[4:5], v[24:25], 0x3efa01997c89e6b0
	s_delay_alu instid0(VALU_DEP_1) | instskip(NEXT) | instid1(VALU_DEP_1)
	v_fmaak_f64 v[24:25], v[4:5], v[24:25], 0x3f2a01a014761f6e
	v_fmaak_f64 v[24:25], v[4:5], v[24:25], 0x3f56c16c1852b7b0
	v_add_f64_e32 v[20:21], 0xbd0a5022c297fbeb, v[20:21]
	s_delay_alu instid0(VALU_DEP_1) | instskip(NEXT) | instid1(VALU_DEP_1)
	v_fma_f64 v[18:19], v[0:1], v[20:21], -v[18:19]
	v_add_f64_e32 v[18:19], 0x3d359b464b262627, v[18:19]
	s_delay_alu instid0(VALU_DEP_1) | instskip(NEXT) | instid1(VALU_DEP_1)
	v_fma_f64 v[20:21], v[0:1], v[18:19], -v[20:21]
	;; [unrolled: 3-line block ×24, first 2 shown]
	v_add_f64_e32 v[20:21], 0xbfd37febc057cd8d, v[20:21]
	s_delay_alu instid0(VALU_DEP_1) | instskip(SKIP_1) | instid1(VALU_DEP_1)
	v_fma_f64 v[0:1], v[0:1], v[20:21], -v[18:19]
	v_fmaak_f64 v[20:21], v[4:5], v[24:25], 0x3f81111111122322
	v_fmaak_f64 v[20:21], v[4:5], v[20:21], 0x3fa55555555502a1
	s_delay_alu instid0(VALU_DEP_1) | instskip(NEXT) | instid1(VALU_DEP_1)
	v_fmaak_f64 v[20:21], v[4:5], v[20:21], 0x3fc5555555555511
	v_fmaak_f64 v[20:21], v[4:5], v[20:21], 0x3fe000000000000b
	s_delay_alu instid0(VALU_DEP_1) | instskip(SKIP_1) | instid1(VALU_DEP_2)
	v_fma_f64 v[20:21], v[4:5], v[20:21], 1.0
	v_add_f64_e32 v[0:1], 0x3fe5a84e9035a22a, v[0:1]
	v_fma_f64 v[4:5], v[4:5], v[20:21], 1.0
	s_delay_alu instid0(VALU_DEP_2) | instskip(NEXT) | instid1(VALU_DEP_2)
	v_add_f64_e64 v[0:1], v[0:1], -v[18:19]
	v_ldexp_f64 v[4:5], v[4:5], v3
	s_delay_alu instid0(VALU_DEP_2) | instskip(NEXT) | instid1(VALU_DEP_1)
	v_mul_f64_e32 v[0:1], 0.5, v[0:1]
	v_mul_f64_e32 v[0:1], v[4:5], v[0:1]
                                        ; implicit-def: $vgpr4_vgpr5
.LBB9_1300:
	s_and_not1_saveexec_b32 s10, s10
	s_cbranch_execz .LBB9_1302
; %bb.1301:
	v_and_b32_e32 v1, 0x7fffffff, v5
	v_mov_b32_e32 v0, v4
	v_cmp_gt_f64_e64 s11, 0x10000000, |v[4:5]|
	s_mov_b64 s[12:13], 0xbc60adb754ca8b19
	v_div_scale_f64 v[18:19], null, v[0:1], v[0:1], 0x40400000
	v_div_scale_f64 v[0:1], vcc_lo, 0x40400000, v[0:1], 0x40400000
	v_cndmask_b32_e64 v3, 0, 0x100, s11
	s_delay_alu instid0(VALU_DEP_3) | instskip(SKIP_1) | instid1(TRANS32_DEP_1)
	v_rcp_f64_e32 v[20:21], v[18:19]
	v_nop
	v_fma_f64 v[22:23], -v[18:19], v[20:21], 1.0
	s_delay_alu instid0(VALU_DEP_1) | instskip(NEXT) | instid1(VALU_DEP_1)
	v_fmac_f64_e32 v[20:21], v[20:21], v[22:23]
	v_fma_f64 v[22:23], -v[18:19], v[20:21], 1.0
	s_delay_alu instid0(VALU_DEP_1) | instskip(NEXT) | instid1(VALU_DEP_1)
	v_fmac_f64_e32 v[20:21], v[20:21], v[22:23]
	v_mul_f64_e32 v[22:23], v[0:1], v[20:21]
	s_delay_alu instid0(VALU_DEP_1) | instskip(NEXT) | instid1(VALU_DEP_1)
	v_fma_f64 v[0:1], -v[18:19], v[22:23], v[0:1]
	v_div_fmas_f64 v[0:1], v[0:1], v[20:21], v[22:23]
	v_ldexp_f64 v[22:23], |v[4:5]|, v3
	v_cmp_nlt_f64_e64 vcc_lo, 0x40900000, |v[4:5]|
	s_delay_alu instid0(VALU_DEP_3) | instskip(NEXT) | instid1(VALU_DEP_3)
	v_div_fixup_f64 v[0:1], v[0:1], |v[4:5]|, 0x40400000
	v_rsq_f64_e32 v[26:27], v[22:23]
	s_delay_alu instid0(VALU_DEP_1) | instskip(NEXT) | instid1(TRANS32_DEP_1)
	v_add_f64_e32 v[0:1], -2.0, v[0:1]
	v_mul_f64_e32 v[28:29], v[22:23], v[26:27]
	v_mul_f64_e32 v[26:27], 0.5, v[26:27]
	s_delay_alu instid0(VALU_DEP_3) | instskip(SKIP_1) | instid1(SALU_CYCLE_1)
	v_fmaak_f64 v[18:19], s[12:13], v[0:1], 0xbc5646da66119130
	s_mov_b64 s[12:13], 0x3ff71547652b82fe
	v_mul_f64_e64 v[24:25], |v[4:5]|, s[12:13]
	s_mov_b64 s[12:13], 0xbfe62e42fefa39ef
	s_delay_alu instid0(VALU_DEP_2) | instskip(NEXT) | instid1(VALU_DEP_4)
	v_fmaak_f64 v[20:21], v[0:1], v[18:19], 0x3c60adb754ca8b19
	v_fma_f64 v[32:33], -v[26:27], v[28:29], 0.5
	s_delay_alu instid0(VALU_DEP_2) | instskip(NEXT) | instid1(VALU_DEP_4)
	v_add_f64_e32 v[20:21], 0x3c89be1812d98421, v[20:21]
	v_rndne_f64_e32 v[24:25], v[24:25]
	s_delay_alu instid0(VALU_DEP_3) | instskip(SKIP_1) | instid1(VALU_DEP_4)
	v_fmac_f64_e32 v[28:29], v[28:29], v[32:33]
	v_fmac_f64_e32 v[26:27], v[26:27], v[32:33]
	v_fma_f64 v[18:19], v[0:1], v[20:21], -v[18:19]
	s_delay_alu instid0(VALU_DEP_4) | instskip(SKIP_2) | instid1(VALU_DEP_3)
	v_fma_f64 v[30:31], v[24:25], s[12:13], |v[4:5]|
	s_mov_b64 s[12:13], 0x3e5ade156a5dcb37
	v_cvt_i32_f64_e32 v3, v[24:25]
	v_add_f64_e32 v[18:19], 0x3c83f3dd076041cd, v[18:19]
	s_delay_alu instid0(VALU_DEP_3) | instskip(NEXT) | instid1(VALU_DEP_1)
	v_fmamk_f64 v[30:31], v[24:25], 0xbc7abc9e3b39803f, v[30:31]
	v_fmaak_f64 v[34:35], s[12:13], v[30:31], 0x3e928af3fca7ab0c
	s_delay_alu instid0(VALU_DEP_3) | instskip(NEXT) | instid1(VALU_DEP_2)
	v_fma_f64 v[20:21], v[0:1], v[18:19], -v[20:21]
	v_fmaak_f64 v[34:35], v[30:31], v[34:35], 0x3ec71dee623fde64
	s_delay_alu instid0(VALU_DEP_1) | instskip(NEXT) | instid1(VALU_DEP_1)
	v_fmaak_f64 v[34:35], v[30:31], v[34:35], 0x3efa01997c89e6b0
	v_fmaak_f64 v[34:35], v[30:31], v[34:35], 0x3f2a01a014761f6e
	s_delay_alu instid0(VALU_DEP_1) | instskip(NEXT) | instid1(VALU_DEP_1)
	v_fmaak_f64 v[34:35], v[30:31], v[34:35], 0x3f56c16c1852b7b0
	v_fmaak_f64 v[34:35], v[30:31], v[34:35], 0x3f81111111122322
	v_add_f64_e32 v[20:21], 0xbcb4600babd21fe4, v[20:21]
	s_delay_alu instid0(VALU_DEP_1) | instskip(NEXT) | instid1(VALU_DEP_1)
	v_fma_f64 v[18:19], v[0:1], v[20:21], -v[18:19]
	v_add_f64_e32 v[18:19], 0xbcb8aee7d908de38, v[18:19]
	s_delay_alu instid0(VALU_DEP_1) | instskip(NEXT) | instid1(VALU_DEP_1)
	v_fma_f64 v[20:21], v[0:1], v[18:19], -v[20:21]
	;; [unrolled: 3-line block ×19, first 2 shown]
	v_add_f64_e32 v[18:19], 0x3f6b998ca2e59049, v[18:19]
	s_delay_alu instid0(VALU_DEP_1) | instskip(SKIP_1) | instid1(VALU_DEP_1)
	v_fma_f64 v[0:1], v[0:1], v[18:19], -v[20:21]
	v_fmaak_f64 v[18:19], v[30:31], v[34:35], 0x3fa55555555502a1
	v_fmaak_f64 v[18:19], v[30:31], v[18:19], 0x3fc5555555555511
	s_delay_alu instid0(VALU_DEP_1) | instskip(NEXT) | instid1(VALU_DEP_1)
	v_fmaak_f64 v[18:19], v[30:31], v[18:19], 0x3fe000000000000b
	v_fma_f64 v[18:19], v[30:31], v[18:19], 1.0
	v_add_f64_e32 v[0:1], 0x3fe9be62aca809cb, v[0:1]
	s_delay_alu instid0(VALU_DEP_2) | instskip(NEXT) | instid1(VALU_DEP_2)
	v_fma_f64 v[18:19], v[30:31], v[18:19], 1.0
	v_add_f64_e64 v[0:1], v[0:1], -v[20:21]
	s_delay_alu instid0(VALU_DEP_2) | instskip(SKIP_1) | instid1(VALU_DEP_3)
	v_ldexp_f64 v[18:19], v[18:19], v3
	v_cndmask_b32_e64 v3, 0, 0xffffff80, s11
	v_mul_f64_e32 v[0:1], 0.5, v[0:1]
	s_delay_alu instid0(VALU_DEP_3) | instskip(NEXT) | instid1(VALU_DEP_4)
	v_cndmask_b32_e32 v5, 0x7ff00000, v19, vcc_lo
	v_cndmask_b32_e32 v4, 0, v18, vcc_lo
	v_cmp_class_f64_e64 vcc_lo, v[22:23], 0x260
	v_fma_f64 v[32:33], -v[28:29], v[28:29], v[22:23]
	s_delay_alu instid0(VALU_DEP_3) | instskip(NEXT) | instid1(VALU_DEP_2)
	v_mul_f64_e32 v[0:1], v[4:5], v[0:1]
	v_fmac_f64_e32 v[28:29], v[32:33], v[26:27]
	s_delay_alu instid0(VALU_DEP_1) | instskip(NEXT) | instid1(VALU_DEP_1)
	v_fma_f64 v[24:25], -v[28:29], v[28:29], v[22:23]
	v_fmac_f64_e32 v[28:29], v[24:25], v[26:27]
	s_delay_alu instid0(VALU_DEP_1) | instskip(NEXT) | instid1(VALU_DEP_1)
	v_ldexp_f64 v[18:19], v[28:29], v3
	v_dual_cndmask_b32 v5, v19, v23 :: v_dual_cndmask_b32 v4, v18, v22
	s_delay_alu instid0(VALU_DEP_1) | instskip(NEXT) | instid1(VALU_DEP_1)
	v_div_scale_f64 v[18:19], null, v[4:5], v[4:5], v[0:1]
	v_rcp_f64_e32 v[20:21], v[18:19]
	v_nop
	s_delay_alu instid0(TRANS32_DEP_1) | instskip(NEXT) | instid1(VALU_DEP_1)
	v_fma_f64 v[22:23], -v[18:19], v[20:21], 1.0
	v_fmac_f64_e32 v[20:21], v[20:21], v[22:23]
	s_delay_alu instid0(VALU_DEP_1) | instskip(NEXT) | instid1(VALU_DEP_1)
	v_fma_f64 v[22:23], -v[18:19], v[20:21], 1.0
	v_fmac_f64_e32 v[20:21], v[20:21], v[22:23]
	v_div_scale_f64 v[22:23], vcc_lo, v[0:1], v[4:5], v[0:1]
	s_delay_alu instid0(VALU_DEP_1) | instskip(NEXT) | instid1(VALU_DEP_1)
	v_mul_f64_e32 v[24:25], v[22:23], v[20:21]
	v_fma_f64 v[18:19], -v[18:19], v[24:25], v[22:23]
	s_delay_alu instid0(VALU_DEP_1) | instskip(NEXT) | instid1(VALU_DEP_1)
	v_div_fmas_f64 v[18:19], v[18:19], v[20:21], v[24:25]
	v_div_fixup_f64 v[0:1], v[18:19], v[4:5], v[0:1]
.LBB9_1302:
	s_or_b32 exec_lo, exec_lo, s10
	v_mov_b32_e32 v17, 0
	s_and_b32 s0, 0xffff, s0
	s_delay_alu instid0(SALU_CYCLE_1) | instskip(NEXT) | instid1(VALU_DEP_1)
	s_cmp_lt_i32 s0, 11
	v_add_nc_u64_e32 v[4:5], s[6:7], v[16:17]
	s_cbranch_scc1 .LBB9_1309
; %bb.1303:
	s_cmp_gt_i32 s0, 25
	s_mov_b32 s11, 0
	s_cbranch_scc0 .LBB9_1311
; %bb.1304:
	s_cmp_gt_i32 s0, 28
	s_cbranch_scc0 .LBB9_1312
; %bb.1305:
	s_cmp_gt_i32 s0, 43
	;; [unrolled: 3-line block ×3, first 2 shown]
	s_cbranch_scc0 .LBB9_1315
; %bb.1307:
	s_cmp_eq_u32 s0, 46
	s_mov_b32 s13, 0
	s_cbranch_scc0 .LBB9_1318
; %bb.1308:
	global_load_b32 v3, v[4:5], off
	s_mov_b32 s10, 0
	s_mov_b32 s12, -1
	s_wait_loadcnt 0x0
	v_lshlrev_b32_e32 v3, 16, v3
	s_delay_alu instid0(VALU_DEP_1)
	v_cvt_f64_f32_e32 v[16:17], v3
	s_branch .LBB9_1320
.LBB9_1309:
	s_mov_b32 s12, 0
                                        ; implicit-def: $vgpr16_vgpr17
	s_cbranch_execnz .LBB9_1385
.LBB9_1310:
	s_and_not1_b32 vcc_lo, exec_lo, s12
	s_cbranch_vccnz .LBB9_1783
	s_branch .LBB9_1432
.LBB9_1311:
	s_mov_b32 s12, 0
	s_mov_b32 s10, 0
                                        ; implicit-def: $vgpr16_vgpr17
	s_cbranch_execnz .LBB9_1349
	s_branch .LBB9_1381
.LBB9_1312:
	s_mov_b32 s13, -1
	s_mov_b32 s12, 0
	s_mov_b32 s10, 0
                                        ; implicit-def: $vgpr16_vgpr17
	s_branch .LBB9_1330
.LBB9_1313:
	s_mov_b32 s13, -1
	s_mov_b32 s12, 0
	s_mov_b32 s10, 0
                                        ; implicit-def: $vgpr16_vgpr17
	s_branch .LBB9_1325
.LBB9_1314:
	s_or_b32 s1, s8, exec_lo
	s_trap 2
	s_cbranch_execz .LBB9_1251
	s_branch .LBB9_1252
.LBB9_1315:
	s_mov_b32 s13, -1
	s_mov_b32 s12, 0
	s_mov_b32 s10, 0
	s_branch .LBB9_1319
.LBB9_1316:
	s_and_not1_saveexec_b32 s10, s10
	s_cbranch_execz .LBB9_1037
.LBB9_1317:
	v_add_f32_e64 v3, 0x42800000, |v2|
	s_and_not1_b32 s9, s9, exec_lo
	s_delay_alu instid0(VALU_DEP_1) | instskip(NEXT) | instid1(VALU_DEP_1)
	v_and_b32_e32 v3, 0xff, v3
	v_cmp_ne_u32_e32 vcc_lo, 0, v3
	s_and_b32 s11, vcc_lo, exec_lo
	s_delay_alu instid0(SALU_CYCLE_1)
	s_or_b32 s9, s9, s11
	s_or_b32 exec_lo, exec_lo, s10
	v_mov_b32_e32 v6, 0
	s_and_saveexec_b32 s10, s9
	s_cbranch_execnz .LBB9_1038
	s_branch .LBB9_1039
.LBB9_1318:
	s_mov_b32 s10, -1
	s_mov_b32 s12, 0
.LBB9_1319:
                                        ; implicit-def: $vgpr16_vgpr17
.LBB9_1320:
	s_and_b32 vcc_lo, exec_lo, s13
	s_cbranch_vccz .LBB9_1324
; %bb.1321:
	s_cmp_eq_u32 s0, 44
	s_cbranch_scc0 .LBB9_1323
; %bb.1322:
	global_load_u8 v3, v[4:5], off
	s_mov_b32 s10, 0
	s_mov_b32 s12, -1
	s_wait_loadcnt 0x0
	v_lshlrev_b32_e32 v7, 23, v3
	v_cmp_ne_u32_e32 vcc_lo, 0xff, v3
	s_delay_alu instid0(VALU_DEP_2) | instskip(NEXT) | instid1(VALU_DEP_1)
	v_cvt_f64_f32_e32 v[16:17], v7
	v_cndmask_b32_e32 v7, 0x20000000, v16, vcc_lo
	s_delay_alu instid0(VALU_DEP_2) | instskip(SKIP_1) | instid1(VALU_DEP_2)
	v_cndmask_b32_e32 v9, 0x7ff80000, v17, vcc_lo
	v_cmp_ne_u32_e32 vcc_lo, 0, v3
	v_cndmask_b32_e32 v17, 0x38000000, v9, vcc_lo
	s_delay_alu instid0(VALU_DEP_4)
	v_cndmask_b32_e32 v16, 0, v7, vcc_lo
	s_branch .LBB9_1324
.LBB9_1323:
	s_mov_b32 s10, -1
                                        ; implicit-def: $vgpr16_vgpr17
.LBB9_1324:
	s_mov_b32 s13, 0
.LBB9_1325:
	s_delay_alu instid0(SALU_CYCLE_1)
	s_and_b32 vcc_lo, exec_lo, s13
	s_cbranch_vccz .LBB9_1329
; %bb.1326:
	s_cmp_eq_u32 s0, 29
	s_cbranch_scc0 .LBB9_1328
; %bb.1327:
	global_load_b64 v[16:17], v[4:5], off
	s_mov_b32 s10, 0
	s_mov_b32 s12, -1
	s_mov_b32 s13, 0
	s_wait_loadcnt 0x0
	v_cvt_f64_u32_e32 v[18:19], v17
	v_cvt_f64_u32_e32 v[16:17], v16
	s_delay_alu instid0(VALU_DEP_2) | instskip(NEXT) | instid1(VALU_DEP_1)
	v_ldexp_f64 v[18:19], v[18:19], 32
	v_add_f64_e32 v[16:17], v[18:19], v[16:17]
	s_branch .LBB9_1330
.LBB9_1328:
	s_mov_b32 s10, -1
                                        ; implicit-def: $vgpr16_vgpr17
.LBB9_1329:
	s_mov_b32 s13, 0
.LBB9_1330:
	s_delay_alu instid0(SALU_CYCLE_1)
	s_and_b32 vcc_lo, exec_lo, s13
	s_cbranch_vccz .LBB9_1348
; %bb.1331:
	s_cmp_lt_i32 s0, 27
	s_cbranch_scc1 .LBB9_1334
; %bb.1332:
	s_cmp_gt_i32 s0, 27
	s_cbranch_scc0 .LBB9_1335
; %bb.1333:
	global_load_b32 v3, v[4:5], off
	s_mov_b32 s12, 0
	s_wait_loadcnt 0x0
	v_cvt_f64_u32_e32 v[16:17], v3
	s_branch .LBB9_1336
.LBB9_1334:
	s_mov_b32 s12, -1
                                        ; implicit-def: $vgpr16_vgpr17
	s_branch .LBB9_1339
.LBB9_1335:
	s_mov_b32 s12, -1
                                        ; implicit-def: $vgpr16_vgpr17
.LBB9_1336:
	s_delay_alu instid0(SALU_CYCLE_1)
	s_and_not1_b32 vcc_lo, exec_lo, s12
	s_cbranch_vccnz .LBB9_1338
; %bb.1337:
	global_load_u16 v3, v[4:5], off
	s_wait_loadcnt 0x0
	v_cvt_f64_u32_e32 v[16:17], v3
.LBB9_1338:
	s_mov_b32 s12, 0
.LBB9_1339:
	s_delay_alu instid0(SALU_CYCLE_1)
	s_and_not1_b32 vcc_lo, exec_lo, s12
	s_cbranch_vccnz .LBB9_1347
; %bb.1340:
	global_load_u8 v3, v[4:5], off
	s_mov_b32 s12, 0
	s_mov_b32 s13, exec_lo
	s_wait_loadcnt 0x0
	v_cmpx_lt_i16_e32 0x7f, v3
	s_xor_b32 s13, exec_lo, s13
	s_cbranch_execz .LBB9_1360
; %bb.1341:
	s_mov_b32 s12, -1
	s_mov_b32 s14, exec_lo
	v_cmpx_eq_u16_e32 0x80, v3
; %bb.1342:
	s_xor_b32 s12, exec_lo, -1
; %bb.1343:
	s_or_b32 exec_lo, exec_lo, s14
	s_delay_alu instid0(SALU_CYCLE_1)
	s_and_b32 s12, s12, exec_lo
	s_or_saveexec_b32 s13, s13
	v_mov_b64_e32 v[16:17], 0x7ff8000020000000
	s_xor_b32 exec_lo, exec_lo, s13
	s_cbranch_execnz .LBB9_1361
.LBB9_1344:
	s_or_b32 exec_lo, exec_lo, s13
	s_and_saveexec_b32 s13, s12
	s_cbranch_execz .LBB9_1346
.LBB9_1345:
	v_and_b32_e32 v7, 0xffff, v3
	v_lshlrev_b32_e32 v3, 24, v3
	s_delay_alu instid0(VALU_DEP_2) | instskip(SKIP_1) | instid1(VALU_DEP_3)
	v_and_b32_e32 v9, 7, v7
	v_bfe_u32 v15, v7, 3, 4
	v_and_b32_e32 v3, 0x80000000, v3
	s_delay_alu instid0(VALU_DEP_3) | instskip(NEXT) | instid1(VALU_DEP_3)
	v_clz_i32_u32_e32 v11, v9
	v_cmp_eq_u32_e32 vcc_lo, 0, v15
	s_delay_alu instid0(VALU_DEP_2) | instskip(NEXT) | instid1(VALU_DEP_1)
	v_min_u32_e32 v11, 32, v11
	v_subrev_nc_u32_e32 v13, 28, v11
	v_sub_nc_u32_e32 v11, 29, v11
	s_delay_alu instid0(VALU_DEP_2) | instskip(NEXT) | instid1(VALU_DEP_2)
	v_lshlrev_b32_e32 v7, v13, v7
	v_cndmask_b32_e32 v11, v15, v11, vcc_lo
	s_delay_alu instid0(VALU_DEP_2) | instskip(NEXT) | instid1(VALU_DEP_1)
	v_and_b32_e32 v7, 7, v7
	v_cndmask_b32_e32 v7, v9, v7, vcc_lo
	s_delay_alu instid0(VALU_DEP_3) | instskip(NEXT) | instid1(VALU_DEP_2)
	v_lshl_add_u32 v9, v11, 23, 0x3b800000
	v_lshlrev_b32_e32 v7, 20, v7
	s_delay_alu instid0(VALU_DEP_1) | instskip(NEXT) | instid1(VALU_DEP_1)
	v_or3_b32 v3, v3, v9, v7
	v_cvt_f64_f32_e32 v[16:17], v3
.LBB9_1346:
	s_or_b32 exec_lo, exec_lo, s13
.LBB9_1347:
	s_mov_b32 s12, -1
.LBB9_1348:
	s_branch .LBB9_1381
.LBB9_1349:
	s_cmp_gt_i32 s0, 22
	s_cbranch_scc0 .LBB9_1359
; %bb.1350:
	s_cmp_lt_i32 s0, 24
	s_cbranch_scc1 .LBB9_1362
; %bb.1351:
	s_cmp_gt_i32 s0, 24
	s_cbranch_scc0 .LBB9_1363
; %bb.1352:
	global_load_u8 v3, v[4:5], off
	s_mov_b32 s12, exec_lo
	s_wait_loadcnt 0x0
	v_cmpx_lt_i16_e32 0x7f, v3
	s_xor_b32 s12, exec_lo, s12
	s_cbranch_execz .LBB9_1375
; %bb.1353:
	s_mov_b32 s11, -1
	s_mov_b32 s13, exec_lo
	v_cmpx_eq_u16_e32 0x80, v3
; %bb.1354:
	s_xor_b32 s11, exec_lo, -1
; %bb.1355:
	s_or_b32 exec_lo, exec_lo, s13
	s_delay_alu instid0(SALU_CYCLE_1)
	s_and_b32 s11, s11, exec_lo
	s_or_saveexec_b32 s12, s12
	v_mov_b64_e32 v[16:17], 0x7ff8000020000000
	s_xor_b32 exec_lo, exec_lo, s12
	s_cbranch_execnz .LBB9_1376
.LBB9_1356:
	s_or_b32 exec_lo, exec_lo, s12
	s_and_saveexec_b32 s12, s11
	s_cbranch_execz .LBB9_1358
.LBB9_1357:
	v_and_b32_e32 v7, 0xffff, v3
	v_lshlrev_b32_e32 v3, 24, v3
	s_delay_alu instid0(VALU_DEP_2) | instskip(SKIP_1) | instid1(VALU_DEP_3)
	v_and_b32_e32 v9, 3, v7
	v_bfe_u32 v15, v7, 2, 5
	v_and_b32_e32 v3, 0x80000000, v3
	s_delay_alu instid0(VALU_DEP_3) | instskip(NEXT) | instid1(VALU_DEP_3)
	v_clz_i32_u32_e32 v11, v9
	v_cmp_eq_u32_e32 vcc_lo, 0, v15
	s_delay_alu instid0(VALU_DEP_2) | instskip(NEXT) | instid1(VALU_DEP_1)
	v_min_u32_e32 v11, 32, v11
	v_subrev_nc_u32_e32 v13, 29, v11
	v_sub_nc_u32_e32 v11, 30, v11
	s_delay_alu instid0(VALU_DEP_2) | instskip(NEXT) | instid1(VALU_DEP_2)
	v_lshlrev_b32_e32 v7, v13, v7
	v_cndmask_b32_e32 v11, v15, v11, vcc_lo
	s_delay_alu instid0(VALU_DEP_2) | instskip(NEXT) | instid1(VALU_DEP_1)
	v_and_b32_e32 v7, 3, v7
	v_cndmask_b32_e32 v7, v9, v7, vcc_lo
	s_delay_alu instid0(VALU_DEP_3) | instskip(NEXT) | instid1(VALU_DEP_2)
	v_lshl_add_u32 v9, v11, 23, 0x37800000
	v_lshlrev_b32_e32 v7, 21, v7
	s_delay_alu instid0(VALU_DEP_1) | instskip(NEXT) | instid1(VALU_DEP_1)
	v_or3_b32 v3, v3, v9, v7
	v_cvt_f64_f32_e32 v[16:17], v3
.LBB9_1358:
	s_or_b32 exec_lo, exec_lo, s12
	s_mov_b32 s11, 0
	s_branch .LBB9_1364
.LBB9_1359:
	s_mov_b32 s11, -1
                                        ; implicit-def: $vgpr16_vgpr17
	s_branch .LBB9_1370
.LBB9_1360:
	s_or_saveexec_b32 s13, s13
	v_mov_b64_e32 v[16:17], 0x7ff8000020000000
	s_xor_b32 exec_lo, exec_lo, s13
	s_cbranch_execz .LBB9_1344
.LBB9_1361:
	v_cmp_ne_u16_e32 vcc_lo, 0, v3
	v_mov_b64_e32 v[16:17], 0
	s_and_not1_b32 s12, s12, exec_lo
	s_and_b32 s14, vcc_lo, exec_lo
	s_delay_alu instid0(SALU_CYCLE_1)
	s_or_b32 s12, s12, s14
	s_or_b32 exec_lo, exec_lo, s13
	s_and_saveexec_b32 s13, s12
	s_cbranch_execnz .LBB9_1345
	s_branch .LBB9_1346
.LBB9_1362:
	s_mov_b32 s11, -1
                                        ; implicit-def: $vgpr16_vgpr17
	s_branch .LBB9_1367
.LBB9_1363:
	s_mov_b32 s11, -1
                                        ; implicit-def: $vgpr16_vgpr17
.LBB9_1364:
	s_delay_alu instid0(SALU_CYCLE_1)
	s_and_b32 vcc_lo, exec_lo, s11
	s_cbranch_vccz .LBB9_1366
; %bb.1365:
	global_load_u8 v3, v[4:5], off
	s_wait_loadcnt 0x0
	v_lshlrev_b32_e32 v3, 24, v3
	s_delay_alu instid0(VALU_DEP_1) | instskip(NEXT) | instid1(VALU_DEP_1)
	v_and_b32_e32 v7, 0x7f000000, v3
	v_clz_i32_u32_e32 v9, v7
	v_cmp_ne_u32_e32 vcc_lo, 0, v7
	v_add_nc_u32_e32 v13, 0x1000000, v7
	s_delay_alu instid0(VALU_DEP_3) | instskip(NEXT) | instid1(VALU_DEP_1)
	v_min_u32_e32 v9, 32, v9
	v_sub_nc_u32_e64 v9, v9, 4 clamp
	s_delay_alu instid0(VALU_DEP_1) | instskip(NEXT) | instid1(VALU_DEP_1)
	v_dual_lshlrev_b32 v11, v9, v7 :: v_dual_lshlrev_b32 v9, 23, v9
	v_lshrrev_b32_e32 v11, 4, v11
	s_delay_alu instid0(VALU_DEP_1) | instskip(SKIP_1) | instid1(VALU_DEP_2)
	v_sub_nc_u32_e32 v9, v11, v9
	v_ashrrev_i32_e32 v11, 8, v13
	v_add_nc_u32_e32 v9, 0x3c000000, v9
	s_delay_alu instid0(VALU_DEP_1) | instskip(NEXT) | instid1(VALU_DEP_1)
	v_and_or_b32 v9, 0x7f800000, v11, v9
	v_cndmask_b32_e32 v7, 0, v9, vcc_lo
	s_delay_alu instid0(VALU_DEP_1) | instskip(NEXT) | instid1(VALU_DEP_1)
	v_and_or_b32 v3, 0x80000000, v3, v7
	v_cvt_f64_f32_e32 v[16:17], v3
.LBB9_1366:
	s_mov_b32 s11, 0
.LBB9_1367:
	s_delay_alu instid0(SALU_CYCLE_1)
	s_and_not1_b32 vcc_lo, exec_lo, s11
	s_cbranch_vccnz .LBB9_1369
; %bb.1368:
	global_load_u8 v3, v[4:5], off
	s_wait_loadcnt 0x0
	v_lshlrev_b32_e32 v7, 25, v3
	v_lshlrev_b16 v3, 8, v3
	s_delay_alu instid0(VALU_DEP_2) | instskip(NEXT) | instid1(VALU_DEP_2)
	v_lshrrev_b32_e32 v9, 4, v7
	v_and_or_b32 v11, 0x7f00, v3, 0.5
	v_cmp_gt_u32_e32 vcc_lo, 0x8000000, v7
	v_bfe_i32 v3, v3, 0, 16
	s_delay_alu instid0(VALU_DEP_4) | instskip(NEXT) | instid1(VALU_DEP_4)
	v_or_b32_e32 v9, 0x70000000, v9
	v_add_f32_e32 v11, -0.5, v11
	s_delay_alu instid0(VALU_DEP_2) | instskip(NEXT) | instid1(VALU_DEP_1)
	v_mul_f32_e32 v9, 0x7800000, v9
	v_cndmask_b32_e32 v7, v9, v11, vcc_lo
	s_delay_alu instid0(VALU_DEP_1) | instskip(NEXT) | instid1(VALU_DEP_1)
	v_and_or_b32 v3, 0x80000000, v3, v7
	v_cvt_f64_f32_e32 v[16:17], v3
.LBB9_1369:
	s_mov_b32 s11, 0
	s_mov_b32 s12, -1
.LBB9_1370:
	s_and_not1_b32 vcc_lo, exec_lo, s11
	s_mov_b32 s11, 0
	s_cbranch_vccnz .LBB9_1381
; %bb.1371:
	s_cmp_gt_i32 s0, 14
	s_cbranch_scc0 .LBB9_1374
; %bb.1372:
	s_cmp_eq_u32 s0, 15
	s_cbranch_scc0 .LBB9_1377
; %bb.1373:
	global_load_u16 v3, v[4:5], off
	s_mov_b32 s10, 0
	s_mov_b32 s12, -1
	s_wait_loadcnt 0x0
	v_lshlrev_b32_e32 v3, 16, v3
	s_delay_alu instid0(VALU_DEP_1)
	v_cvt_f64_f32_e32 v[16:17], v3
	s_branch .LBB9_1379
.LBB9_1374:
	s_mov_b32 s11, -1
	s_branch .LBB9_1378
.LBB9_1375:
	s_or_saveexec_b32 s12, s12
	v_mov_b64_e32 v[16:17], 0x7ff8000020000000
	s_xor_b32 exec_lo, exec_lo, s12
	s_cbranch_execz .LBB9_1356
.LBB9_1376:
	v_cmp_ne_u16_e32 vcc_lo, 0, v3
	v_mov_b64_e32 v[16:17], 0
	s_and_not1_b32 s11, s11, exec_lo
	s_and_b32 s13, vcc_lo, exec_lo
	s_delay_alu instid0(SALU_CYCLE_1)
	s_or_b32 s11, s11, s13
	s_or_b32 exec_lo, exec_lo, s12
	s_and_saveexec_b32 s12, s11
	s_cbranch_execnz .LBB9_1357
	s_branch .LBB9_1358
.LBB9_1377:
	s_mov_b32 s10, -1
.LBB9_1378:
                                        ; implicit-def: $vgpr16_vgpr17
.LBB9_1379:
	s_and_b32 vcc_lo, exec_lo, s11
	s_mov_b32 s11, 0
	s_cbranch_vccz .LBB9_1381
; %bb.1380:
	s_cmp_lg_u32 s0, 11
	s_mov_b32 s11, -1
	s_cselect_b32 s10, -1, 0
.LBB9_1381:
	s_delay_alu instid0(SALU_CYCLE_1)
	s_and_b32 vcc_lo, exec_lo, s10
	s_cbranch_vccnz .LBB9_1448
; %bb.1382:
	s_and_not1_b32 vcc_lo, exec_lo, s11
	s_cbranch_vccnz .LBB9_1384
.LBB9_1383:
	global_load_u8 v3, v[4:5], off
	v_mov_b32_e32 v16, 0
	s_mov_b32 s12, -1
	s_wait_loadcnt 0x0
	v_cmp_ne_u16_e32 vcc_lo, 0, v3
	v_cndmask_b32_e64 v17, 0, 0x3ff00000, vcc_lo
.LBB9_1384:
	s_branch .LBB9_1310
.LBB9_1385:
	s_cmp_lt_i32 s0, 5
	s_cbranch_scc1 .LBB9_1390
; %bb.1386:
	s_cmp_lt_i32 s0, 8
	s_cbranch_scc1 .LBB9_1391
; %bb.1387:
	;; [unrolled: 3-line block ×3, first 2 shown]
	s_cmp_gt_i32 s0, 9
	s_cbranch_scc0 .LBB9_1393
; %bb.1389:
	global_load_b64 v[16:17], v[4:5], off
	s_mov_b32 s10, 0
	s_branch .LBB9_1394
.LBB9_1390:
                                        ; implicit-def: $vgpr16_vgpr17
	s_branch .LBB9_1412
.LBB9_1391:
	s_mov_b32 s10, -1
                                        ; implicit-def: $vgpr16_vgpr17
	s_branch .LBB9_1400
.LBB9_1392:
	s_mov_b32 s10, -1
                                        ; implicit-def: $vgpr16_vgpr17
	s_branch .LBB9_1397
.LBB9_1393:
	s_mov_b32 s10, -1
                                        ; implicit-def: $vgpr16_vgpr17
.LBB9_1394:
	s_delay_alu instid0(SALU_CYCLE_1)
	s_and_not1_b32 vcc_lo, exec_lo, s10
	s_cbranch_vccnz .LBB9_1396
; %bb.1395:
	global_load_b32 v3, v[4:5], off
	s_wait_loadcnt 0x0
	v_cvt_f64_f32_e32 v[16:17], v3
.LBB9_1396:
	s_mov_b32 s10, 0
.LBB9_1397:
	s_delay_alu instid0(SALU_CYCLE_1)
	s_and_not1_b32 vcc_lo, exec_lo, s10
	s_cbranch_vccnz .LBB9_1399
; %bb.1398:
	global_load_b32 v3, v[4:5], off
	s_wait_loadcnt 0x0
	v_cvt_f32_f16_e32 v3, v3
	s_delay_alu instid0(VALU_DEP_1)
	v_cvt_f64_f32_e32 v[16:17], v3
.LBB9_1399:
	s_mov_b32 s10, 0
.LBB9_1400:
	s_delay_alu instid0(SALU_CYCLE_1)
	s_and_not1_b32 vcc_lo, exec_lo, s10
	s_cbranch_vccnz .LBB9_1411
; %bb.1401:
	s_cmp_lt_i32 s0, 6
	s_cbranch_scc1 .LBB9_1404
; %bb.1402:
	s_cmp_gt_i32 s0, 6
	s_cbranch_scc0 .LBB9_1405
; %bb.1403:
	s_wait_loadcnt 0x0
	global_load_b64 v[16:17], v[4:5], off
	s_mov_b32 s10, 0
	s_branch .LBB9_1406
.LBB9_1404:
	s_mov_b32 s10, -1
                                        ; implicit-def: $vgpr16_vgpr17
	s_branch .LBB9_1409
.LBB9_1405:
	s_mov_b32 s10, -1
                                        ; implicit-def: $vgpr16_vgpr17
.LBB9_1406:
	s_delay_alu instid0(SALU_CYCLE_1)
	s_and_not1_b32 vcc_lo, exec_lo, s10
	s_cbranch_vccnz .LBB9_1408
; %bb.1407:
	global_load_b32 v3, v[4:5], off
	s_wait_loadcnt 0x0
	v_cvt_f64_f32_e32 v[16:17], v3
.LBB9_1408:
	s_mov_b32 s10, 0
.LBB9_1409:
	s_delay_alu instid0(SALU_CYCLE_1)
	s_and_not1_b32 vcc_lo, exec_lo, s10
	s_cbranch_vccnz .LBB9_1411
; %bb.1410:
	global_load_u16 v3, v[4:5], off
	s_wait_loadcnt 0x0
	v_cvt_f32_f16_e32 v3, v3
	s_delay_alu instid0(VALU_DEP_1)
	v_cvt_f64_f32_e32 v[16:17], v3
.LBB9_1411:
	s_cbranch_execnz .LBB9_1431
.LBB9_1412:
	s_cmp_lt_i32 s0, 2
	s_cbranch_scc1 .LBB9_1416
; %bb.1413:
	s_cmp_lt_i32 s0, 3
	s_cbranch_scc1 .LBB9_1417
; %bb.1414:
	s_cmp_gt_i32 s0, 3
	s_cbranch_scc0 .LBB9_1418
; %bb.1415:
	s_wait_loadcnt 0x0
	global_load_b64 v[16:17], v[4:5], off
	s_mov_b32 s10, 0
	s_wait_loadcnt 0x0
	v_cvt_f64_i32_e32 v[18:19], v17
	v_cvt_f64_u32_e32 v[16:17], v16
	s_delay_alu instid0(VALU_DEP_2) | instskip(NEXT) | instid1(VALU_DEP_1)
	v_ldexp_f64 v[18:19], v[18:19], 32
	v_add_f64_e32 v[16:17], v[18:19], v[16:17]
	s_branch .LBB9_1419
.LBB9_1416:
	s_mov_b32 s10, -1
                                        ; implicit-def: $vgpr16_vgpr17
	s_branch .LBB9_1425
.LBB9_1417:
	s_mov_b32 s10, -1
                                        ; implicit-def: $vgpr16_vgpr17
	s_branch .LBB9_1422
.LBB9_1418:
	s_mov_b32 s10, -1
                                        ; implicit-def: $vgpr16_vgpr17
.LBB9_1419:
	s_delay_alu instid0(SALU_CYCLE_1)
	s_and_not1_b32 vcc_lo, exec_lo, s10
	s_cbranch_vccnz .LBB9_1421
; %bb.1420:
	global_load_b32 v3, v[4:5], off
	s_wait_loadcnt 0x0
	v_cvt_f64_i32_e32 v[16:17], v3
.LBB9_1421:
	s_mov_b32 s10, 0
.LBB9_1422:
	s_delay_alu instid0(SALU_CYCLE_1)
	s_and_not1_b32 vcc_lo, exec_lo, s10
	s_cbranch_vccnz .LBB9_1424
; %bb.1423:
	global_load_i16 v3, v[4:5], off
	s_wait_loadcnt 0x0
	v_cvt_f64_i32_e32 v[16:17], v3
.LBB9_1424:
	s_mov_b32 s10, 0
.LBB9_1425:
	s_delay_alu instid0(SALU_CYCLE_1)
	s_and_not1_b32 vcc_lo, exec_lo, s10
	s_cbranch_vccnz .LBB9_1431
; %bb.1426:
	s_cmp_gt_i32 s0, 0
	s_mov_b32 s10, 0
	s_cbranch_scc0 .LBB9_1428
; %bb.1427:
	global_load_i8 v3, v[4:5], off
	s_wait_loadcnt 0x0
	v_cvt_f64_i32_e32 v[16:17], v3
	s_branch .LBB9_1429
.LBB9_1428:
	s_mov_b32 s10, -1
                                        ; implicit-def: $vgpr16_vgpr17
.LBB9_1429:
	s_delay_alu instid0(SALU_CYCLE_1)
	s_and_not1_b32 vcc_lo, exec_lo, s10
	s_cbranch_vccnz .LBB9_1431
; %bb.1430:
	global_load_u8 v3, v[4:5], off
	s_wait_loadcnt 0x0
	v_cvt_f64_u32_e32 v[16:17], v3
.LBB9_1431:
.LBB9_1432:
	s_wait_loadcnt 0x0
	s_delay_alu instid0(VALU_DEP_1) | instskip(SKIP_2) | instid1(SALU_CYCLE_1)
	v_cmp_ge_f64_e64 s10, 0x40200000, |v[16:17]|
                                        ; implicit-def: $vgpr4_vgpr5
	s_wait_xcnt 0x0
	s_and_saveexec_b32 s11, s10
	s_xor_b32 s10, exec_lo, s11
	s_cbranch_execz .LBB9_1434
; %bb.1433:
	v_fma_f64 v[4:5], |v[16:17]|, 0.5, -2.0
	s_mov_b64 s[12:13], 0xbc545cb72134d0ef
	s_delay_alu instid0(VALU_DEP_1) | instid1(SALU_CYCLE_1)
	v_fmaak_f64 v[18:19], s[12:13], v[4:5], 0x3c833362977da589
	s_mov_b64 s[12:13], 0x3ff71547652b82fe
	s_delay_alu instid0(SALU_CYCLE_1) | instskip(SKIP_1) | instid1(VALU_DEP_2)
	v_mul_f64_e64 v[22:23], |v[16:17]|, s[12:13]
	s_mov_b64 s[12:13], 0xbfe62e42fefa39ef
	v_fmaak_f64 v[20:21], v[4:5], v[18:19], 0x3c545cb72134d0ef
	s_delay_alu instid0(VALU_DEP_1) | instskip(NEXT) | instid1(VALU_DEP_3)
	v_add_f64_e32 v[20:21], 0xbcb184eb721ebbb4, v[20:21]
	v_rndne_f64_e32 v[22:23], v[22:23]
	s_delay_alu instid0(VALU_DEP_2) | instskip(NEXT) | instid1(VALU_DEP_2)
	v_fma_f64 v[18:19], v[4:5], v[20:21], -v[18:19]
	v_fma_f64 v[16:17], v[22:23], s[12:13], |v[16:17]|
	s_mov_b64 s[12:13], 0x3e5ade156a5dcb37
	v_cvt_i32_f64_e32 v3, v[22:23]
	s_delay_alu instid0(VALU_DEP_3) | instskip(NEXT) | instid1(VALU_DEP_3)
	v_add_f64_e32 v[18:19], 0x3cdee6d893f65eba, v[18:19]
	v_fmamk_f64 v[16:17], v[22:23], 0xbc7abc9e3b39803f, v[16:17]
	s_delay_alu instid0(VALU_DEP_1) | instskip(NEXT) | instid1(VALU_DEP_3)
	v_fmaak_f64 v[24:25], s[12:13], v[16:17], 0x3e928af3fca7ab0c
	v_fma_f64 v[20:21], v[4:5], v[18:19], -v[20:21]
	s_delay_alu instid0(VALU_DEP_2) | instskip(NEXT) | instid1(VALU_DEP_1)
	v_fmaak_f64 v[24:25], v[16:17], v[24:25], 0x3ec71dee623fde64
	v_fmaak_f64 v[24:25], v[16:17], v[24:25], 0x3efa01997c89e6b0
	s_delay_alu instid0(VALU_DEP_1) | instskip(NEXT) | instid1(VALU_DEP_1)
	v_fmaak_f64 v[24:25], v[16:17], v[24:25], 0x3f2a01a014761f6e
	v_fmaak_f64 v[24:25], v[16:17], v[24:25], 0x3f56c16c1852b7b0
	v_add_f64_e32 v[20:21], 0xbd0a5022c297fbeb, v[20:21]
	s_delay_alu instid0(VALU_DEP_1) | instskip(NEXT) | instid1(VALU_DEP_1)
	v_fma_f64 v[18:19], v[4:5], v[20:21], -v[18:19]
	v_add_f64_e32 v[18:19], 0x3d359b464b262627, v[18:19]
	s_delay_alu instid0(VALU_DEP_1) | instskip(NEXT) | instid1(VALU_DEP_1)
	v_fma_f64 v[20:21], v[4:5], v[18:19], -v[20:21]
	;; [unrolled: 3-line block ×24, first 2 shown]
	v_add_f64_e32 v[20:21], 0xbfd37febc057cd8d, v[20:21]
	s_delay_alu instid0(VALU_DEP_1) | instskip(SKIP_1) | instid1(VALU_DEP_1)
	v_fma_f64 v[4:5], v[4:5], v[20:21], -v[18:19]
	v_fmaak_f64 v[20:21], v[16:17], v[24:25], 0x3f81111111122322
	v_fmaak_f64 v[20:21], v[16:17], v[20:21], 0x3fa55555555502a1
	s_delay_alu instid0(VALU_DEP_1) | instskip(NEXT) | instid1(VALU_DEP_1)
	v_fmaak_f64 v[20:21], v[16:17], v[20:21], 0x3fc5555555555511
	v_fmaak_f64 v[20:21], v[16:17], v[20:21], 0x3fe000000000000b
	s_delay_alu instid0(VALU_DEP_1) | instskip(SKIP_1) | instid1(VALU_DEP_2)
	v_fma_f64 v[20:21], v[16:17], v[20:21], 1.0
	v_add_f64_e32 v[4:5], 0x3fe5a84e9035a22a, v[4:5]
	v_fma_f64 v[16:17], v[16:17], v[20:21], 1.0
	s_delay_alu instid0(VALU_DEP_2) | instskip(NEXT) | instid1(VALU_DEP_2)
	v_add_f64_e64 v[4:5], v[4:5], -v[18:19]
	v_ldexp_f64 v[16:17], v[16:17], v3
	s_delay_alu instid0(VALU_DEP_2) | instskip(NEXT) | instid1(VALU_DEP_1)
	v_mul_f64_e32 v[4:5], 0.5, v[4:5]
	v_mul_f64_e32 v[4:5], v[16:17], v[4:5]
                                        ; implicit-def: $vgpr16_vgpr17
.LBB9_1434:
	s_and_not1_saveexec_b32 s10, s10
	s_cbranch_execz .LBB9_1436
; %bb.1435:
	v_and_b32_e32 v5, 0x7fffffff, v17
	v_mov_b32_e32 v4, v16
	v_cmp_gt_f64_e64 s11, 0x10000000, |v[16:17]|
	s_mov_b64 s[12:13], 0xbc60adb754ca8b19
	v_div_scale_f64 v[18:19], null, v[4:5], v[4:5], 0x40400000
	v_div_scale_f64 v[4:5], vcc_lo, 0x40400000, v[4:5], 0x40400000
	v_cndmask_b32_e64 v3, 0, 0x100, s11
	s_delay_alu instid0(VALU_DEP_3) | instskip(SKIP_1) | instid1(TRANS32_DEP_1)
	v_rcp_f64_e32 v[20:21], v[18:19]
	v_nop
	v_fma_f64 v[22:23], -v[18:19], v[20:21], 1.0
	s_delay_alu instid0(VALU_DEP_1) | instskip(NEXT) | instid1(VALU_DEP_1)
	v_fmac_f64_e32 v[20:21], v[20:21], v[22:23]
	v_fma_f64 v[22:23], -v[18:19], v[20:21], 1.0
	s_delay_alu instid0(VALU_DEP_1) | instskip(NEXT) | instid1(VALU_DEP_1)
	v_fmac_f64_e32 v[20:21], v[20:21], v[22:23]
	v_mul_f64_e32 v[22:23], v[4:5], v[20:21]
	s_delay_alu instid0(VALU_DEP_1) | instskip(NEXT) | instid1(VALU_DEP_1)
	v_fma_f64 v[4:5], -v[18:19], v[22:23], v[4:5]
	v_div_fmas_f64 v[4:5], v[4:5], v[20:21], v[22:23]
	v_ldexp_f64 v[22:23], |v[16:17]|, v3
	v_cmp_nlt_f64_e64 vcc_lo, 0x40900000, |v[16:17]|
	s_delay_alu instid0(VALU_DEP_3) | instskip(NEXT) | instid1(VALU_DEP_3)
	v_div_fixup_f64 v[4:5], v[4:5], |v[16:17]|, 0x40400000
	v_rsq_f64_e32 v[26:27], v[22:23]
	s_delay_alu instid0(VALU_DEP_1) | instskip(NEXT) | instid1(TRANS32_DEP_1)
	v_add_f64_e32 v[4:5], -2.0, v[4:5]
	v_mul_f64_e32 v[28:29], v[22:23], v[26:27]
	v_mul_f64_e32 v[26:27], 0.5, v[26:27]
	s_delay_alu instid0(VALU_DEP_3) | instskip(SKIP_1) | instid1(SALU_CYCLE_1)
	v_fmaak_f64 v[18:19], s[12:13], v[4:5], 0xbc5646da66119130
	s_mov_b64 s[12:13], 0x3ff71547652b82fe
	v_mul_f64_e64 v[24:25], |v[16:17]|, s[12:13]
	s_mov_b64 s[12:13], 0xbfe62e42fefa39ef
	s_delay_alu instid0(VALU_DEP_2) | instskip(NEXT) | instid1(VALU_DEP_4)
	v_fmaak_f64 v[20:21], v[4:5], v[18:19], 0x3c60adb754ca8b19
	v_fma_f64 v[32:33], -v[26:27], v[28:29], 0.5
	s_delay_alu instid0(VALU_DEP_2) | instskip(NEXT) | instid1(VALU_DEP_4)
	v_add_f64_e32 v[20:21], 0x3c89be1812d98421, v[20:21]
	v_rndne_f64_e32 v[24:25], v[24:25]
	s_delay_alu instid0(VALU_DEP_3) | instskip(SKIP_1) | instid1(VALU_DEP_4)
	v_fmac_f64_e32 v[28:29], v[28:29], v[32:33]
	v_fmac_f64_e32 v[26:27], v[26:27], v[32:33]
	v_fma_f64 v[18:19], v[4:5], v[20:21], -v[18:19]
	s_delay_alu instid0(VALU_DEP_4) | instskip(SKIP_2) | instid1(VALU_DEP_3)
	v_fma_f64 v[30:31], v[24:25], s[12:13], |v[16:17]|
	s_mov_b64 s[12:13], 0x3e5ade156a5dcb37
	v_cvt_i32_f64_e32 v3, v[24:25]
	v_add_f64_e32 v[18:19], 0x3c83f3dd076041cd, v[18:19]
	s_delay_alu instid0(VALU_DEP_3) | instskip(NEXT) | instid1(VALU_DEP_1)
	v_fmamk_f64 v[30:31], v[24:25], 0xbc7abc9e3b39803f, v[30:31]
	v_fmaak_f64 v[34:35], s[12:13], v[30:31], 0x3e928af3fca7ab0c
	s_delay_alu instid0(VALU_DEP_3) | instskip(NEXT) | instid1(VALU_DEP_2)
	v_fma_f64 v[20:21], v[4:5], v[18:19], -v[20:21]
	v_fmaak_f64 v[34:35], v[30:31], v[34:35], 0x3ec71dee623fde64
	s_delay_alu instid0(VALU_DEP_1) | instskip(NEXT) | instid1(VALU_DEP_1)
	v_fmaak_f64 v[34:35], v[30:31], v[34:35], 0x3efa01997c89e6b0
	v_fmaak_f64 v[34:35], v[30:31], v[34:35], 0x3f2a01a014761f6e
	s_delay_alu instid0(VALU_DEP_1) | instskip(NEXT) | instid1(VALU_DEP_1)
	v_fmaak_f64 v[34:35], v[30:31], v[34:35], 0x3f56c16c1852b7b0
	v_fmaak_f64 v[34:35], v[30:31], v[34:35], 0x3f81111111122322
	v_add_f64_e32 v[20:21], 0xbcb4600babd21fe4, v[20:21]
	s_delay_alu instid0(VALU_DEP_1) | instskip(NEXT) | instid1(VALU_DEP_1)
	v_fma_f64 v[18:19], v[4:5], v[20:21], -v[18:19]
	v_add_f64_e32 v[18:19], 0xbcb8aee7d908de38, v[18:19]
	s_delay_alu instid0(VALU_DEP_1) | instskip(NEXT) | instid1(VALU_DEP_1)
	v_fma_f64 v[20:21], v[4:5], v[18:19], -v[20:21]
	;; [unrolled: 3-line block ×19, first 2 shown]
	v_add_f64_e32 v[18:19], 0x3f6b998ca2e59049, v[18:19]
	s_delay_alu instid0(VALU_DEP_1) | instskip(SKIP_1) | instid1(VALU_DEP_1)
	v_fma_f64 v[4:5], v[4:5], v[18:19], -v[20:21]
	v_fmaak_f64 v[18:19], v[30:31], v[34:35], 0x3fa55555555502a1
	v_fmaak_f64 v[18:19], v[30:31], v[18:19], 0x3fc5555555555511
	s_delay_alu instid0(VALU_DEP_1) | instskip(NEXT) | instid1(VALU_DEP_1)
	v_fmaak_f64 v[18:19], v[30:31], v[18:19], 0x3fe000000000000b
	v_fma_f64 v[18:19], v[30:31], v[18:19], 1.0
	v_add_f64_e32 v[4:5], 0x3fe9be62aca809cb, v[4:5]
	s_delay_alu instid0(VALU_DEP_2) | instskip(NEXT) | instid1(VALU_DEP_2)
	v_fma_f64 v[18:19], v[30:31], v[18:19], 1.0
	v_add_f64_e64 v[4:5], v[4:5], -v[20:21]
	s_delay_alu instid0(VALU_DEP_2) | instskip(SKIP_1) | instid1(VALU_DEP_3)
	v_ldexp_f64 v[18:19], v[18:19], v3
	v_cndmask_b32_e64 v3, 0, 0xffffff80, s11
	v_mul_f64_e32 v[4:5], 0.5, v[4:5]
	s_delay_alu instid0(VALU_DEP_3) | instskip(NEXT) | instid1(VALU_DEP_4)
	v_cndmask_b32_e32 v17, 0x7ff00000, v19, vcc_lo
	v_cndmask_b32_e32 v16, 0, v18, vcc_lo
	v_cmp_class_f64_e64 vcc_lo, v[22:23], 0x260
	v_fma_f64 v[32:33], -v[28:29], v[28:29], v[22:23]
	s_delay_alu instid0(VALU_DEP_3) | instskip(NEXT) | instid1(VALU_DEP_2)
	v_mul_f64_e32 v[4:5], v[16:17], v[4:5]
	v_fmac_f64_e32 v[28:29], v[32:33], v[26:27]
	s_delay_alu instid0(VALU_DEP_1) | instskip(NEXT) | instid1(VALU_DEP_1)
	v_fma_f64 v[24:25], -v[28:29], v[28:29], v[22:23]
	v_fmac_f64_e32 v[28:29], v[24:25], v[26:27]
	s_delay_alu instid0(VALU_DEP_1) | instskip(NEXT) | instid1(VALU_DEP_1)
	v_ldexp_f64 v[18:19], v[28:29], v3
	v_dual_cndmask_b32 v17, v19, v23 :: v_dual_cndmask_b32 v16, v18, v22
	s_delay_alu instid0(VALU_DEP_1) | instskip(NEXT) | instid1(VALU_DEP_1)
	v_div_scale_f64 v[18:19], null, v[16:17], v[16:17], v[4:5]
	v_rcp_f64_e32 v[20:21], v[18:19]
	v_nop
	s_delay_alu instid0(TRANS32_DEP_1) | instskip(NEXT) | instid1(VALU_DEP_1)
	v_fma_f64 v[22:23], -v[18:19], v[20:21], 1.0
	v_fmac_f64_e32 v[20:21], v[20:21], v[22:23]
	s_delay_alu instid0(VALU_DEP_1) | instskip(NEXT) | instid1(VALU_DEP_1)
	v_fma_f64 v[22:23], -v[18:19], v[20:21], 1.0
	v_fmac_f64_e32 v[20:21], v[20:21], v[22:23]
	v_div_scale_f64 v[22:23], vcc_lo, v[4:5], v[16:17], v[4:5]
	s_delay_alu instid0(VALU_DEP_1) | instskip(NEXT) | instid1(VALU_DEP_1)
	v_mul_f64_e32 v[24:25], v[22:23], v[20:21]
	v_fma_f64 v[18:19], -v[18:19], v[24:25], v[22:23]
	s_delay_alu instid0(VALU_DEP_1) | instskip(NEXT) | instid1(VALU_DEP_1)
	v_div_fmas_f64 v[18:19], v[18:19], v[20:21], v[24:25]
	v_div_fixup_f64 v[4:5], v[18:19], v[16:17], v[4:5]
.LBB9_1436:
	s_or_b32 exec_lo, exec_lo, s10
	v_mov_b32_e32 v9, 0
	s_cmp_lt_i32 s0, 11
	s_delay_alu instid0(VALU_DEP_1)
	v_add_nc_u64_e32 v[8:9], s[6:7], v[8:9]
	s_cbranch_scc1 .LBB9_1443
; %bb.1437:
	s_cmp_gt_i32 s0, 25
	s_mov_b32 s11, 0
	s_cbranch_scc0 .LBB9_1445
; %bb.1438:
	s_cmp_gt_i32 s0, 28
	s_cbranch_scc0 .LBB9_1446
; %bb.1439:
	s_cmp_gt_i32 s0, 43
	;; [unrolled: 3-line block ×3, first 2 shown]
	s_cbranch_scc0 .LBB9_1449
; %bb.1441:
	s_cmp_eq_u32 s0, 46
	s_mov_b32 s13, 0
	s_cbranch_scc0 .LBB9_1450
; %bb.1442:
	global_load_b32 v3, v[8:9], off
	s_mov_b32 s10, 0
	s_mov_b32 s12, -1
	s_wait_loadcnt 0x0
	v_lshlrev_b32_e32 v3, 16, v3
	s_delay_alu instid0(VALU_DEP_1)
	v_cvt_f64_f32_e32 v[16:17], v3
	s_branch .LBB9_1452
.LBB9_1443:
	s_mov_b32 s12, 0
                                        ; implicit-def: $vgpr16_vgpr17
	s_cbranch_execnz .LBB9_1518
.LBB9_1444:
	s_and_not1_b32 vcc_lo, exec_lo, s12
	s_cbranch_vccnz .LBB9_1783
	s_branch .LBB9_1566
.LBB9_1445:
	s_mov_b32 s13, -1
	s_mov_b32 s12, 0
	s_mov_b32 s10, 0
                                        ; implicit-def: $vgpr16_vgpr17
	s_branch .LBB9_1481
.LBB9_1446:
	s_mov_b32 s13, -1
	s_mov_b32 s12, 0
	s_mov_b32 s10, 0
                                        ; implicit-def: $vgpr16_vgpr17
	s_branch .LBB9_1462
.LBB9_1447:
	s_mov_b32 s13, -1
	s_mov_b32 s12, 0
	s_mov_b32 s10, 0
                                        ; implicit-def: $vgpr16_vgpr17
	s_branch .LBB9_1457
.LBB9_1448:
	s_or_b32 s1, s1, exec_lo
	s_trap 2
	s_cbranch_execz .LBB9_1383
	s_branch .LBB9_1384
.LBB9_1449:
	s_mov_b32 s13, -1
	s_mov_b32 s12, 0
	s_mov_b32 s10, 0
	s_branch .LBB9_1451
.LBB9_1450:
	s_mov_b32 s10, -1
	s_mov_b32 s12, 0
.LBB9_1451:
                                        ; implicit-def: $vgpr16_vgpr17
.LBB9_1452:
	s_and_b32 vcc_lo, exec_lo, s13
	s_cbranch_vccz .LBB9_1456
; %bb.1453:
	s_cmp_eq_u32 s0, 44
	s_cbranch_scc0 .LBB9_1455
; %bb.1454:
	global_load_u8 v3, v[8:9], off
	s_mov_b32 s10, 0
	s_mov_b32 s12, -1
	s_wait_loadcnt 0x0
	v_lshlrev_b32_e32 v7, 23, v3
	v_cmp_ne_u32_e32 vcc_lo, 0xff, v3
	s_delay_alu instid0(VALU_DEP_2) | instskip(NEXT) | instid1(VALU_DEP_1)
	v_cvt_f64_f32_e32 v[16:17], v7
	v_cndmask_b32_e32 v7, 0x20000000, v16, vcc_lo
	s_delay_alu instid0(VALU_DEP_2) | instskip(SKIP_1) | instid1(VALU_DEP_2)
	v_cndmask_b32_e32 v11, 0x7ff80000, v17, vcc_lo
	v_cmp_ne_u32_e32 vcc_lo, 0, v3
	v_cndmask_b32_e32 v17, 0x38000000, v11, vcc_lo
	s_delay_alu instid0(VALU_DEP_4)
	v_cndmask_b32_e32 v16, 0, v7, vcc_lo
	s_branch .LBB9_1456
.LBB9_1455:
	s_mov_b32 s10, -1
                                        ; implicit-def: $vgpr16_vgpr17
.LBB9_1456:
	s_mov_b32 s13, 0
.LBB9_1457:
	s_delay_alu instid0(SALU_CYCLE_1)
	s_and_b32 vcc_lo, exec_lo, s13
	s_cbranch_vccz .LBB9_1461
; %bb.1458:
	s_cmp_eq_u32 s0, 29
	s_cbranch_scc0 .LBB9_1460
; %bb.1459:
	global_load_b64 v[16:17], v[8:9], off
	s_mov_b32 s10, 0
	s_mov_b32 s12, -1
	s_mov_b32 s13, 0
	s_wait_loadcnt 0x0
	v_cvt_f64_u32_e32 v[18:19], v17
	v_cvt_f64_u32_e32 v[16:17], v16
	s_delay_alu instid0(VALU_DEP_2) | instskip(NEXT) | instid1(VALU_DEP_1)
	v_ldexp_f64 v[18:19], v[18:19], 32
	v_add_f64_e32 v[16:17], v[18:19], v[16:17]
	s_branch .LBB9_1462
.LBB9_1460:
	s_mov_b32 s10, -1
                                        ; implicit-def: $vgpr16_vgpr17
.LBB9_1461:
	s_mov_b32 s13, 0
.LBB9_1462:
	s_delay_alu instid0(SALU_CYCLE_1)
	s_and_b32 vcc_lo, exec_lo, s13
	s_cbranch_vccz .LBB9_1480
; %bb.1463:
	s_cmp_lt_i32 s0, 27
	s_cbranch_scc1 .LBB9_1466
; %bb.1464:
	s_cmp_gt_i32 s0, 27
	s_cbranch_scc0 .LBB9_1467
; %bb.1465:
	global_load_b32 v3, v[8:9], off
	s_mov_b32 s12, 0
	s_wait_loadcnt 0x0
	v_cvt_f64_u32_e32 v[16:17], v3
	s_branch .LBB9_1468
.LBB9_1466:
	s_mov_b32 s12, -1
                                        ; implicit-def: $vgpr16_vgpr17
	s_branch .LBB9_1471
.LBB9_1467:
	s_mov_b32 s12, -1
                                        ; implicit-def: $vgpr16_vgpr17
.LBB9_1468:
	s_delay_alu instid0(SALU_CYCLE_1)
	s_and_not1_b32 vcc_lo, exec_lo, s12
	s_cbranch_vccnz .LBB9_1470
; %bb.1469:
	global_load_u16 v3, v[8:9], off
	s_wait_loadcnt 0x0
	v_cvt_f64_u32_e32 v[16:17], v3
.LBB9_1470:
	s_mov_b32 s12, 0
.LBB9_1471:
	s_delay_alu instid0(SALU_CYCLE_1)
	s_and_not1_b32 vcc_lo, exec_lo, s12
	s_cbranch_vccnz .LBB9_1479
; %bb.1472:
	global_load_u8 v3, v[8:9], off
	s_mov_b32 s12, 0
	s_mov_b32 s13, exec_lo
	s_wait_loadcnt 0x0
	v_cmpx_lt_i16_e32 0x7f, v3
	s_xor_b32 s13, exec_lo, s13
	s_cbranch_execz .LBB9_1493
; %bb.1473:
	s_mov_b32 s12, -1
	s_mov_b32 s14, exec_lo
	v_cmpx_eq_u16_e32 0x80, v3
; %bb.1474:
	s_xor_b32 s12, exec_lo, -1
; %bb.1475:
	s_or_b32 exec_lo, exec_lo, s14
	s_delay_alu instid0(SALU_CYCLE_1)
	s_and_b32 s12, s12, exec_lo
	s_or_saveexec_b32 s13, s13
	v_mov_b64_e32 v[16:17], 0x7ff8000020000000
	s_xor_b32 exec_lo, exec_lo, s13
	s_cbranch_execnz .LBB9_1494
.LBB9_1476:
	s_or_b32 exec_lo, exec_lo, s13
	s_and_saveexec_b32 s13, s12
	s_cbranch_execz .LBB9_1478
.LBB9_1477:
	v_and_b32_e32 v7, 0xffff, v3
	s_delay_alu instid0(VALU_DEP_1) | instskip(SKIP_1) | instid1(VALU_DEP_2)
	v_and_b32_e32 v11, 7, v7
	v_bfe_u32 v16, v7, 3, 4
	v_clz_i32_u32_e32 v13, v11
	s_delay_alu instid0(VALU_DEP_2) | instskip(NEXT) | instid1(VALU_DEP_2)
	v_cmp_eq_u32_e32 vcc_lo, 0, v16
	v_min_u32_e32 v13, 32, v13
	s_delay_alu instid0(VALU_DEP_1) | instskip(NEXT) | instid1(VALU_DEP_1)
	v_subrev_nc_u32_e32 v15, 28, v13
	v_dual_lshlrev_b32 v7, v15, v7 :: v_dual_sub_nc_u32 v13, 29, v13
	s_delay_alu instid0(VALU_DEP_1) | instskip(NEXT) | instid1(VALU_DEP_2)
	v_and_b32_e32 v7, 7, v7
	v_dual_lshlrev_b32 v3, 24, v3 :: v_dual_cndmask_b32 v13, v16, v13, vcc_lo
	s_delay_alu instid0(VALU_DEP_2) | instskip(NEXT) | instid1(VALU_DEP_2)
	v_cndmask_b32_e32 v7, v11, v7, vcc_lo
	v_and_b32_e32 v3, 0x80000000, v3
	s_delay_alu instid0(VALU_DEP_3) | instskip(NEXT) | instid1(VALU_DEP_3)
	v_lshl_add_u32 v11, v13, 23, 0x3b800000
	v_lshlrev_b32_e32 v7, 20, v7
	s_delay_alu instid0(VALU_DEP_1) | instskip(NEXT) | instid1(VALU_DEP_1)
	v_or3_b32 v3, v3, v11, v7
	v_cvt_f64_f32_e32 v[16:17], v3
.LBB9_1478:
	s_or_b32 exec_lo, exec_lo, s13
.LBB9_1479:
	s_mov_b32 s12, -1
.LBB9_1480:
	s_mov_b32 s13, 0
.LBB9_1481:
	s_delay_alu instid0(SALU_CYCLE_1)
	s_and_b32 vcc_lo, exec_lo, s13
	s_cbranch_vccz .LBB9_1514
; %bb.1482:
	s_cmp_gt_i32 s0, 22
	s_cbranch_scc0 .LBB9_1492
; %bb.1483:
	s_cmp_lt_i32 s0, 24
	s_cbranch_scc1 .LBB9_1495
; %bb.1484:
	s_cmp_gt_i32 s0, 24
	s_cbranch_scc0 .LBB9_1496
; %bb.1485:
	global_load_u8 v3, v[8:9], off
	s_mov_b32 s12, exec_lo
	s_wait_loadcnt 0x0
	v_cmpx_lt_i16_e32 0x7f, v3
	s_xor_b32 s12, exec_lo, s12
	s_cbranch_execz .LBB9_1508
; %bb.1486:
	s_mov_b32 s11, -1
	s_mov_b32 s13, exec_lo
	v_cmpx_eq_u16_e32 0x80, v3
; %bb.1487:
	s_xor_b32 s11, exec_lo, -1
; %bb.1488:
	s_or_b32 exec_lo, exec_lo, s13
	s_delay_alu instid0(SALU_CYCLE_1)
	s_and_b32 s11, s11, exec_lo
	s_or_saveexec_b32 s12, s12
	v_mov_b64_e32 v[16:17], 0x7ff8000020000000
	s_xor_b32 exec_lo, exec_lo, s12
	s_cbranch_execnz .LBB9_1509
.LBB9_1489:
	s_or_b32 exec_lo, exec_lo, s12
	s_and_saveexec_b32 s12, s11
	s_cbranch_execz .LBB9_1491
.LBB9_1490:
	v_and_b32_e32 v7, 0xffff, v3
	s_delay_alu instid0(VALU_DEP_1) | instskip(SKIP_1) | instid1(VALU_DEP_2)
	v_and_b32_e32 v11, 3, v7
	v_bfe_u32 v16, v7, 2, 5
	v_clz_i32_u32_e32 v13, v11
	s_delay_alu instid0(VALU_DEP_2) | instskip(NEXT) | instid1(VALU_DEP_2)
	v_cmp_eq_u32_e32 vcc_lo, 0, v16
	v_min_u32_e32 v13, 32, v13
	s_delay_alu instid0(VALU_DEP_1) | instskip(NEXT) | instid1(VALU_DEP_1)
	v_subrev_nc_u32_e32 v15, 29, v13
	v_dual_lshlrev_b32 v7, v15, v7 :: v_dual_sub_nc_u32 v13, 30, v13
	s_delay_alu instid0(VALU_DEP_1) | instskip(NEXT) | instid1(VALU_DEP_2)
	v_and_b32_e32 v7, 3, v7
	v_dual_lshlrev_b32 v3, 24, v3 :: v_dual_cndmask_b32 v13, v16, v13, vcc_lo
	s_delay_alu instid0(VALU_DEP_2) | instskip(NEXT) | instid1(VALU_DEP_2)
	v_cndmask_b32_e32 v7, v11, v7, vcc_lo
	v_and_b32_e32 v3, 0x80000000, v3
	s_delay_alu instid0(VALU_DEP_3) | instskip(NEXT) | instid1(VALU_DEP_3)
	v_lshl_add_u32 v11, v13, 23, 0x37800000
	v_lshlrev_b32_e32 v7, 21, v7
	s_delay_alu instid0(VALU_DEP_1) | instskip(NEXT) | instid1(VALU_DEP_1)
	v_or3_b32 v3, v3, v11, v7
	v_cvt_f64_f32_e32 v[16:17], v3
.LBB9_1491:
	s_or_b32 exec_lo, exec_lo, s12
	s_mov_b32 s11, 0
	s_branch .LBB9_1497
.LBB9_1492:
	s_mov_b32 s11, -1
                                        ; implicit-def: $vgpr16_vgpr17
	s_branch .LBB9_1503
.LBB9_1493:
	s_or_saveexec_b32 s13, s13
	v_mov_b64_e32 v[16:17], 0x7ff8000020000000
	s_xor_b32 exec_lo, exec_lo, s13
	s_cbranch_execz .LBB9_1476
.LBB9_1494:
	v_cmp_ne_u16_e32 vcc_lo, 0, v3
	v_mov_b64_e32 v[16:17], 0
	s_and_not1_b32 s12, s12, exec_lo
	s_and_b32 s14, vcc_lo, exec_lo
	s_delay_alu instid0(SALU_CYCLE_1)
	s_or_b32 s12, s12, s14
	s_or_b32 exec_lo, exec_lo, s13
	s_and_saveexec_b32 s13, s12
	s_cbranch_execnz .LBB9_1477
	s_branch .LBB9_1478
.LBB9_1495:
	s_mov_b32 s11, -1
                                        ; implicit-def: $vgpr16_vgpr17
	s_branch .LBB9_1500
.LBB9_1496:
	s_mov_b32 s11, -1
                                        ; implicit-def: $vgpr16_vgpr17
.LBB9_1497:
	s_delay_alu instid0(SALU_CYCLE_1)
	s_and_b32 vcc_lo, exec_lo, s11
	s_cbranch_vccz .LBB9_1499
; %bb.1498:
	global_load_u8 v3, v[8:9], off
	s_wait_loadcnt 0x0
	v_lshlrev_b32_e32 v3, 24, v3
	s_delay_alu instid0(VALU_DEP_1) | instskip(NEXT) | instid1(VALU_DEP_1)
	v_and_b32_e32 v7, 0x7f000000, v3
	v_clz_i32_u32_e32 v11, v7
	v_add_nc_u32_e32 v15, 0x1000000, v7
	v_cmp_ne_u32_e32 vcc_lo, 0, v7
	s_delay_alu instid0(VALU_DEP_3) | instskip(NEXT) | instid1(VALU_DEP_1)
	v_min_u32_e32 v11, 32, v11
	v_sub_nc_u32_e64 v11, v11, 4 clamp
	s_delay_alu instid0(VALU_DEP_1) | instskip(NEXT) | instid1(VALU_DEP_1)
	v_lshlrev_b32_e32 v13, v11, v7
	v_dual_lshlrev_b32 v11, 23, v11 :: v_dual_lshrrev_b32 v13, 4, v13
	s_delay_alu instid0(VALU_DEP_1) | instskip(SKIP_1) | instid1(VALU_DEP_2)
	v_sub_nc_u32_e32 v11, v13, v11
	v_ashrrev_i32_e32 v13, 8, v15
	v_add_nc_u32_e32 v11, 0x3c000000, v11
	s_delay_alu instid0(VALU_DEP_1) | instskip(NEXT) | instid1(VALU_DEP_1)
	v_and_or_b32 v11, 0x7f800000, v13, v11
	v_cndmask_b32_e32 v7, 0, v11, vcc_lo
	s_delay_alu instid0(VALU_DEP_1) | instskip(NEXT) | instid1(VALU_DEP_1)
	v_and_or_b32 v3, 0x80000000, v3, v7
	v_cvt_f64_f32_e32 v[16:17], v3
.LBB9_1499:
	s_mov_b32 s11, 0
.LBB9_1500:
	s_delay_alu instid0(SALU_CYCLE_1)
	s_and_not1_b32 vcc_lo, exec_lo, s11
	s_cbranch_vccnz .LBB9_1502
; %bb.1501:
	global_load_u8 v3, v[8:9], off
	s_wait_loadcnt 0x0
	v_lshlrev_b32_e32 v7, 25, v3
	v_lshlrev_b16 v3, 8, v3
	s_delay_alu instid0(VALU_DEP_1) | instskip(SKIP_1) | instid1(VALU_DEP_2)
	v_and_or_b32 v13, 0x7f00, v3, 0.5
	v_bfe_i32 v3, v3, 0, 16
	v_dual_add_f32 v13, -0.5, v13 :: v_dual_lshrrev_b32 v11, 4, v7
	v_cmp_gt_u32_e32 vcc_lo, 0x8000000, v7
	s_delay_alu instid0(VALU_DEP_2) | instskip(NEXT) | instid1(VALU_DEP_1)
	v_or_b32_e32 v11, 0x70000000, v11
	v_mul_f32_e32 v11, 0x7800000, v11
	s_delay_alu instid0(VALU_DEP_1) | instskip(NEXT) | instid1(VALU_DEP_1)
	v_cndmask_b32_e32 v7, v11, v13, vcc_lo
	v_and_or_b32 v3, 0x80000000, v3, v7
	s_delay_alu instid0(VALU_DEP_1)
	v_cvt_f64_f32_e32 v[16:17], v3
.LBB9_1502:
	s_mov_b32 s11, 0
	s_mov_b32 s12, -1
.LBB9_1503:
	s_and_not1_b32 vcc_lo, exec_lo, s11
	s_mov_b32 s11, 0
	s_cbranch_vccnz .LBB9_1514
; %bb.1504:
	s_cmp_gt_i32 s0, 14
	s_cbranch_scc0 .LBB9_1507
; %bb.1505:
	s_cmp_eq_u32 s0, 15
	s_cbranch_scc0 .LBB9_1510
; %bb.1506:
	global_load_u16 v3, v[8:9], off
	s_mov_b32 s10, 0
	s_mov_b32 s12, -1
	s_wait_loadcnt 0x0
	v_lshlrev_b32_e32 v3, 16, v3
	s_delay_alu instid0(VALU_DEP_1)
	v_cvt_f64_f32_e32 v[16:17], v3
	s_branch .LBB9_1512
.LBB9_1507:
	s_mov_b32 s11, -1
	s_branch .LBB9_1511
.LBB9_1508:
	s_or_saveexec_b32 s12, s12
	v_mov_b64_e32 v[16:17], 0x7ff8000020000000
	s_xor_b32 exec_lo, exec_lo, s12
	s_cbranch_execz .LBB9_1489
.LBB9_1509:
	v_cmp_ne_u16_e32 vcc_lo, 0, v3
	v_mov_b64_e32 v[16:17], 0
	s_and_not1_b32 s11, s11, exec_lo
	s_and_b32 s13, vcc_lo, exec_lo
	s_delay_alu instid0(SALU_CYCLE_1)
	s_or_b32 s11, s11, s13
	s_or_b32 exec_lo, exec_lo, s12
	s_and_saveexec_b32 s12, s11
	s_cbranch_execnz .LBB9_1490
	s_branch .LBB9_1491
.LBB9_1510:
	s_mov_b32 s10, -1
.LBB9_1511:
                                        ; implicit-def: $vgpr16_vgpr17
.LBB9_1512:
	s_and_b32 vcc_lo, exec_lo, s11
	s_mov_b32 s11, 0
	s_cbranch_vccz .LBB9_1514
; %bb.1513:
	s_cmp_lg_u32 s0, 11
	s_mov_b32 s11, -1
	s_cselect_b32 s10, -1, 0
.LBB9_1514:
	s_delay_alu instid0(SALU_CYCLE_1)
	s_and_b32 vcc_lo, exec_lo, s10
	s_cbranch_vccnz .LBB9_1581
; %bb.1515:
	s_and_not1_b32 vcc_lo, exec_lo, s11
	s_cbranch_vccnz .LBB9_1517
.LBB9_1516:
	global_load_u8 v3, v[8:9], off
	v_mov_b32_e32 v16, 0
	s_mov_b32 s12, -1
	s_wait_loadcnt 0x0
	v_cmp_ne_u16_e32 vcc_lo, 0, v3
	v_cndmask_b32_e64 v17, 0, 0x3ff00000, vcc_lo
.LBB9_1517:
	s_branch .LBB9_1444
.LBB9_1518:
	s_cmp_lt_i32 s0, 5
	s_cbranch_scc1 .LBB9_1523
; %bb.1519:
	s_cmp_lt_i32 s0, 8
	s_cbranch_scc1 .LBB9_1524
; %bb.1520:
	;; [unrolled: 3-line block ×3, first 2 shown]
	s_cmp_gt_i32 s0, 9
	s_cbranch_scc0 .LBB9_1526
; %bb.1522:
	global_load_b64 v[16:17], v[8:9], off
	s_mov_b32 s10, 0
	s_branch .LBB9_1527
.LBB9_1523:
	s_mov_b32 s10, -1
                                        ; implicit-def: $vgpr16_vgpr17
	s_branch .LBB9_1545
.LBB9_1524:
	s_mov_b32 s10, -1
                                        ; implicit-def: $vgpr16_vgpr17
	s_branch .LBB9_1533
.LBB9_1525:
	s_mov_b32 s10, -1
                                        ; implicit-def: $vgpr16_vgpr17
	s_branch .LBB9_1530
.LBB9_1526:
	s_mov_b32 s10, -1
                                        ; implicit-def: $vgpr16_vgpr17
.LBB9_1527:
	s_delay_alu instid0(SALU_CYCLE_1)
	s_and_not1_b32 vcc_lo, exec_lo, s10
	s_cbranch_vccnz .LBB9_1529
; %bb.1528:
	global_load_b32 v3, v[8:9], off
	s_wait_loadcnt 0x0
	v_cvt_f64_f32_e32 v[16:17], v3
.LBB9_1529:
	s_mov_b32 s10, 0
.LBB9_1530:
	s_delay_alu instid0(SALU_CYCLE_1)
	s_and_not1_b32 vcc_lo, exec_lo, s10
	s_cbranch_vccnz .LBB9_1532
; %bb.1531:
	global_load_b32 v3, v[8:9], off
	s_wait_loadcnt 0x0
	v_cvt_f32_f16_e32 v3, v3
	s_delay_alu instid0(VALU_DEP_1)
	v_cvt_f64_f32_e32 v[16:17], v3
.LBB9_1532:
	s_mov_b32 s10, 0
.LBB9_1533:
	s_delay_alu instid0(SALU_CYCLE_1)
	s_and_not1_b32 vcc_lo, exec_lo, s10
	s_cbranch_vccnz .LBB9_1544
; %bb.1534:
	s_cmp_lt_i32 s0, 6
	s_cbranch_scc1 .LBB9_1537
; %bb.1535:
	s_cmp_gt_i32 s0, 6
	s_cbranch_scc0 .LBB9_1538
; %bb.1536:
	s_wait_loadcnt 0x0
	global_load_b64 v[16:17], v[8:9], off
	s_mov_b32 s10, 0
	s_branch .LBB9_1539
.LBB9_1537:
	s_mov_b32 s10, -1
                                        ; implicit-def: $vgpr16_vgpr17
	s_branch .LBB9_1542
.LBB9_1538:
	s_mov_b32 s10, -1
                                        ; implicit-def: $vgpr16_vgpr17
.LBB9_1539:
	s_delay_alu instid0(SALU_CYCLE_1)
	s_and_not1_b32 vcc_lo, exec_lo, s10
	s_cbranch_vccnz .LBB9_1541
; %bb.1540:
	global_load_b32 v3, v[8:9], off
	s_wait_loadcnt 0x0
	v_cvt_f64_f32_e32 v[16:17], v3
.LBB9_1541:
	s_mov_b32 s10, 0
.LBB9_1542:
	s_delay_alu instid0(SALU_CYCLE_1)
	s_and_not1_b32 vcc_lo, exec_lo, s10
	s_cbranch_vccnz .LBB9_1544
; %bb.1543:
	global_load_u16 v3, v[8:9], off
	s_wait_loadcnt 0x0
	v_cvt_f32_f16_e32 v3, v3
	s_delay_alu instid0(VALU_DEP_1)
	v_cvt_f64_f32_e32 v[16:17], v3
.LBB9_1544:
	s_mov_b32 s10, 0
.LBB9_1545:
	s_delay_alu instid0(SALU_CYCLE_1)
	s_and_not1_b32 vcc_lo, exec_lo, s10
	s_cbranch_vccnz .LBB9_1565
; %bb.1546:
	s_cmp_lt_i32 s0, 2
	s_cbranch_scc1 .LBB9_1550
; %bb.1547:
	s_cmp_lt_i32 s0, 3
	s_cbranch_scc1 .LBB9_1551
; %bb.1548:
	s_cmp_gt_i32 s0, 3
	s_cbranch_scc0 .LBB9_1552
; %bb.1549:
	s_wait_loadcnt 0x0
	global_load_b64 v[16:17], v[8:9], off
	s_mov_b32 s10, 0
	s_wait_loadcnt 0x0
	v_cvt_f64_i32_e32 v[18:19], v17
	v_cvt_f64_u32_e32 v[16:17], v16
	s_delay_alu instid0(VALU_DEP_2) | instskip(NEXT) | instid1(VALU_DEP_1)
	v_ldexp_f64 v[18:19], v[18:19], 32
	v_add_f64_e32 v[16:17], v[18:19], v[16:17]
	s_branch .LBB9_1553
.LBB9_1550:
	s_mov_b32 s10, -1
                                        ; implicit-def: $vgpr16_vgpr17
	s_branch .LBB9_1559
.LBB9_1551:
	s_mov_b32 s10, -1
                                        ; implicit-def: $vgpr16_vgpr17
	s_branch .LBB9_1556
.LBB9_1552:
	s_mov_b32 s10, -1
                                        ; implicit-def: $vgpr16_vgpr17
.LBB9_1553:
	s_delay_alu instid0(SALU_CYCLE_1)
	s_and_not1_b32 vcc_lo, exec_lo, s10
	s_cbranch_vccnz .LBB9_1555
; %bb.1554:
	global_load_b32 v3, v[8:9], off
	s_wait_loadcnt 0x0
	v_cvt_f64_i32_e32 v[16:17], v3
.LBB9_1555:
	s_mov_b32 s10, 0
.LBB9_1556:
	s_delay_alu instid0(SALU_CYCLE_1)
	s_and_not1_b32 vcc_lo, exec_lo, s10
	s_cbranch_vccnz .LBB9_1558
; %bb.1557:
	global_load_i16 v3, v[8:9], off
	s_wait_loadcnt 0x0
	v_cvt_f64_i32_e32 v[16:17], v3
.LBB9_1558:
	s_mov_b32 s10, 0
.LBB9_1559:
	s_delay_alu instid0(SALU_CYCLE_1)
	s_and_not1_b32 vcc_lo, exec_lo, s10
	s_cbranch_vccnz .LBB9_1565
; %bb.1560:
	s_cmp_gt_i32 s0, 0
	s_mov_b32 s10, 0
	s_cbranch_scc0 .LBB9_1562
; %bb.1561:
	global_load_i8 v3, v[8:9], off
	s_wait_loadcnt 0x0
	v_cvt_f64_i32_e32 v[16:17], v3
	s_branch .LBB9_1563
.LBB9_1562:
	s_mov_b32 s10, -1
                                        ; implicit-def: $vgpr16_vgpr17
.LBB9_1563:
	s_delay_alu instid0(SALU_CYCLE_1)
	s_and_not1_b32 vcc_lo, exec_lo, s10
	s_cbranch_vccnz .LBB9_1565
; %bb.1564:
	global_load_u8 v3, v[8:9], off
	s_wait_loadcnt 0x0
	v_cvt_f64_u32_e32 v[16:17], v3
.LBB9_1565:
.LBB9_1566:
	s_wait_loadcnt 0x0
	s_delay_alu instid0(VALU_DEP_1) | instskip(SKIP_2) | instid1(SALU_CYCLE_1)
	v_cmp_ge_f64_e64 s10, 0x40200000, |v[16:17]|
                                        ; implicit-def: $vgpr8_vgpr9
	s_wait_xcnt 0x0
	s_and_saveexec_b32 s11, s10
	s_xor_b32 s10, exec_lo, s11
	s_cbranch_execz .LBB9_1568
; %bb.1567:
	v_fma_f64 v[8:9], |v[16:17]|, 0.5, -2.0
	s_mov_b64 s[12:13], 0xbc545cb72134d0ef
	s_delay_alu instid0(VALU_DEP_1) | instid1(SALU_CYCLE_1)
	v_fmaak_f64 v[18:19], s[12:13], v[8:9], 0x3c833362977da589
	s_mov_b64 s[12:13], 0x3ff71547652b82fe
	s_delay_alu instid0(SALU_CYCLE_1) | instskip(SKIP_1) | instid1(VALU_DEP_2)
	v_mul_f64_e64 v[22:23], |v[16:17]|, s[12:13]
	s_mov_b64 s[12:13], 0xbfe62e42fefa39ef
	v_fmaak_f64 v[20:21], v[8:9], v[18:19], 0x3c545cb72134d0ef
	s_delay_alu instid0(VALU_DEP_1) | instskip(NEXT) | instid1(VALU_DEP_3)
	v_add_f64_e32 v[20:21], 0xbcb184eb721ebbb4, v[20:21]
	v_rndne_f64_e32 v[22:23], v[22:23]
	s_delay_alu instid0(VALU_DEP_2) | instskip(NEXT) | instid1(VALU_DEP_2)
	v_fma_f64 v[18:19], v[8:9], v[20:21], -v[18:19]
	v_fma_f64 v[16:17], v[22:23], s[12:13], |v[16:17]|
	s_mov_b64 s[12:13], 0x3e5ade156a5dcb37
	v_cvt_i32_f64_e32 v3, v[22:23]
	s_delay_alu instid0(VALU_DEP_3) | instskip(NEXT) | instid1(VALU_DEP_3)
	v_add_f64_e32 v[18:19], 0x3cdee6d893f65eba, v[18:19]
	v_fmamk_f64 v[16:17], v[22:23], 0xbc7abc9e3b39803f, v[16:17]
	s_delay_alu instid0(VALU_DEP_1) | instskip(NEXT) | instid1(VALU_DEP_3)
	v_fmaak_f64 v[24:25], s[12:13], v[16:17], 0x3e928af3fca7ab0c
	v_fma_f64 v[20:21], v[8:9], v[18:19], -v[20:21]
	s_delay_alu instid0(VALU_DEP_2) | instskip(NEXT) | instid1(VALU_DEP_1)
	v_fmaak_f64 v[24:25], v[16:17], v[24:25], 0x3ec71dee623fde64
	v_fmaak_f64 v[24:25], v[16:17], v[24:25], 0x3efa01997c89e6b0
	s_delay_alu instid0(VALU_DEP_1) | instskip(NEXT) | instid1(VALU_DEP_1)
	v_fmaak_f64 v[24:25], v[16:17], v[24:25], 0x3f2a01a014761f6e
	v_fmaak_f64 v[24:25], v[16:17], v[24:25], 0x3f56c16c1852b7b0
	v_add_f64_e32 v[20:21], 0xbd0a5022c297fbeb, v[20:21]
	s_delay_alu instid0(VALU_DEP_1) | instskip(NEXT) | instid1(VALU_DEP_1)
	v_fma_f64 v[18:19], v[8:9], v[20:21], -v[18:19]
	v_add_f64_e32 v[18:19], 0x3d359b464b262627, v[18:19]
	s_delay_alu instid0(VALU_DEP_1) | instskip(NEXT) | instid1(VALU_DEP_1)
	v_fma_f64 v[20:21], v[8:9], v[18:19], -v[20:21]
	;; [unrolled: 3-line block ×24, first 2 shown]
	v_add_f64_e32 v[20:21], 0xbfd37febc057cd8d, v[20:21]
	s_delay_alu instid0(VALU_DEP_1) | instskip(SKIP_1) | instid1(VALU_DEP_1)
	v_fma_f64 v[8:9], v[8:9], v[20:21], -v[18:19]
	v_fmaak_f64 v[20:21], v[16:17], v[24:25], 0x3f81111111122322
	v_fmaak_f64 v[20:21], v[16:17], v[20:21], 0x3fa55555555502a1
	s_delay_alu instid0(VALU_DEP_1) | instskip(NEXT) | instid1(VALU_DEP_1)
	v_fmaak_f64 v[20:21], v[16:17], v[20:21], 0x3fc5555555555511
	v_fmaak_f64 v[20:21], v[16:17], v[20:21], 0x3fe000000000000b
	s_delay_alu instid0(VALU_DEP_1) | instskip(SKIP_1) | instid1(VALU_DEP_2)
	v_fma_f64 v[20:21], v[16:17], v[20:21], 1.0
	v_add_f64_e32 v[8:9], 0x3fe5a84e9035a22a, v[8:9]
	v_fma_f64 v[16:17], v[16:17], v[20:21], 1.0
	s_delay_alu instid0(VALU_DEP_2) | instskip(NEXT) | instid1(VALU_DEP_2)
	v_add_f64_e64 v[8:9], v[8:9], -v[18:19]
	v_ldexp_f64 v[16:17], v[16:17], v3
	s_delay_alu instid0(VALU_DEP_2) | instskip(NEXT) | instid1(VALU_DEP_1)
	v_mul_f64_e32 v[8:9], 0.5, v[8:9]
	v_mul_f64_e32 v[8:9], v[16:17], v[8:9]
                                        ; implicit-def: $vgpr16_vgpr17
.LBB9_1568:
	s_and_not1_saveexec_b32 s10, s10
	s_cbranch_execz .LBB9_1570
; %bb.1569:
	v_and_b32_e32 v9, 0x7fffffff, v17
	v_mov_b32_e32 v8, v16
	v_cmp_gt_f64_e64 s11, 0x10000000, |v[16:17]|
	s_mov_b64 s[12:13], 0xbc60adb754ca8b19
	v_div_scale_f64 v[18:19], null, v[8:9], v[8:9], 0x40400000
	v_div_scale_f64 v[8:9], vcc_lo, 0x40400000, v[8:9], 0x40400000
	v_cndmask_b32_e64 v3, 0, 0x100, s11
	s_delay_alu instid0(VALU_DEP_3) | instskip(SKIP_1) | instid1(TRANS32_DEP_1)
	v_rcp_f64_e32 v[20:21], v[18:19]
	v_nop
	v_fma_f64 v[22:23], -v[18:19], v[20:21], 1.0
	s_delay_alu instid0(VALU_DEP_1) | instskip(NEXT) | instid1(VALU_DEP_1)
	v_fmac_f64_e32 v[20:21], v[20:21], v[22:23]
	v_fma_f64 v[22:23], -v[18:19], v[20:21], 1.0
	s_delay_alu instid0(VALU_DEP_1) | instskip(NEXT) | instid1(VALU_DEP_1)
	v_fmac_f64_e32 v[20:21], v[20:21], v[22:23]
	v_mul_f64_e32 v[22:23], v[8:9], v[20:21]
	s_delay_alu instid0(VALU_DEP_1) | instskip(NEXT) | instid1(VALU_DEP_1)
	v_fma_f64 v[8:9], -v[18:19], v[22:23], v[8:9]
	v_div_fmas_f64 v[8:9], v[8:9], v[20:21], v[22:23]
	v_ldexp_f64 v[22:23], |v[16:17]|, v3
	v_cmp_nlt_f64_e64 vcc_lo, 0x40900000, |v[16:17]|
	s_delay_alu instid0(VALU_DEP_3) | instskip(NEXT) | instid1(VALU_DEP_3)
	v_div_fixup_f64 v[8:9], v[8:9], |v[16:17]|, 0x40400000
	v_rsq_f64_e32 v[26:27], v[22:23]
	s_delay_alu instid0(VALU_DEP_1) | instskip(NEXT) | instid1(TRANS32_DEP_1)
	v_add_f64_e32 v[8:9], -2.0, v[8:9]
	v_mul_f64_e32 v[28:29], v[22:23], v[26:27]
	v_mul_f64_e32 v[26:27], 0.5, v[26:27]
	s_delay_alu instid0(VALU_DEP_3) | instskip(SKIP_1) | instid1(SALU_CYCLE_1)
	v_fmaak_f64 v[18:19], s[12:13], v[8:9], 0xbc5646da66119130
	s_mov_b64 s[12:13], 0x3ff71547652b82fe
	v_mul_f64_e64 v[24:25], |v[16:17]|, s[12:13]
	s_mov_b64 s[12:13], 0xbfe62e42fefa39ef
	s_delay_alu instid0(VALU_DEP_2) | instskip(NEXT) | instid1(VALU_DEP_4)
	v_fmaak_f64 v[20:21], v[8:9], v[18:19], 0x3c60adb754ca8b19
	v_fma_f64 v[32:33], -v[26:27], v[28:29], 0.5
	s_delay_alu instid0(VALU_DEP_2) | instskip(NEXT) | instid1(VALU_DEP_4)
	v_add_f64_e32 v[20:21], 0x3c89be1812d98421, v[20:21]
	v_rndne_f64_e32 v[24:25], v[24:25]
	s_delay_alu instid0(VALU_DEP_3) | instskip(SKIP_1) | instid1(VALU_DEP_4)
	v_fmac_f64_e32 v[28:29], v[28:29], v[32:33]
	v_fmac_f64_e32 v[26:27], v[26:27], v[32:33]
	v_fma_f64 v[18:19], v[8:9], v[20:21], -v[18:19]
	s_delay_alu instid0(VALU_DEP_4) | instskip(SKIP_2) | instid1(VALU_DEP_3)
	v_fma_f64 v[30:31], v[24:25], s[12:13], |v[16:17]|
	s_mov_b64 s[12:13], 0x3e5ade156a5dcb37
	v_cvt_i32_f64_e32 v3, v[24:25]
	v_add_f64_e32 v[18:19], 0x3c83f3dd076041cd, v[18:19]
	s_delay_alu instid0(VALU_DEP_3) | instskip(NEXT) | instid1(VALU_DEP_1)
	v_fmamk_f64 v[30:31], v[24:25], 0xbc7abc9e3b39803f, v[30:31]
	v_fmaak_f64 v[34:35], s[12:13], v[30:31], 0x3e928af3fca7ab0c
	s_delay_alu instid0(VALU_DEP_3) | instskip(NEXT) | instid1(VALU_DEP_2)
	v_fma_f64 v[20:21], v[8:9], v[18:19], -v[20:21]
	v_fmaak_f64 v[34:35], v[30:31], v[34:35], 0x3ec71dee623fde64
	s_delay_alu instid0(VALU_DEP_1) | instskip(NEXT) | instid1(VALU_DEP_1)
	v_fmaak_f64 v[34:35], v[30:31], v[34:35], 0x3efa01997c89e6b0
	v_fmaak_f64 v[34:35], v[30:31], v[34:35], 0x3f2a01a014761f6e
	s_delay_alu instid0(VALU_DEP_1) | instskip(NEXT) | instid1(VALU_DEP_1)
	v_fmaak_f64 v[34:35], v[30:31], v[34:35], 0x3f56c16c1852b7b0
	v_fmaak_f64 v[34:35], v[30:31], v[34:35], 0x3f81111111122322
	v_add_f64_e32 v[20:21], 0xbcb4600babd21fe4, v[20:21]
	s_delay_alu instid0(VALU_DEP_1) | instskip(NEXT) | instid1(VALU_DEP_1)
	v_fma_f64 v[18:19], v[8:9], v[20:21], -v[18:19]
	v_add_f64_e32 v[18:19], 0xbcb8aee7d908de38, v[18:19]
	s_delay_alu instid0(VALU_DEP_1) | instskip(NEXT) | instid1(VALU_DEP_1)
	v_fma_f64 v[20:21], v[8:9], v[18:19], -v[20:21]
	;; [unrolled: 3-line block ×19, first 2 shown]
	v_add_f64_e32 v[18:19], 0x3f6b998ca2e59049, v[18:19]
	s_delay_alu instid0(VALU_DEP_1) | instskip(SKIP_1) | instid1(VALU_DEP_1)
	v_fma_f64 v[8:9], v[8:9], v[18:19], -v[20:21]
	v_fmaak_f64 v[18:19], v[30:31], v[34:35], 0x3fa55555555502a1
	v_fmaak_f64 v[18:19], v[30:31], v[18:19], 0x3fc5555555555511
	s_delay_alu instid0(VALU_DEP_1) | instskip(NEXT) | instid1(VALU_DEP_1)
	v_fmaak_f64 v[18:19], v[30:31], v[18:19], 0x3fe000000000000b
	v_fma_f64 v[18:19], v[30:31], v[18:19], 1.0
	v_add_f64_e32 v[8:9], 0x3fe9be62aca809cb, v[8:9]
	s_delay_alu instid0(VALU_DEP_2) | instskip(NEXT) | instid1(VALU_DEP_2)
	v_fma_f64 v[18:19], v[30:31], v[18:19], 1.0
	v_add_f64_e64 v[8:9], v[8:9], -v[20:21]
	s_delay_alu instid0(VALU_DEP_2) | instskip(SKIP_1) | instid1(VALU_DEP_3)
	v_ldexp_f64 v[18:19], v[18:19], v3
	v_cndmask_b32_e64 v3, 0, 0xffffff80, s11
	v_mul_f64_e32 v[8:9], 0.5, v[8:9]
	s_delay_alu instid0(VALU_DEP_3) | instskip(NEXT) | instid1(VALU_DEP_4)
	v_cndmask_b32_e32 v17, 0x7ff00000, v19, vcc_lo
	v_cndmask_b32_e32 v16, 0, v18, vcc_lo
	v_cmp_class_f64_e64 vcc_lo, v[22:23], 0x260
	v_fma_f64 v[32:33], -v[28:29], v[28:29], v[22:23]
	s_delay_alu instid0(VALU_DEP_3) | instskip(NEXT) | instid1(VALU_DEP_2)
	v_mul_f64_e32 v[8:9], v[16:17], v[8:9]
	v_fmac_f64_e32 v[28:29], v[32:33], v[26:27]
	s_delay_alu instid0(VALU_DEP_1) | instskip(NEXT) | instid1(VALU_DEP_1)
	v_fma_f64 v[24:25], -v[28:29], v[28:29], v[22:23]
	v_fmac_f64_e32 v[28:29], v[24:25], v[26:27]
	s_delay_alu instid0(VALU_DEP_1) | instskip(NEXT) | instid1(VALU_DEP_1)
	v_ldexp_f64 v[18:19], v[28:29], v3
	v_dual_cndmask_b32 v17, v19, v23 :: v_dual_cndmask_b32 v16, v18, v22
	s_delay_alu instid0(VALU_DEP_1) | instskip(NEXT) | instid1(VALU_DEP_1)
	v_div_scale_f64 v[18:19], null, v[16:17], v[16:17], v[8:9]
	v_rcp_f64_e32 v[20:21], v[18:19]
	v_nop
	s_delay_alu instid0(TRANS32_DEP_1) | instskip(NEXT) | instid1(VALU_DEP_1)
	v_fma_f64 v[22:23], -v[18:19], v[20:21], 1.0
	v_fmac_f64_e32 v[20:21], v[20:21], v[22:23]
	s_delay_alu instid0(VALU_DEP_1) | instskip(NEXT) | instid1(VALU_DEP_1)
	v_fma_f64 v[22:23], -v[18:19], v[20:21], 1.0
	v_fmac_f64_e32 v[20:21], v[20:21], v[22:23]
	v_div_scale_f64 v[22:23], vcc_lo, v[8:9], v[16:17], v[8:9]
	s_delay_alu instid0(VALU_DEP_1) | instskip(NEXT) | instid1(VALU_DEP_1)
	v_mul_f64_e32 v[24:25], v[22:23], v[20:21]
	v_fma_f64 v[18:19], -v[18:19], v[24:25], v[22:23]
	s_delay_alu instid0(VALU_DEP_1) | instskip(NEXT) | instid1(VALU_DEP_1)
	v_div_fmas_f64 v[18:19], v[18:19], v[20:21], v[24:25]
	v_div_fixup_f64 v[8:9], v[18:19], v[16:17], v[8:9]
.LBB9_1570:
	s_or_b32 exec_lo, exec_lo, s10
	v_mov_b32_e32 v13, 0
	s_cmp_lt_i32 s0, 11
	s_delay_alu instid0(VALU_DEP_1)
	v_add_nc_u64_e32 v[12:13], s[6:7], v[12:13]
	s_cbranch_scc1 .LBB9_1577
; %bb.1571:
	s_cmp_gt_i32 s0, 25
	s_mov_b32 s7, 0
	s_cbranch_scc0 .LBB9_1578
; %bb.1572:
	s_cmp_gt_i32 s0, 28
	s_cbranch_scc0 .LBB9_1579
; %bb.1573:
	s_cmp_gt_i32 s0, 43
	;; [unrolled: 3-line block ×3, first 2 shown]
	s_cbranch_scc0 .LBB9_1582
; %bb.1575:
	s_cmp_eq_u32 s0, 46
	s_mov_b32 s11, 0
	s_cbranch_scc0 .LBB9_1583
; %bb.1576:
	global_load_b32 v3, v[12:13], off
	s_mov_b32 s6, 0
	s_mov_b32 s10, -1
	s_wait_loadcnt 0x0
	v_lshlrev_b32_e32 v3, 16, v3
	s_delay_alu instid0(VALU_DEP_1)
	v_cvt_f64_f32_e32 v[16:17], v3
	s_branch .LBB9_1585
.LBB9_1577:
	s_mov_b32 s6, -1
	s_mov_b32 s10, 0
                                        ; implicit-def: $vgpr16_vgpr17
	s_branch .LBB9_1651
.LBB9_1578:
	s_mov_b32 s11, -1
	s_mov_b32 s10, 0
	s_mov_b32 s6, 0
                                        ; implicit-def: $vgpr16_vgpr17
	s_branch .LBB9_1614
.LBB9_1579:
	s_mov_b32 s11, -1
	s_mov_b32 s10, 0
	s_mov_b32 s6, 0
                                        ; implicit-def: $vgpr16_vgpr17
	s_branch .LBB9_1595
.LBB9_1580:
	s_mov_b32 s11, -1
	s_mov_b32 s10, 0
	s_mov_b32 s6, 0
                                        ; implicit-def: $vgpr16_vgpr17
	s_branch .LBB9_1590
.LBB9_1581:
	s_or_b32 s1, s1, exec_lo
	s_trap 2
	s_cbranch_execz .LBB9_1516
	s_branch .LBB9_1517
.LBB9_1582:
	s_mov_b32 s11, -1
	s_mov_b32 s10, 0
	s_mov_b32 s6, 0
	s_branch .LBB9_1584
.LBB9_1583:
	s_mov_b32 s6, -1
	s_mov_b32 s10, 0
.LBB9_1584:
                                        ; implicit-def: $vgpr16_vgpr17
.LBB9_1585:
	s_and_b32 vcc_lo, exec_lo, s11
	s_cbranch_vccz .LBB9_1589
; %bb.1586:
	s_cmp_eq_u32 s0, 44
	s_cbranch_scc0 .LBB9_1588
; %bb.1587:
	global_load_u8 v3, v[12:13], off
	s_mov_b32 s6, 0
	s_mov_b32 s10, -1
	s_wait_loadcnt 0x0
	v_lshlrev_b32_e32 v7, 23, v3
	v_cmp_ne_u32_e32 vcc_lo, 0xff, v3
	s_delay_alu instid0(VALU_DEP_2) | instskip(NEXT) | instid1(VALU_DEP_1)
	v_cvt_f64_f32_e32 v[16:17], v7
	v_cndmask_b32_e32 v7, 0x20000000, v16, vcc_lo
	s_delay_alu instid0(VALU_DEP_2) | instskip(SKIP_1) | instid1(VALU_DEP_2)
	v_cndmask_b32_e32 v11, 0x7ff80000, v17, vcc_lo
	v_cmp_ne_u32_e32 vcc_lo, 0, v3
	v_cndmask_b32_e32 v17, 0x38000000, v11, vcc_lo
	s_delay_alu instid0(VALU_DEP_4)
	v_cndmask_b32_e32 v16, 0, v7, vcc_lo
	s_branch .LBB9_1589
.LBB9_1588:
	s_mov_b32 s6, -1
                                        ; implicit-def: $vgpr16_vgpr17
.LBB9_1589:
	s_mov_b32 s11, 0
.LBB9_1590:
	s_delay_alu instid0(SALU_CYCLE_1)
	s_and_b32 vcc_lo, exec_lo, s11
	s_cbranch_vccz .LBB9_1594
; %bb.1591:
	s_cmp_eq_u32 s0, 29
	s_cbranch_scc0 .LBB9_1593
; %bb.1592:
	global_load_b64 v[16:17], v[12:13], off
	s_mov_b32 s6, 0
	s_mov_b32 s10, -1
	s_mov_b32 s11, 0
	s_wait_loadcnt 0x0
	v_cvt_f64_u32_e32 v[18:19], v17
	v_cvt_f64_u32_e32 v[16:17], v16
	s_delay_alu instid0(VALU_DEP_2) | instskip(NEXT) | instid1(VALU_DEP_1)
	v_ldexp_f64 v[18:19], v[18:19], 32
	v_add_f64_e32 v[16:17], v[18:19], v[16:17]
	s_branch .LBB9_1595
.LBB9_1593:
	s_mov_b32 s6, -1
                                        ; implicit-def: $vgpr16_vgpr17
.LBB9_1594:
	s_mov_b32 s11, 0
.LBB9_1595:
	s_delay_alu instid0(SALU_CYCLE_1)
	s_and_b32 vcc_lo, exec_lo, s11
	s_cbranch_vccz .LBB9_1613
; %bb.1596:
	s_cmp_lt_i32 s0, 27
	s_cbranch_scc1 .LBB9_1599
; %bb.1597:
	s_cmp_gt_i32 s0, 27
	s_cbranch_scc0 .LBB9_1600
; %bb.1598:
	global_load_b32 v3, v[12:13], off
	s_mov_b32 s10, 0
	s_wait_loadcnt 0x0
	v_cvt_f64_u32_e32 v[16:17], v3
	s_branch .LBB9_1601
.LBB9_1599:
	s_mov_b32 s10, -1
                                        ; implicit-def: $vgpr16_vgpr17
	s_branch .LBB9_1604
.LBB9_1600:
	s_mov_b32 s10, -1
                                        ; implicit-def: $vgpr16_vgpr17
.LBB9_1601:
	s_delay_alu instid0(SALU_CYCLE_1)
	s_and_not1_b32 vcc_lo, exec_lo, s10
	s_cbranch_vccnz .LBB9_1603
; %bb.1602:
	global_load_u16 v3, v[12:13], off
	s_wait_loadcnt 0x0
	v_cvt_f64_u32_e32 v[16:17], v3
.LBB9_1603:
	s_mov_b32 s10, 0
.LBB9_1604:
	s_delay_alu instid0(SALU_CYCLE_1)
	s_and_not1_b32 vcc_lo, exec_lo, s10
	s_cbranch_vccnz .LBB9_1612
; %bb.1605:
	global_load_u8 v3, v[12:13], off
	s_mov_b32 s10, 0
	s_mov_b32 s11, exec_lo
	s_wait_loadcnt 0x0
	v_cmpx_lt_i16_e32 0x7f, v3
	s_xor_b32 s11, exec_lo, s11
	s_cbranch_execz .LBB9_1626
; %bb.1606:
	s_mov_b32 s10, -1
	s_mov_b32 s12, exec_lo
	v_cmpx_eq_u16_e32 0x80, v3
; %bb.1607:
	s_xor_b32 s10, exec_lo, -1
; %bb.1608:
	s_or_b32 exec_lo, exec_lo, s12
	s_delay_alu instid0(SALU_CYCLE_1)
	s_and_b32 s10, s10, exec_lo
	s_or_saveexec_b32 s11, s11
	v_mov_b64_e32 v[16:17], 0x7ff8000020000000
	s_xor_b32 exec_lo, exec_lo, s11
	s_cbranch_execnz .LBB9_1627
.LBB9_1609:
	s_or_b32 exec_lo, exec_lo, s11
	s_and_saveexec_b32 s11, s10
	s_cbranch_execz .LBB9_1611
.LBB9_1610:
	v_and_b32_e32 v7, 0xffff, v3
	v_lshlrev_b32_e32 v3, 24, v3
	s_delay_alu instid0(VALU_DEP_2) | instskip(SKIP_1) | instid1(VALU_DEP_3)
	v_and_b32_e32 v11, 7, v7
	v_bfe_u32 v17, v7, 3, 4
	v_and_b32_e32 v3, 0x80000000, v3
	s_delay_alu instid0(VALU_DEP_3) | instskip(NEXT) | instid1(VALU_DEP_3)
	v_clz_i32_u32_e32 v15, v11
	v_cmp_eq_u32_e32 vcc_lo, 0, v17
	s_delay_alu instid0(VALU_DEP_2) | instskip(NEXT) | instid1(VALU_DEP_1)
	v_min_u32_e32 v15, 32, v15
	v_subrev_nc_u32_e32 v16, 28, v15
	v_sub_nc_u32_e32 v15, 29, v15
	s_delay_alu instid0(VALU_DEP_2) | instskip(NEXT) | instid1(VALU_DEP_2)
	v_lshlrev_b32_e32 v7, v16, v7
	v_cndmask_b32_e32 v15, v17, v15, vcc_lo
	s_delay_alu instid0(VALU_DEP_2) | instskip(NEXT) | instid1(VALU_DEP_1)
	v_and_b32_e32 v7, 7, v7
	v_cndmask_b32_e32 v7, v11, v7, vcc_lo
	s_delay_alu instid0(VALU_DEP_3) | instskip(NEXT) | instid1(VALU_DEP_2)
	v_lshl_add_u32 v11, v15, 23, 0x3b800000
	v_lshlrev_b32_e32 v7, 20, v7
	s_delay_alu instid0(VALU_DEP_1) | instskip(NEXT) | instid1(VALU_DEP_1)
	v_or3_b32 v3, v3, v11, v7
	v_cvt_f64_f32_e32 v[16:17], v3
.LBB9_1611:
	s_or_b32 exec_lo, exec_lo, s11
.LBB9_1612:
	s_mov_b32 s10, -1
.LBB9_1613:
	s_mov_b32 s11, 0
.LBB9_1614:
	s_delay_alu instid0(SALU_CYCLE_1)
	s_and_b32 vcc_lo, exec_lo, s11
	s_cbranch_vccz .LBB9_1647
; %bb.1615:
	s_cmp_gt_i32 s0, 22
	s_cbranch_scc0 .LBB9_1625
; %bb.1616:
	s_cmp_lt_i32 s0, 24
	s_cbranch_scc1 .LBB9_1628
; %bb.1617:
	s_cmp_gt_i32 s0, 24
	s_cbranch_scc0 .LBB9_1629
; %bb.1618:
	global_load_u8 v3, v[12:13], off
	s_mov_b32 s10, exec_lo
	s_wait_loadcnt 0x0
	v_cmpx_lt_i16_e32 0x7f, v3
	s_xor_b32 s10, exec_lo, s10
	s_cbranch_execz .LBB9_1641
; %bb.1619:
	s_mov_b32 s7, -1
	s_mov_b32 s11, exec_lo
	v_cmpx_eq_u16_e32 0x80, v3
; %bb.1620:
	s_xor_b32 s7, exec_lo, -1
; %bb.1621:
	s_or_b32 exec_lo, exec_lo, s11
	s_delay_alu instid0(SALU_CYCLE_1)
	s_and_b32 s7, s7, exec_lo
	s_or_saveexec_b32 s10, s10
	v_mov_b64_e32 v[16:17], 0x7ff8000020000000
	s_xor_b32 exec_lo, exec_lo, s10
	s_cbranch_execnz .LBB9_1642
.LBB9_1622:
	s_or_b32 exec_lo, exec_lo, s10
	s_and_saveexec_b32 s10, s7
	s_cbranch_execz .LBB9_1624
.LBB9_1623:
	v_and_b32_e32 v7, 0xffff, v3
	v_lshlrev_b32_e32 v3, 24, v3
	s_delay_alu instid0(VALU_DEP_2) | instskip(SKIP_1) | instid1(VALU_DEP_3)
	v_and_b32_e32 v11, 3, v7
	v_bfe_u32 v17, v7, 2, 5
	v_and_b32_e32 v3, 0x80000000, v3
	s_delay_alu instid0(VALU_DEP_3) | instskip(NEXT) | instid1(VALU_DEP_3)
	v_clz_i32_u32_e32 v15, v11
	v_cmp_eq_u32_e32 vcc_lo, 0, v17
	s_delay_alu instid0(VALU_DEP_2) | instskip(NEXT) | instid1(VALU_DEP_1)
	v_min_u32_e32 v15, 32, v15
	v_subrev_nc_u32_e32 v16, 29, v15
	v_sub_nc_u32_e32 v15, 30, v15
	s_delay_alu instid0(VALU_DEP_2) | instskip(NEXT) | instid1(VALU_DEP_2)
	v_lshlrev_b32_e32 v7, v16, v7
	v_cndmask_b32_e32 v15, v17, v15, vcc_lo
	s_delay_alu instid0(VALU_DEP_2) | instskip(NEXT) | instid1(VALU_DEP_1)
	v_and_b32_e32 v7, 3, v7
	v_cndmask_b32_e32 v7, v11, v7, vcc_lo
	s_delay_alu instid0(VALU_DEP_3) | instskip(NEXT) | instid1(VALU_DEP_2)
	v_lshl_add_u32 v11, v15, 23, 0x37800000
	v_lshlrev_b32_e32 v7, 21, v7
	s_delay_alu instid0(VALU_DEP_1) | instskip(NEXT) | instid1(VALU_DEP_1)
	v_or3_b32 v3, v3, v11, v7
	v_cvt_f64_f32_e32 v[16:17], v3
.LBB9_1624:
	s_or_b32 exec_lo, exec_lo, s10
	s_mov_b32 s7, 0
	s_branch .LBB9_1630
.LBB9_1625:
	s_mov_b32 s7, -1
                                        ; implicit-def: $vgpr16_vgpr17
	s_branch .LBB9_1636
.LBB9_1626:
	s_or_saveexec_b32 s11, s11
	v_mov_b64_e32 v[16:17], 0x7ff8000020000000
	s_xor_b32 exec_lo, exec_lo, s11
	s_cbranch_execz .LBB9_1609
.LBB9_1627:
	v_cmp_ne_u16_e32 vcc_lo, 0, v3
	v_mov_b64_e32 v[16:17], 0
	s_and_not1_b32 s10, s10, exec_lo
	s_and_b32 s12, vcc_lo, exec_lo
	s_delay_alu instid0(SALU_CYCLE_1)
	s_or_b32 s10, s10, s12
	s_or_b32 exec_lo, exec_lo, s11
	s_and_saveexec_b32 s11, s10
	s_cbranch_execnz .LBB9_1610
	s_branch .LBB9_1611
.LBB9_1628:
	s_mov_b32 s7, -1
                                        ; implicit-def: $vgpr16_vgpr17
	s_branch .LBB9_1633
.LBB9_1629:
	s_mov_b32 s7, -1
                                        ; implicit-def: $vgpr16_vgpr17
.LBB9_1630:
	s_delay_alu instid0(SALU_CYCLE_1)
	s_and_b32 vcc_lo, exec_lo, s7
	s_cbranch_vccz .LBB9_1632
; %bb.1631:
	global_load_u8 v3, v[12:13], off
	s_wait_loadcnt 0x0
	v_lshlrev_b32_e32 v3, 24, v3
	s_delay_alu instid0(VALU_DEP_1) | instskip(NEXT) | instid1(VALU_DEP_1)
	v_and_b32_e32 v7, 0x7f000000, v3
	v_clz_i32_u32_e32 v11, v7
	v_add_nc_u32_e32 v16, 0x1000000, v7
	v_cmp_ne_u32_e32 vcc_lo, 0, v7
	s_delay_alu instid0(VALU_DEP_3) | instskip(NEXT) | instid1(VALU_DEP_1)
	v_min_u32_e32 v11, 32, v11
	v_sub_nc_u32_e64 v11, v11, 4 clamp
	s_delay_alu instid0(VALU_DEP_1) | instskip(SKIP_1) | instid1(VALU_DEP_2)
	v_lshlrev_b32_e32 v15, v11, v7
	v_lshlrev_b32_e32 v11, 23, v11
	v_lshrrev_b32_e32 v15, 4, v15
	s_delay_alu instid0(VALU_DEP_1) | instskip(NEXT) | instid1(VALU_DEP_1)
	v_dual_sub_nc_u32 v11, v15, v11 :: v_dual_ashrrev_i32 v15, 8, v16
	v_add_nc_u32_e32 v11, 0x3c000000, v11
	s_delay_alu instid0(VALU_DEP_1) | instskip(NEXT) | instid1(VALU_DEP_1)
	v_and_or_b32 v11, 0x7f800000, v15, v11
	v_cndmask_b32_e32 v7, 0, v11, vcc_lo
	s_delay_alu instid0(VALU_DEP_1) | instskip(NEXT) | instid1(VALU_DEP_1)
	v_and_or_b32 v3, 0x80000000, v3, v7
	v_cvt_f64_f32_e32 v[16:17], v3
.LBB9_1632:
	s_mov_b32 s7, 0
.LBB9_1633:
	s_delay_alu instid0(SALU_CYCLE_1)
	s_and_not1_b32 vcc_lo, exec_lo, s7
	s_cbranch_vccnz .LBB9_1635
; %bb.1634:
	global_load_u8 v3, v[12:13], off
	s_wait_loadcnt 0x0
	v_lshlrev_b32_e32 v7, 25, v3
	v_lshlrev_b16 v3, 8, v3
	s_delay_alu instid0(VALU_DEP_2) | instskip(NEXT) | instid1(VALU_DEP_2)
	v_lshrrev_b32_e32 v11, 4, v7
	v_and_or_b32 v15, 0x7f00, v3, 0.5
	v_cmp_gt_u32_e32 vcc_lo, 0x8000000, v7
	v_bfe_i32 v3, v3, 0, 16
	s_delay_alu instid0(VALU_DEP_4) | instskip(NEXT) | instid1(VALU_DEP_4)
	v_or_b32_e32 v11, 0x70000000, v11
	v_add_f32_e32 v15, -0.5, v15
	s_delay_alu instid0(VALU_DEP_2) | instskip(NEXT) | instid1(VALU_DEP_1)
	v_mul_f32_e32 v11, 0x7800000, v11
	v_cndmask_b32_e32 v7, v11, v15, vcc_lo
	s_delay_alu instid0(VALU_DEP_1) | instskip(NEXT) | instid1(VALU_DEP_1)
	v_and_or_b32 v3, 0x80000000, v3, v7
	v_cvt_f64_f32_e32 v[16:17], v3
.LBB9_1635:
	s_mov_b32 s7, 0
	s_mov_b32 s10, -1
.LBB9_1636:
	s_and_not1_b32 vcc_lo, exec_lo, s7
	s_mov_b32 s7, 0
	s_cbranch_vccnz .LBB9_1647
; %bb.1637:
	s_cmp_gt_i32 s0, 14
	s_cbranch_scc0 .LBB9_1640
; %bb.1638:
	s_cmp_eq_u32 s0, 15
	s_cbranch_scc0 .LBB9_1643
; %bb.1639:
	global_load_u16 v3, v[12:13], off
	s_mov_b32 s6, 0
	s_mov_b32 s10, -1
	s_wait_loadcnt 0x0
	v_lshlrev_b32_e32 v3, 16, v3
	s_delay_alu instid0(VALU_DEP_1)
	v_cvt_f64_f32_e32 v[16:17], v3
	s_branch .LBB9_1645
.LBB9_1640:
	s_mov_b32 s7, -1
	s_branch .LBB9_1644
.LBB9_1641:
	s_or_saveexec_b32 s10, s10
	v_mov_b64_e32 v[16:17], 0x7ff8000020000000
	s_xor_b32 exec_lo, exec_lo, s10
	s_cbranch_execz .LBB9_1622
.LBB9_1642:
	v_cmp_ne_u16_e32 vcc_lo, 0, v3
	v_mov_b64_e32 v[16:17], 0
	s_and_not1_b32 s7, s7, exec_lo
	s_and_b32 s11, vcc_lo, exec_lo
	s_delay_alu instid0(SALU_CYCLE_1)
	s_or_b32 s7, s7, s11
	s_or_b32 exec_lo, exec_lo, s10
	s_and_saveexec_b32 s10, s7
	s_cbranch_execnz .LBB9_1623
	s_branch .LBB9_1624
.LBB9_1643:
	s_mov_b32 s6, -1
.LBB9_1644:
                                        ; implicit-def: $vgpr16_vgpr17
.LBB9_1645:
	s_and_b32 vcc_lo, exec_lo, s7
	s_mov_b32 s7, 0
	s_cbranch_vccz .LBB9_1647
; %bb.1646:
	s_cmp_lg_u32 s0, 11
	s_mov_b32 s7, -1
	s_cselect_b32 s6, -1, 0
.LBB9_1647:
	s_delay_alu instid0(SALU_CYCLE_1)
	s_and_b32 vcc_lo, exec_lo, s6
	s_cbranch_vccnz .LBB9_2185
; %bb.1648:
	s_and_not1_b32 vcc_lo, exec_lo, s7
	s_cbranch_vccnz .LBB9_1650
.LBB9_1649:
	global_load_u8 v3, v[12:13], off
	v_mov_b32_e32 v16, 0
	s_mov_b32 s10, -1
	s_wait_loadcnt 0x0
	v_cmp_ne_u16_e32 vcc_lo, 0, v3
	v_cndmask_b32_e64 v17, 0, 0x3ff00000, vcc_lo
.LBB9_1650:
	s_mov_b32 s6, 0
.LBB9_1651:
	s_delay_alu instid0(SALU_CYCLE_1)
	s_and_b32 vcc_lo, exec_lo, s6
	s_cbranch_vccz .LBB9_1700
; %bb.1652:
	s_cmp_lt_i32 s0, 5
	s_cbranch_scc1 .LBB9_1657
; %bb.1653:
	s_cmp_lt_i32 s0, 8
	s_cbranch_scc1 .LBB9_1658
	;; [unrolled: 3-line block ×3, first 2 shown]
; %bb.1655:
	s_cmp_gt_i32 s0, 9
	s_cbranch_scc0 .LBB9_1660
; %bb.1656:
	global_load_b64 v[16:17], v[12:13], off
	s_mov_b32 s6, 0
	s_branch .LBB9_1661
.LBB9_1657:
	s_mov_b32 s6, -1
                                        ; implicit-def: $vgpr16_vgpr17
	s_branch .LBB9_1679
.LBB9_1658:
	s_mov_b32 s6, -1
                                        ; implicit-def: $vgpr16_vgpr17
	s_branch .LBB9_1667
.LBB9_1659:
	s_mov_b32 s6, -1
                                        ; implicit-def: $vgpr16_vgpr17
	s_branch .LBB9_1664
.LBB9_1660:
	s_mov_b32 s6, -1
                                        ; implicit-def: $vgpr16_vgpr17
.LBB9_1661:
	s_delay_alu instid0(SALU_CYCLE_1)
	s_and_not1_b32 vcc_lo, exec_lo, s6
	s_cbranch_vccnz .LBB9_1663
; %bb.1662:
	global_load_b32 v3, v[12:13], off
	s_wait_loadcnt 0x0
	v_cvt_f64_f32_e32 v[16:17], v3
.LBB9_1663:
	s_mov_b32 s6, 0
.LBB9_1664:
	s_delay_alu instid0(SALU_CYCLE_1)
	s_and_not1_b32 vcc_lo, exec_lo, s6
	s_cbranch_vccnz .LBB9_1666
; %bb.1665:
	global_load_b32 v3, v[12:13], off
	s_wait_loadcnt 0x0
	v_cvt_f32_f16_e32 v3, v3
	s_delay_alu instid0(VALU_DEP_1)
	v_cvt_f64_f32_e32 v[16:17], v3
.LBB9_1666:
	s_mov_b32 s6, 0
.LBB9_1667:
	s_delay_alu instid0(SALU_CYCLE_1)
	s_and_not1_b32 vcc_lo, exec_lo, s6
	s_cbranch_vccnz .LBB9_1678
; %bb.1668:
	s_cmp_lt_i32 s0, 6
	s_cbranch_scc1 .LBB9_1671
; %bb.1669:
	s_cmp_gt_i32 s0, 6
	s_cbranch_scc0 .LBB9_1672
; %bb.1670:
	s_wait_loadcnt 0x0
	global_load_b64 v[16:17], v[12:13], off
	s_mov_b32 s6, 0
	s_branch .LBB9_1673
.LBB9_1671:
	s_mov_b32 s6, -1
                                        ; implicit-def: $vgpr16_vgpr17
	s_branch .LBB9_1676
.LBB9_1672:
	s_mov_b32 s6, -1
                                        ; implicit-def: $vgpr16_vgpr17
.LBB9_1673:
	s_delay_alu instid0(SALU_CYCLE_1)
	s_and_not1_b32 vcc_lo, exec_lo, s6
	s_cbranch_vccnz .LBB9_1675
; %bb.1674:
	global_load_b32 v3, v[12:13], off
	s_wait_loadcnt 0x0
	v_cvt_f64_f32_e32 v[16:17], v3
.LBB9_1675:
	s_mov_b32 s6, 0
.LBB9_1676:
	s_delay_alu instid0(SALU_CYCLE_1)
	s_and_not1_b32 vcc_lo, exec_lo, s6
	s_cbranch_vccnz .LBB9_1678
; %bb.1677:
	global_load_u16 v3, v[12:13], off
	s_wait_loadcnt 0x0
	v_cvt_f32_f16_e32 v3, v3
	s_delay_alu instid0(VALU_DEP_1)
	v_cvt_f64_f32_e32 v[16:17], v3
.LBB9_1678:
	s_mov_b32 s6, 0
.LBB9_1679:
	s_delay_alu instid0(SALU_CYCLE_1)
	s_and_not1_b32 vcc_lo, exec_lo, s6
	s_cbranch_vccnz .LBB9_1699
; %bb.1680:
	s_cmp_lt_i32 s0, 2
	s_cbranch_scc1 .LBB9_1684
; %bb.1681:
	s_cmp_lt_i32 s0, 3
	s_cbranch_scc1 .LBB9_1685
; %bb.1682:
	s_cmp_gt_i32 s0, 3
	s_cbranch_scc0 .LBB9_1686
; %bb.1683:
	s_wait_loadcnt 0x0
	global_load_b64 v[16:17], v[12:13], off
	s_mov_b32 s6, 0
	s_wait_loadcnt 0x0
	v_cvt_f64_i32_e32 v[18:19], v17
	v_cvt_f64_u32_e32 v[16:17], v16
	s_delay_alu instid0(VALU_DEP_2) | instskip(NEXT) | instid1(VALU_DEP_1)
	v_ldexp_f64 v[18:19], v[18:19], 32
	v_add_f64_e32 v[16:17], v[18:19], v[16:17]
	s_branch .LBB9_1687
.LBB9_1684:
	s_mov_b32 s6, -1
                                        ; implicit-def: $vgpr16_vgpr17
	s_branch .LBB9_1693
.LBB9_1685:
	s_mov_b32 s6, -1
                                        ; implicit-def: $vgpr16_vgpr17
	s_branch .LBB9_1690
.LBB9_1686:
	s_mov_b32 s6, -1
                                        ; implicit-def: $vgpr16_vgpr17
.LBB9_1687:
	s_delay_alu instid0(SALU_CYCLE_1)
	s_and_not1_b32 vcc_lo, exec_lo, s6
	s_cbranch_vccnz .LBB9_1689
; %bb.1688:
	global_load_b32 v3, v[12:13], off
	s_wait_loadcnt 0x0
	v_cvt_f64_i32_e32 v[16:17], v3
.LBB9_1689:
	s_mov_b32 s6, 0
.LBB9_1690:
	s_delay_alu instid0(SALU_CYCLE_1)
	s_and_not1_b32 vcc_lo, exec_lo, s6
	s_cbranch_vccnz .LBB9_1692
; %bb.1691:
	global_load_i16 v3, v[12:13], off
	s_wait_loadcnt 0x0
	v_cvt_f64_i32_e32 v[16:17], v3
.LBB9_1692:
	s_mov_b32 s6, 0
.LBB9_1693:
	s_delay_alu instid0(SALU_CYCLE_1)
	s_and_not1_b32 vcc_lo, exec_lo, s6
	s_cbranch_vccnz .LBB9_1699
; %bb.1694:
	s_cmp_gt_i32 s0, 0
	s_mov_b32 s0, 0
	s_cbranch_scc0 .LBB9_1696
; %bb.1695:
	global_load_i8 v3, v[12:13], off
	s_wait_loadcnt 0x0
	v_cvt_f64_i32_e32 v[16:17], v3
	s_branch .LBB9_1697
.LBB9_1696:
	s_mov_b32 s0, -1
                                        ; implicit-def: $vgpr16_vgpr17
.LBB9_1697:
	s_delay_alu instid0(SALU_CYCLE_1)
	s_and_not1_b32 vcc_lo, exec_lo, s0
	s_cbranch_vccnz .LBB9_1699
; %bb.1698:
	global_load_u8 v3, v[12:13], off
	s_wait_loadcnt 0x0
	v_cvt_f64_u32_e32 v[16:17], v3
.LBB9_1699:
	s_mov_b32 s10, -1
.LBB9_1700:
	s_delay_alu instid0(SALU_CYCLE_1)
	s_and_not1_b32 vcc_lo, exec_lo, s10
	s_cbranch_vccnz .LBB9_1783
; %bb.1701:
	s_wait_loadcnt 0x0
	s_delay_alu instid0(VALU_DEP_1) | instskip(SKIP_2) | instid1(SALU_CYCLE_1)
	v_cmp_ge_f64_e64 s0, 0x40200000, |v[16:17]|
                                        ; implicit-def: $vgpr12_vgpr13
	s_wait_xcnt 0x0
	s_and_saveexec_b32 s6, s0
	s_xor_b32 s0, exec_lo, s6
	s_cbranch_execz .LBB9_1703
; %bb.1702:
	v_fma_f64 v[12:13], |v[16:17]|, 0.5, -2.0
	s_mov_b64 s[6:7], 0xbc545cb72134d0ef
	s_delay_alu instid0(VALU_DEP_1) | instid1(SALU_CYCLE_1)
	v_fmaak_f64 v[18:19], s[6:7], v[12:13], 0x3c833362977da589
	s_mov_b64 s[6:7], 0x3ff71547652b82fe
	s_delay_alu instid0(SALU_CYCLE_1) | instskip(SKIP_1) | instid1(VALU_DEP_2)
	v_mul_f64_e64 v[22:23], |v[16:17]|, s[6:7]
	s_mov_b64 s[6:7], 0xbfe62e42fefa39ef
	v_fmaak_f64 v[20:21], v[12:13], v[18:19], 0x3c545cb72134d0ef
	s_delay_alu instid0(VALU_DEP_1) | instskip(NEXT) | instid1(VALU_DEP_3)
	v_add_f64_e32 v[20:21], 0xbcb184eb721ebbb4, v[20:21]
	v_rndne_f64_e32 v[22:23], v[22:23]
	s_delay_alu instid0(VALU_DEP_2) | instskip(NEXT) | instid1(VALU_DEP_2)
	v_fma_f64 v[18:19], v[12:13], v[20:21], -v[18:19]
	v_fma_f64 v[16:17], v[22:23], s[6:7], |v[16:17]|
	s_mov_b64 s[6:7], 0x3e5ade156a5dcb37
	v_cvt_i32_f64_e32 v3, v[22:23]
	s_delay_alu instid0(VALU_DEP_3) | instskip(NEXT) | instid1(VALU_DEP_3)
	v_add_f64_e32 v[18:19], 0x3cdee6d893f65eba, v[18:19]
	v_fmamk_f64 v[16:17], v[22:23], 0xbc7abc9e3b39803f, v[16:17]
	s_delay_alu instid0(VALU_DEP_1) | instskip(NEXT) | instid1(VALU_DEP_3)
	v_fmaak_f64 v[24:25], s[6:7], v[16:17], 0x3e928af3fca7ab0c
	v_fma_f64 v[20:21], v[12:13], v[18:19], -v[20:21]
	s_delay_alu instid0(VALU_DEP_2) | instskip(NEXT) | instid1(VALU_DEP_1)
	v_fmaak_f64 v[24:25], v[16:17], v[24:25], 0x3ec71dee623fde64
	v_fmaak_f64 v[24:25], v[16:17], v[24:25], 0x3efa01997c89e6b0
	s_delay_alu instid0(VALU_DEP_1) | instskip(NEXT) | instid1(VALU_DEP_1)
	v_fmaak_f64 v[24:25], v[16:17], v[24:25], 0x3f2a01a014761f6e
	v_fmaak_f64 v[24:25], v[16:17], v[24:25], 0x3f56c16c1852b7b0
	v_add_f64_e32 v[20:21], 0xbd0a5022c297fbeb, v[20:21]
	s_delay_alu instid0(VALU_DEP_1) | instskip(NEXT) | instid1(VALU_DEP_1)
	v_fma_f64 v[18:19], v[12:13], v[20:21], -v[18:19]
	v_add_f64_e32 v[18:19], 0x3d359b464b262627, v[18:19]
	s_delay_alu instid0(VALU_DEP_1) | instskip(NEXT) | instid1(VALU_DEP_1)
	v_fma_f64 v[20:21], v[12:13], v[18:19], -v[20:21]
	;; [unrolled: 3-line block ×24, first 2 shown]
	v_add_f64_e32 v[20:21], 0xbfd37febc057cd8d, v[20:21]
	s_delay_alu instid0(VALU_DEP_1) | instskip(SKIP_1) | instid1(VALU_DEP_1)
	v_fma_f64 v[12:13], v[12:13], v[20:21], -v[18:19]
	v_fmaak_f64 v[20:21], v[16:17], v[24:25], 0x3f81111111122322
	v_fmaak_f64 v[20:21], v[16:17], v[20:21], 0x3fa55555555502a1
	s_delay_alu instid0(VALU_DEP_1) | instskip(NEXT) | instid1(VALU_DEP_1)
	v_fmaak_f64 v[20:21], v[16:17], v[20:21], 0x3fc5555555555511
	v_fmaak_f64 v[20:21], v[16:17], v[20:21], 0x3fe000000000000b
	s_delay_alu instid0(VALU_DEP_1) | instskip(SKIP_1) | instid1(VALU_DEP_2)
	v_fma_f64 v[20:21], v[16:17], v[20:21], 1.0
	v_add_f64_e32 v[12:13], 0x3fe5a84e9035a22a, v[12:13]
	v_fma_f64 v[16:17], v[16:17], v[20:21], 1.0
	s_delay_alu instid0(VALU_DEP_2) | instskip(NEXT) | instid1(VALU_DEP_2)
	v_add_f64_e64 v[12:13], v[12:13], -v[18:19]
	v_ldexp_f64 v[16:17], v[16:17], v3
	s_delay_alu instid0(VALU_DEP_2) | instskip(NEXT) | instid1(VALU_DEP_1)
	v_mul_f64_e32 v[12:13], 0.5, v[12:13]
	v_mul_f64_e32 v[12:13], v[16:17], v[12:13]
                                        ; implicit-def: $vgpr16_vgpr17
.LBB9_1703:
	s_and_not1_saveexec_b32 s0, s0
	s_cbranch_execz .LBB9_1705
; %bb.1704:
	v_and_b32_e32 v13, 0x7fffffff, v17
	v_mov_b32_e32 v12, v16
	v_cmp_gt_f64_e64 s10, 0x10000000, |v[16:17]|
	s_mov_b64 s[6:7], 0xbc60adb754ca8b19
	v_div_scale_f64 v[18:19], null, v[12:13], v[12:13], 0x40400000
	v_div_scale_f64 v[12:13], vcc_lo, 0x40400000, v[12:13], 0x40400000
	v_cndmask_b32_e64 v3, 0, 0x100, s10
	s_delay_alu instid0(VALU_DEP_3) | instskip(SKIP_1) | instid1(TRANS32_DEP_1)
	v_rcp_f64_e32 v[20:21], v[18:19]
	v_nop
	v_fma_f64 v[22:23], -v[18:19], v[20:21], 1.0
	s_delay_alu instid0(VALU_DEP_1) | instskip(NEXT) | instid1(VALU_DEP_1)
	v_fmac_f64_e32 v[20:21], v[20:21], v[22:23]
	v_fma_f64 v[22:23], -v[18:19], v[20:21], 1.0
	s_delay_alu instid0(VALU_DEP_1) | instskip(NEXT) | instid1(VALU_DEP_1)
	v_fmac_f64_e32 v[20:21], v[20:21], v[22:23]
	v_mul_f64_e32 v[22:23], v[12:13], v[20:21]
	s_delay_alu instid0(VALU_DEP_1) | instskip(NEXT) | instid1(VALU_DEP_1)
	v_fma_f64 v[12:13], -v[18:19], v[22:23], v[12:13]
	v_div_fmas_f64 v[12:13], v[12:13], v[20:21], v[22:23]
	v_ldexp_f64 v[22:23], |v[16:17]|, v3
	v_cmp_nlt_f64_e64 vcc_lo, 0x40900000, |v[16:17]|
	s_delay_alu instid0(VALU_DEP_3) | instskip(NEXT) | instid1(VALU_DEP_3)
	v_div_fixup_f64 v[12:13], v[12:13], |v[16:17]|, 0x40400000
	v_rsq_f64_e32 v[26:27], v[22:23]
	s_delay_alu instid0(VALU_DEP_1) | instskip(NEXT) | instid1(TRANS32_DEP_1)
	v_add_f64_e32 v[12:13], -2.0, v[12:13]
	v_mul_f64_e32 v[28:29], v[22:23], v[26:27]
	v_mul_f64_e32 v[26:27], 0.5, v[26:27]
	s_delay_alu instid0(VALU_DEP_3) | instskip(SKIP_1) | instid1(SALU_CYCLE_1)
	v_fmaak_f64 v[18:19], s[6:7], v[12:13], 0xbc5646da66119130
	s_mov_b64 s[6:7], 0x3ff71547652b82fe
	v_mul_f64_e64 v[24:25], |v[16:17]|, s[6:7]
	s_mov_b64 s[6:7], 0xbfe62e42fefa39ef
	s_delay_alu instid0(VALU_DEP_2) | instskip(NEXT) | instid1(VALU_DEP_4)
	v_fmaak_f64 v[20:21], v[12:13], v[18:19], 0x3c60adb754ca8b19
	v_fma_f64 v[32:33], -v[26:27], v[28:29], 0.5
	s_delay_alu instid0(VALU_DEP_2) | instskip(NEXT) | instid1(VALU_DEP_4)
	v_add_f64_e32 v[20:21], 0x3c89be1812d98421, v[20:21]
	v_rndne_f64_e32 v[24:25], v[24:25]
	s_delay_alu instid0(VALU_DEP_3) | instskip(SKIP_1) | instid1(VALU_DEP_4)
	v_fmac_f64_e32 v[28:29], v[28:29], v[32:33]
	v_fmac_f64_e32 v[26:27], v[26:27], v[32:33]
	v_fma_f64 v[18:19], v[12:13], v[20:21], -v[18:19]
	s_delay_alu instid0(VALU_DEP_4) | instskip(SKIP_2) | instid1(VALU_DEP_3)
	v_fma_f64 v[30:31], v[24:25], s[6:7], |v[16:17]|
	s_mov_b64 s[6:7], 0x3e5ade156a5dcb37
	v_cvt_i32_f64_e32 v3, v[24:25]
	v_add_f64_e32 v[18:19], 0x3c83f3dd076041cd, v[18:19]
	s_delay_alu instid0(VALU_DEP_3) | instskip(NEXT) | instid1(VALU_DEP_1)
	v_fmamk_f64 v[30:31], v[24:25], 0xbc7abc9e3b39803f, v[30:31]
	v_fmaak_f64 v[34:35], s[6:7], v[30:31], 0x3e928af3fca7ab0c
	s_delay_alu instid0(VALU_DEP_3) | instskip(NEXT) | instid1(VALU_DEP_2)
	v_fma_f64 v[20:21], v[12:13], v[18:19], -v[20:21]
	v_fmaak_f64 v[34:35], v[30:31], v[34:35], 0x3ec71dee623fde64
	s_delay_alu instid0(VALU_DEP_1) | instskip(NEXT) | instid1(VALU_DEP_1)
	v_fmaak_f64 v[34:35], v[30:31], v[34:35], 0x3efa01997c89e6b0
	v_fmaak_f64 v[34:35], v[30:31], v[34:35], 0x3f2a01a014761f6e
	s_delay_alu instid0(VALU_DEP_1) | instskip(NEXT) | instid1(VALU_DEP_1)
	v_fmaak_f64 v[34:35], v[30:31], v[34:35], 0x3f56c16c1852b7b0
	v_fmaak_f64 v[34:35], v[30:31], v[34:35], 0x3f81111111122322
	v_add_f64_e32 v[20:21], 0xbcb4600babd21fe4, v[20:21]
	s_delay_alu instid0(VALU_DEP_1) | instskip(NEXT) | instid1(VALU_DEP_1)
	v_fma_f64 v[18:19], v[12:13], v[20:21], -v[18:19]
	v_add_f64_e32 v[18:19], 0xbcb8aee7d908de38, v[18:19]
	s_delay_alu instid0(VALU_DEP_1) | instskip(NEXT) | instid1(VALU_DEP_1)
	v_fma_f64 v[20:21], v[12:13], v[18:19], -v[20:21]
	;; [unrolled: 3-line block ×19, first 2 shown]
	v_add_f64_e32 v[18:19], 0x3f6b998ca2e59049, v[18:19]
	s_delay_alu instid0(VALU_DEP_1) | instskip(SKIP_1) | instid1(VALU_DEP_1)
	v_fma_f64 v[12:13], v[12:13], v[18:19], -v[20:21]
	v_fmaak_f64 v[18:19], v[30:31], v[34:35], 0x3fa55555555502a1
	v_fmaak_f64 v[18:19], v[30:31], v[18:19], 0x3fc5555555555511
	s_delay_alu instid0(VALU_DEP_1) | instskip(NEXT) | instid1(VALU_DEP_1)
	v_fmaak_f64 v[18:19], v[30:31], v[18:19], 0x3fe000000000000b
	v_fma_f64 v[18:19], v[30:31], v[18:19], 1.0
	v_add_f64_e32 v[12:13], 0x3fe9be62aca809cb, v[12:13]
	s_delay_alu instid0(VALU_DEP_2) | instskip(NEXT) | instid1(VALU_DEP_2)
	v_fma_f64 v[18:19], v[30:31], v[18:19], 1.0
	v_add_f64_e64 v[12:13], v[12:13], -v[20:21]
	s_delay_alu instid0(VALU_DEP_2) | instskip(SKIP_1) | instid1(VALU_DEP_3)
	v_ldexp_f64 v[18:19], v[18:19], v3
	v_cndmask_b32_e64 v3, 0, 0xffffff80, s10
	v_mul_f64_e32 v[12:13], 0.5, v[12:13]
	s_delay_alu instid0(VALU_DEP_3) | instskip(NEXT) | instid1(VALU_DEP_4)
	v_cndmask_b32_e32 v17, 0x7ff00000, v19, vcc_lo
	v_cndmask_b32_e32 v16, 0, v18, vcc_lo
	v_cmp_class_f64_e64 vcc_lo, v[22:23], 0x260
	v_fma_f64 v[32:33], -v[28:29], v[28:29], v[22:23]
	s_delay_alu instid0(VALU_DEP_3) | instskip(NEXT) | instid1(VALU_DEP_2)
	v_mul_f64_e32 v[12:13], v[16:17], v[12:13]
	v_fmac_f64_e32 v[28:29], v[32:33], v[26:27]
	s_delay_alu instid0(VALU_DEP_1) | instskip(NEXT) | instid1(VALU_DEP_1)
	v_fma_f64 v[24:25], -v[28:29], v[28:29], v[22:23]
	v_fmac_f64_e32 v[28:29], v[24:25], v[26:27]
	s_delay_alu instid0(VALU_DEP_1) | instskip(NEXT) | instid1(VALU_DEP_1)
	v_ldexp_f64 v[18:19], v[28:29], v3
	v_dual_cndmask_b32 v17, v19, v23 :: v_dual_cndmask_b32 v16, v18, v22
	s_delay_alu instid0(VALU_DEP_1) | instskip(NEXT) | instid1(VALU_DEP_1)
	v_div_scale_f64 v[18:19], null, v[16:17], v[16:17], v[12:13]
	v_rcp_f64_e32 v[20:21], v[18:19]
	v_nop
	s_delay_alu instid0(TRANS32_DEP_1) | instskip(NEXT) | instid1(VALU_DEP_1)
	v_fma_f64 v[22:23], -v[18:19], v[20:21], 1.0
	v_fmac_f64_e32 v[20:21], v[20:21], v[22:23]
	s_delay_alu instid0(VALU_DEP_1) | instskip(NEXT) | instid1(VALU_DEP_1)
	v_fma_f64 v[22:23], -v[18:19], v[20:21], 1.0
	v_fmac_f64_e32 v[20:21], v[20:21], v[22:23]
	v_div_scale_f64 v[22:23], vcc_lo, v[12:13], v[16:17], v[12:13]
	s_delay_alu instid0(VALU_DEP_1) | instskip(NEXT) | instid1(VALU_DEP_1)
	v_mul_f64_e32 v[24:25], v[22:23], v[20:21]
	v_fma_f64 v[18:19], -v[18:19], v[24:25], v[22:23]
	s_delay_alu instid0(VALU_DEP_1) | instskip(NEXT) | instid1(VALU_DEP_1)
	v_div_fmas_f64 v[18:19], v[18:19], v[20:21], v[24:25]
	v_div_fixup_f64 v[12:13], v[18:19], v[16:17], v[12:13]
.LBB9_1705:
	s_or_b32 exec_lo, exec_lo, s0
	v_mov_b32_e32 v3, 0
	global_load_u8 v7, v3, s[2:3] offset:345
	v_add_nc_u64_e32 v[16:17], s[4:5], v[2:3]
	s_wait_loadcnt 0x0
	v_and_b32_e32 v11, 0xffff, v7
	v_readfirstlane_b32 s6, v7
	s_delay_alu instid0(VALU_DEP_2)
	v_cmp_gt_i32_e32 vcc_lo, 11, v11
	s_cbranch_vccnz .LBB9_1828
; %bb.1706:
	s_wait_xcnt 0x0
	s_and_b32 s2, 0xffff, s6
	s_mov_b32 s10, -1
	s_mov_b32 s3, 0
	s_cmp_gt_i32 s2, 25
	s_mov_b32 s7, 0
	s_mov_b32 s0, 0
	s_cbranch_scc0 .LBB9_1739
; %bb.1707:
	s_cmp_gt_i32 s2, 28
	s_cbranch_scc0 .LBB9_1722
; %bb.1708:
	s_cmp_gt_i32 s2, 43
	;; [unrolled: 3-line block ×3, first 2 shown]
	s_cbranch_scc0 .LBB9_1712
; %bb.1710:
	s_mov_b32 s0, -1
	s_mov_b32 s10, 0
	s_cmp_eq_u32 s2, 46
	s_cbranch_scc0 .LBB9_1712
; %bb.1711:
	v_cvt_f32_f64_e32 v2, v[0:1]
	s_mov_b32 s0, 0
	s_mov_b32 s7, -1
	s_delay_alu instid0(VALU_DEP_1) | instskip(SKIP_1) | instid1(VALU_DEP_2)
	v_bfe_u32 v3, v2, 16, 1
	v_cmp_o_f32_e32 vcc_lo, v2, v2
	v_add3_u32 v3, v2, v3, 0x7fff
	s_delay_alu instid0(VALU_DEP_1) | instskip(NEXT) | instid1(VALU_DEP_1)
	v_lshrrev_b32_e32 v3, 16, v3
	v_cndmask_b32_e32 v2, 0x7fc0, v3, vcc_lo
	global_store_b32 v[16:17], v2, off
.LBB9_1712:
	s_and_b32 vcc_lo, exec_lo, s10
	s_cbranch_vccz .LBB9_1717
; %bb.1713:
	s_cmp_eq_u32 s2, 44
	s_mov_b32 s0, -1
	s_cbranch_scc0 .LBB9_1717
; %bb.1714:
	s_wait_xcnt 0x0
	v_cvt_f32_f64_e32 v2, v[0:1]
	v_mov_b32_e32 v3, 0xff
	s_mov_b32 s7, exec_lo
	s_delay_alu instid0(VALU_DEP_2) | instskip(NEXT) | instid1(VALU_DEP_1)
	v_bfe_u32 v7, v2, 23, 8
	v_cmpx_ne_u32_e32 0xff, v7
	s_cbranch_execz .LBB9_1716
; %bb.1715:
	v_and_b32_e32 v3, 0x400000, v2
	v_and_or_b32 v7, 0x3fffff, v2, v7
	v_lshrrev_b32_e32 v2, 23, v2
	s_delay_alu instid0(VALU_DEP_3) | instskip(NEXT) | instid1(VALU_DEP_3)
	v_cmp_ne_u32_e32 vcc_lo, 0, v3
	v_cmp_ne_u32_e64 s0, 0, v7
	s_and_b32 s0, vcc_lo, s0
	s_delay_alu instid0(SALU_CYCLE_1) | instskip(NEXT) | instid1(VALU_DEP_1)
	v_cndmask_b32_e64 v3, 0, 1, s0
	v_add_nc_u32_e32 v3, v2, v3
.LBB9_1716:
	s_or_b32 exec_lo, exec_lo, s7
	s_mov_b32 s0, 0
	s_mov_b32 s7, -1
	global_store_b8 v[16:17], v3, off
.LBB9_1717:
	s_mov_b32 s10, 0
.LBB9_1718:
	s_delay_alu instid0(SALU_CYCLE_1)
	s_and_b32 vcc_lo, exec_lo, s10
	s_cbranch_vccz .LBB9_1721
; %bb.1719:
	s_cmp_eq_u32 s2, 29
	s_mov_b32 s0, -1
	s_cbranch_scc0 .LBB9_1721
; %bb.1720:
	s_wait_xcnt 0x0
	v_trunc_f64_e32 v[2:3], v[0:1]
	s_mov_b32 s0, 0
	s_mov_b32 s7, -1
	s_delay_alu instid0(VALU_DEP_1) | instskip(NEXT) | instid1(VALU_DEP_1)
	v_ldexp_f64 v[18:19], v[2:3], 0xffffffe0
	v_floor_f64_e32 v[18:19], v[18:19]
	s_delay_alu instid0(VALU_DEP_1) | instskip(SKIP_1) | instid1(VALU_DEP_2)
	v_fmamk_f64 v[2:3], v[18:19], 0xc1f00000, v[2:3]
	v_cvt_u32_f64_e32 v19, v[18:19]
	v_cvt_u32_f64_e32 v18, v[2:3]
	global_store_b64 v[16:17], v[18:19], off
.LBB9_1721:
	s_mov_b32 s10, 0
.LBB9_1722:
	s_delay_alu instid0(SALU_CYCLE_1)
	s_and_b32 vcc_lo, exec_lo, s10
	s_cbranch_vccz .LBB9_1738
; %bb.1723:
	s_cmp_lt_i32 s2, 27
	s_mov_b32 s7, -1
	s_cbranch_scc1 .LBB9_1729
; %bb.1724:
	s_wait_xcnt 0x0
	v_cvt_u32_f64_e32 v2, v[0:1]
	s_cmp_gt_i32 s2, 27
	s_cbranch_scc0 .LBB9_1726
; %bb.1725:
	s_mov_b32 s7, 0
	global_store_b32 v[16:17], v2, off
.LBB9_1726:
	s_and_not1_b32 vcc_lo, exec_lo, s7
	s_cbranch_vccnz .LBB9_1728
; %bb.1727:
	global_store_b16 v[16:17], v2, off
.LBB9_1728:
	s_mov_b32 s7, 0
.LBB9_1729:
	s_delay_alu instid0(SALU_CYCLE_1)
	s_and_not1_b32 vcc_lo, exec_lo, s7
	s_cbranch_vccnz .LBB9_1737
; %bb.1730:
	s_wait_xcnt 0x0
	v_cvt_f32_f64_e32 v2, v[0:1]
	v_mov_b32_e32 v7, 0x80
	s_mov_b32 s7, exec_lo
	s_delay_alu instid0(VALU_DEP_2) | instskip(NEXT) | instid1(VALU_DEP_1)
	v_and_b32_e32 v3, 0x7fffffff, v2
	v_cmpx_gt_u32_e32 0x43800000, v3
	s_cbranch_execz .LBB9_1736
; %bb.1731:
	v_cmp_lt_u32_e32 vcc_lo, 0x3bffffff, v3
	s_mov_b32 s10, 0
                                        ; implicit-def: $vgpr3
	s_and_saveexec_b32 s11, vcc_lo
	s_delay_alu instid0(SALU_CYCLE_1)
	s_xor_b32 s11, exec_lo, s11
	s_cbranch_execz .LBB9_2186
; %bb.1732:
	v_bfe_u32 v3, v2, 20, 1
	s_mov_b32 s10, exec_lo
	s_delay_alu instid0(VALU_DEP_1) | instskip(NEXT) | instid1(VALU_DEP_1)
	v_add3_u32 v3, v2, v3, 0x487ffff
	v_lshrrev_b32_e32 v3, 20, v3
	s_and_not1_saveexec_b32 s11, s11
	s_cbranch_execnz .LBB9_2187
.LBB9_1733:
	s_or_b32 exec_lo, exec_lo, s11
	v_mov_b32_e32 v7, 0
	s_and_saveexec_b32 s11, s10
.LBB9_1734:
	v_lshrrev_b32_e32 v2, 24, v2
	s_delay_alu instid0(VALU_DEP_1)
	v_and_or_b32 v7, 0x80, v2, v3
.LBB9_1735:
	s_or_b32 exec_lo, exec_lo, s11
.LBB9_1736:
	s_delay_alu instid0(SALU_CYCLE_1)
	s_or_b32 exec_lo, exec_lo, s7
	global_store_b8 v[16:17], v7, off
.LBB9_1737:
	s_mov_b32 s7, -1
.LBB9_1738:
	s_mov_b32 s10, 0
.LBB9_1739:
	s_delay_alu instid0(SALU_CYCLE_1)
	s_and_b32 vcc_lo, exec_lo, s10
	s_cbranch_vccz .LBB9_1779
; %bb.1740:
	s_cmp_gt_i32 s2, 22
	s_mov_b32 s3, -1
	s_cbranch_scc0 .LBB9_1772
; %bb.1741:
	s_cmp_lt_i32 s2, 24
	s_cbranch_scc1 .LBB9_1761
; %bb.1742:
	s_cmp_gt_i32 s2, 24
	s_cbranch_scc0 .LBB9_1750
; %bb.1743:
	s_wait_xcnt 0x0
	v_cvt_f32_f64_e32 v2, v[0:1]
	v_mov_b32_e32 v7, 0x80
	s_mov_b32 s3, exec_lo
	s_delay_alu instid0(VALU_DEP_2) | instskip(NEXT) | instid1(VALU_DEP_1)
	v_and_b32_e32 v3, 0x7fffffff, v2
	v_cmpx_gt_u32_e32 0x47800000, v3
	s_cbranch_execz .LBB9_1749
; %bb.1744:
	v_cmp_lt_u32_e32 vcc_lo, 0x37ffffff, v3
	s_mov_b32 s7, 0
                                        ; implicit-def: $vgpr3
	s_and_saveexec_b32 s10, vcc_lo
	s_delay_alu instid0(SALU_CYCLE_1)
	s_xor_b32 s10, exec_lo, s10
	s_cbranch_execz .LBB9_2189
; %bb.1745:
	v_bfe_u32 v3, v2, 21, 1
	s_mov_b32 s7, exec_lo
	s_delay_alu instid0(VALU_DEP_1) | instskip(NEXT) | instid1(VALU_DEP_1)
	v_add3_u32 v3, v2, v3, 0x88fffff
	v_lshrrev_b32_e32 v3, 21, v3
	s_and_not1_saveexec_b32 s10, s10
	s_cbranch_execnz .LBB9_2190
.LBB9_1746:
	s_or_b32 exec_lo, exec_lo, s10
	v_mov_b32_e32 v7, 0
	s_and_saveexec_b32 s10, s7
.LBB9_1747:
	v_lshrrev_b32_e32 v2, 24, v2
	s_delay_alu instid0(VALU_DEP_1)
	v_and_or_b32 v7, 0x80, v2, v3
.LBB9_1748:
	s_or_b32 exec_lo, exec_lo, s10
.LBB9_1749:
	s_delay_alu instid0(SALU_CYCLE_1)
	s_or_b32 exec_lo, exec_lo, s3
	s_mov_b32 s3, 0
	global_store_b8 v[16:17], v7, off
.LBB9_1750:
	s_and_b32 vcc_lo, exec_lo, s3
	s_cbranch_vccz .LBB9_1760
; %bb.1751:
	s_wait_xcnt 0x0
	v_cvt_f32_f64_e32 v2, v[0:1]
	s_mov_b32 s3, exec_lo
                                        ; implicit-def: $vgpr3
	s_delay_alu instid0(VALU_DEP_1) | instskip(NEXT) | instid1(VALU_DEP_1)
	v_and_b32_e32 v7, 0x7fffffff, v2
	v_cmpx_gt_u32_e32 0x43f00000, v7
	s_xor_b32 s3, exec_lo, s3
	s_cbranch_execz .LBB9_1757
; %bb.1752:
	s_mov_b32 s7, exec_lo
                                        ; implicit-def: $vgpr3
	v_cmpx_lt_u32_e32 0x3c7fffff, v7
	s_xor_b32 s7, exec_lo, s7
; %bb.1753:
	v_bfe_u32 v3, v2, 20, 1
	s_delay_alu instid0(VALU_DEP_1) | instskip(NEXT) | instid1(VALU_DEP_1)
	v_add3_u32 v3, v2, v3, 0x407ffff
	v_and_b32_e32 v7, 0xff00000, v3
	v_lshrrev_b32_e32 v3, 20, v3
	s_delay_alu instid0(VALU_DEP_2) | instskip(NEXT) | instid1(VALU_DEP_2)
	v_cmp_ne_u32_e32 vcc_lo, 0x7f00000, v7
	v_cndmask_b32_e32 v3, 0x7e, v3, vcc_lo
; %bb.1754:
	s_and_not1_saveexec_b32 s7, s7
; %bb.1755:
	v_add_f32_e64 v3, 0x46800000, |v2|
; %bb.1756:
	s_or_b32 exec_lo, exec_lo, s7
                                        ; implicit-def: $vgpr7
.LBB9_1757:
	s_and_not1_saveexec_b32 s3, s3
; %bb.1758:
	v_mov_b32_e32 v3, 0x7f
	v_cmp_lt_u32_e32 vcc_lo, 0x7f800000, v7
	s_delay_alu instid0(VALU_DEP_2)
	v_cndmask_b32_e32 v3, 0x7e, v3, vcc_lo
; %bb.1759:
	s_or_b32 exec_lo, exec_lo, s3
	v_lshrrev_b32_e32 v2, 24, v2
	s_delay_alu instid0(VALU_DEP_1)
	v_and_or_b32 v2, 0x80, v2, v3
	global_store_b8 v[16:17], v2, off
.LBB9_1760:
	s_mov_b32 s3, 0
.LBB9_1761:
	s_delay_alu instid0(SALU_CYCLE_1)
	s_and_not1_b32 vcc_lo, exec_lo, s3
	s_cbranch_vccnz .LBB9_1771
; %bb.1762:
	s_wait_xcnt 0x0
	v_cvt_f32_f64_e32 v2, v[0:1]
	s_mov_b32 s3, exec_lo
                                        ; implicit-def: $vgpr3
	s_delay_alu instid0(VALU_DEP_1) | instskip(NEXT) | instid1(VALU_DEP_1)
	v_and_b32_e32 v7, 0x7fffffff, v2
	v_cmpx_gt_u32_e32 0x47800000, v7
	s_xor_b32 s3, exec_lo, s3
	s_cbranch_execz .LBB9_1768
; %bb.1763:
	s_mov_b32 s7, exec_lo
                                        ; implicit-def: $vgpr3
	v_cmpx_lt_u32_e32 0x387fffff, v7
	s_xor_b32 s7, exec_lo, s7
; %bb.1764:
	v_bfe_u32 v3, v2, 21, 1
	s_delay_alu instid0(VALU_DEP_1) | instskip(NEXT) | instid1(VALU_DEP_1)
	v_add3_u32 v3, v2, v3, 0x80fffff
	v_lshrrev_b32_e32 v3, 21, v3
; %bb.1765:
	s_and_not1_saveexec_b32 s7, s7
; %bb.1766:
	v_add_f32_e64 v3, 0x43000000, |v2|
; %bb.1767:
	s_or_b32 exec_lo, exec_lo, s7
                                        ; implicit-def: $vgpr7
.LBB9_1768:
	s_and_not1_saveexec_b32 s3, s3
; %bb.1769:
	v_mov_b32_e32 v3, 0x7f
	v_cmp_lt_u32_e32 vcc_lo, 0x7f800000, v7
	s_delay_alu instid0(VALU_DEP_2)
	v_cndmask_b32_e32 v3, 0x7c, v3, vcc_lo
; %bb.1770:
	s_or_b32 exec_lo, exec_lo, s3
	v_lshrrev_b32_e32 v2, 24, v2
	s_delay_alu instid0(VALU_DEP_1)
	v_and_or_b32 v2, 0x80, v2, v3
	global_store_b8 v[16:17], v2, off
.LBB9_1771:
	s_mov_b32 s3, 0
	s_mov_b32 s7, -1
.LBB9_1772:
	s_and_not1_b32 vcc_lo, exec_lo, s3
	s_mov_b32 s3, 0
	s_cbranch_vccnz .LBB9_1779
; %bb.1773:
	s_cmp_gt_i32 s2, 14
	s_mov_b32 s3, -1
	s_cbranch_scc0 .LBB9_1777
; %bb.1774:
	s_cmp_eq_u32 s2, 15
	s_mov_b32 s0, -1
	s_cbranch_scc0 .LBB9_1776
; %bb.1775:
	s_wait_xcnt 0x0
	v_cvt_f32_f64_e32 v2, v[0:1]
	s_mov_b32 s0, 0
	s_mov_b32 s7, -1
	s_delay_alu instid0(VALU_DEP_1) | instskip(SKIP_1) | instid1(VALU_DEP_2)
	v_bfe_u32 v3, v2, 16, 1
	v_cmp_o_f32_e32 vcc_lo, v2, v2
	v_add3_u32 v3, v2, v3, 0x7fff
	s_delay_alu instid0(VALU_DEP_1) | instskip(NEXT) | instid1(VALU_DEP_1)
	v_lshrrev_b32_e32 v3, 16, v3
	v_cndmask_b32_e32 v2, 0x7fc0, v3, vcc_lo
	global_store_b16 v[16:17], v2, off
.LBB9_1776:
	s_mov_b32 s3, 0
.LBB9_1777:
	s_delay_alu instid0(SALU_CYCLE_1)
	s_and_b32 vcc_lo, exec_lo, s3
	s_mov_b32 s3, 0
	s_cbranch_vccz .LBB9_1779
; %bb.1778:
	s_cmp_lg_u32 s2, 11
	s_mov_b32 s3, -1
	s_cselect_b32 s0, -1, 0
.LBB9_1779:
	s_delay_alu instid0(SALU_CYCLE_1)
	s_and_b32 vcc_lo, exec_lo, s0
	s_cbranch_vccnz .LBB9_2188
; %bb.1780:
	s_and_not1_b32 vcc_lo, exec_lo, s3
	s_cbranch_vccnz .LBB9_1782
.LBB9_1781:
	v_cmp_neq_f64_e32 vcc_lo, 0, v[0:1]
	s_mov_b32 s7, -1
	s_wait_xcnt 0x0
	v_cndmask_b32_e64 v2, 0, 1, vcc_lo
	global_store_b8 v[16:17], v2, off
.LBB9_1782:
	s_mov_b32 s0, 0
	s_branch .LBB9_1829
.LBB9_1783:
	s_mov_b32 s0, 0
	s_mov_b32 s3, 0
                                        ; implicit-def: $vgpr0_vgpr1
                                        ; implicit-def: $sgpr6
                                        ; implicit-def: $vgpr12_vgpr13
.LBB9_1784:
	s_and_not1_b32 s2, s8, exec_lo
	s_and_b32 s1, s1, exec_lo
	s_and_b32 s0, s0, exec_lo
	s_and_b32 s30, s3, exec_lo
	s_or_b32 s8, s2, s1
.LBB9_1785:
	s_wait_xcnt 0x0
	s_or_b32 exec_lo, exec_lo, s9
	s_and_saveexec_b32 s1, s8
	s_cbranch_execz .LBB9_1788
; %bb.1786:
	; divergent unreachable
	s_or_b32 exec_lo, exec_lo, s1
	s_and_saveexec_b32 s1, s30
	s_delay_alu instid0(SALU_CYCLE_1)
	s_xor_b32 s1, exec_lo, s1
	s_cbranch_execnz .LBB9_1789
.LBB9_1787:
	s_or_b32 exec_lo, exec_lo, s1
	s_and_saveexec_b32 s1, s0
	s_cbranch_execnz .LBB9_1790
	s_branch .LBB9_1827
.LBB9_1788:
	s_or_b32 exec_lo, exec_lo, s1
	s_and_saveexec_b32 s1, s30
	s_delay_alu instid0(SALU_CYCLE_1)
	s_xor_b32 s1, exec_lo, s1
	s_cbranch_execz .LBB9_1787
.LBB9_1789:
	v_cmp_neq_f64_e32 vcc_lo, 0, v[12:13]
	v_cndmask_b32_e64 v2, 0, 1, vcc_lo
	global_store_b8 v[0:1], v2, off
	s_wait_xcnt 0x0
	s_or_b32 exec_lo, exec_lo, s1
	s_and_saveexec_b32 s1, s0
	s_cbranch_execz .LBB9_1827
.LBB9_1790:
	s_sext_i32_i16 s1, s6
	s_mov_b32 s0, -1
	s_cmp_lt_i32 s1, 5
	s_cbranch_scc1 .LBB9_1811
; %bb.1791:
	s_cmp_lt_i32 s1, 8
	s_cbranch_scc1 .LBB9_1801
; %bb.1792:
	;; [unrolled: 3-line block ×3, first 2 shown]
	s_cmp_gt_i32 s1, 9
	s_cbranch_scc0 .LBB9_1795
; %bb.1794:
	v_mov_b32_e32 v14, 0
	s_mov_b32 s0, 0
	s_delay_alu instid0(VALU_DEP_1)
	v_mov_b32_e32 v15, v14
	global_store_b128 v[0:1], v[12:15], off
.LBB9_1795:
	s_and_not1_b32 vcc_lo, exec_lo, s0
	s_cbranch_vccnz .LBB9_1797
; %bb.1796:
	v_cvt_f32_f64_e32 v2, v[12:13]
	v_mov_b32_e32 v3, 0
	global_store_b64 v[0:1], v[2:3], off
.LBB9_1797:
	s_mov_b32 s0, 0
.LBB9_1798:
	s_delay_alu instid0(SALU_CYCLE_1)
	s_and_not1_b32 vcc_lo, exec_lo, s0
	s_cbranch_vccnz .LBB9_1800
; %bb.1799:
	s_wait_xcnt 0x0
	v_and_or_b32 v2, 0x1ff, v13, v12
	v_lshrrev_b32_e32 v3, 8, v13
	s_wait_loadcnt 0x0
	v_bfe_u32 v4, v13, 20, 11
	s_delay_alu instid0(VALU_DEP_3) | instskip(NEXT) | instid1(VALU_DEP_2)
	v_cmp_ne_u32_e32 vcc_lo, 0, v2
	v_sub_nc_u32_e32 v5, 0x3f1, v4
	v_add_nc_u32_e32 v4, 0xfffffc10, v4
	v_cndmask_b32_e64 v2, 0, 1, vcc_lo
	s_delay_alu instid0(VALU_DEP_1) | instskip(NEXT) | instid1(VALU_DEP_4)
	v_and_or_b32 v2, 0xffe, v3, v2
	v_med3_i32 v3, v5, 0, 13
	s_delay_alu instid0(VALU_DEP_2) | instskip(NEXT) | instid1(VALU_DEP_1)
	v_or_b32_e32 v5, 0x1000, v2
	v_lshrrev_b32_e32 v6, v3, v5
	s_delay_alu instid0(VALU_DEP_1) | instskip(NEXT) | instid1(VALU_DEP_1)
	v_lshlrev_b32_e32 v3, v3, v6
	v_cmp_ne_u32_e32 vcc_lo, v3, v5
	v_lshl_or_b32 v5, v4, 12, v2
	v_cndmask_b32_e64 v3, 0, 1, vcc_lo
	v_cmp_gt_i32_e32 vcc_lo, 1, v4
	s_delay_alu instid0(VALU_DEP_2) | instskip(NEXT) | instid1(VALU_DEP_1)
	v_or_b32_e32 v3, v6, v3
	v_cndmask_b32_e32 v3, v5, v3, vcc_lo
	s_delay_alu instid0(VALU_DEP_1) | instskip(NEXT) | instid1(VALU_DEP_1)
	v_dual_lshrrev_b32 v3, 2, v3 :: v_dual_bitop2_b32 v5, 7, v3 bitop3:0x40
	v_cmp_lt_i32_e32 vcc_lo, 5, v5
	v_cndmask_b32_e64 v6, 0, 1, vcc_lo
	v_cmp_eq_u32_e32 vcc_lo, 3, v5
	v_cndmask_b32_e64 v5, 0, 1, vcc_lo
	v_cmp_ne_u32_e32 vcc_lo, 0, v2
	s_delay_alu instid0(VALU_DEP_2) | instskip(NEXT) | instid1(VALU_DEP_1)
	v_or_b32_e32 v5, v5, v6
	v_dual_mov_b32 v6, 0x7e00 :: v_dual_add_nc_u32 v3, v3, v5
	s_delay_alu instid0(VALU_DEP_1) | instskip(SKIP_2) | instid1(VALU_DEP_4)
	v_cndmask_b32_e32 v2, 0x7c00, v6, vcc_lo
	v_cmp_gt_i32_e32 vcc_lo, 31, v4
	v_lshrrev_b32_e32 v5, 16, v13
	v_cndmask_b32_e32 v3, 0x7c00, v3, vcc_lo
	v_cmp_eq_u32_e32 vcc_lo, 0x40f, v4
	s_delay_alu instid0(VALU_DEP_2) | instskip(NEXT) | instid1(VALU_DEP_4)
	v_cndmask_b32_e32 v2, v3, v2, vcc_lo
	v_and_b32_e32 v3, 0x8000, v5
	s_delay_alu instid0(VALU_DEP_1)
	v_bitop3_b32 v2, v3, 0xffff, v2 bitop3:0xc8
	global_store_b32 v[0:1], v2, off
.LBB9_1800:
	s_mov_b32 s0, 0
.LBB9_1801:
	s_delay_alu instid0(SALU_CYCLE_1)
	s_and_not1_b32 vcc_lo, exec_lo, s0
	s_cbranch_vccnz .LBB9_1810
; %bb.1802:
	s_sext_i32_i16 s1, s6
	s_mov_b32 s0, -1
	s_cmp_lt_i32 s1, 6
	s_cbranch_scc1 .LBB9_1808
; %bb.1803:
	s_cmp_gt_i32 s1, 6
	s_cbranch_scc0 .LBB9_1805
; %bb.1804:
	s_mov_b32 s0, 0
	global_store_b64 v[0:1], v[12:13], off
.LBB9_1805:
	s_and_not1_b32 vcc_lo, exec_lo, s0
	s_cbranch_vccnz .LBB9_1807
; %bb.1806:
	s_wait_xcnt 0x0
	v_cvt_f32_f64_e32 v2, v[12:13]
	global_store_b32 v[0:1], v2, off
.LBB9_1807:
	s_mov_b32 s0, 0
.LBB9_1808:
	s_delay_alu instid0(SALU_CYCLE_1)
	s_and_not1_b32 vcc_lo, exec_lo, s0
	s_cbranch_vccnz .LBB9_1810
; %bb.1809:
	s_wait_xcnt 0x0
	v_and_or_b32 v2, 0x1ff, v13, v12
	v_lshrrev_b32_e32 v3, 8, v13
	s_wait_loadcnt 0x0
	v_bfe_u32 v4, v13, 20, 11
	s_delay_alu instid0(VALU_DEP_3) | instskip(NEXT) | instid1(VALU_DEP_2)
	v_cmp_ne_u32_e32 vcc_lo, 0, v2
	v_sub_nc_u32_e32 v5, 0x3f1, v4
	v_add_nc_u32_e32 v4, 0xfffffc10, v4
	v_cndmask_b32_e64 v2, 0, 1, vcc_lo
	s_delay_alu instid0(VALU_DEP_1) | instskip(NEXT) | instid1(VALU_DEP_4)
	v_and_or_b32 v2, 0xffe, v3, v2
	v_med3_i32 v3, v5, 0, 13
	s_delay_alu instid0(VALU_DEP_2) | instskip(NEXT) | instid1(VALU_DEP_1)
	v_or_b32_e32 v5, 0x1000, v2
	v_lshrrev_b32_e32 v6, v3, v5
	s_delay_alu instid0(VALU_DEP_1) | instskip(NEXT) | instid1(VALU_DEP_1)
	v_lshlrev_b32_e32 v3, v3, v6
	v_cmp_ne_u32_e32 vcc_lo, v3, v5
	v_lshl_or_b32 v5, v4, 12, v2
	v_cndmask_b32_e64 v3, 0, 1, vcc_lo
	v_cmp_gt_i32_e32 vcc_lo, 1, v4
	s_delay_alu instid0(VALU_DEP_2) | instskip(NEXT) | instid1(VALU_DEP_1)
	v_or_b32_e32 v3, v6, v3
	v_cndmask_b32_e32 v3, v5, v3, vcc_lo
	s_delay_alu instid0(VALU_DEP_1) | instskip(NEXT) | instid1(VALU_DEP_1)
	v_dual_lshrrev_b32 v3, 2, v3 :: v_dual_bitop2_b32 v5, 7, v3 bitop3:0x40
	v_cmp_lt_i32_e32 vcc_lo, 5, v5
	v_cndmask_b32_e64 v6, 0, 1, vcc_lo
	v_cmp_eq_u32_e32 vcc_lo, 3, v5
	v_cndmask_b32_e64 v5, 0, 1, vcc_lo
	v_cmp_ne_u32_e32 vcc_lo, 0, v2
	s_delay_alu instid0(VALU_DEP_2) | instskip(NEXT) | instid1(VALU_DEP_1)
	v_or_b32_e32 v5, v5, v6
	v_dual_mov_b32 v6, 0x7e00 :: v_dual_add_nc_u32 v3, v3, v5
	s_delay_alu instid0(VALU_DEP_1) | instskip(SKIP_1) | instid1(VALU_DEP_3)
	v_cndmask_b32_e32 v2, 0x7c00, v6, vcc_lo
	v_cmp_gt_i32_e32 vcc_lo, 31, v4
	v_cndmask_b32_e32 v3, 0x7c00, v3, vcc_lo
	v_cmp_eq_u32_e32 vcc_lo, 0x40f, v4
	s_delay_alu instid0(VALU_DEP_2) | instskip(NEXT) | instid1(VALU_DEP_1)
	v_dual_cndmask_b32 v2, v3, v2 :: v_dual_lshrrev_b32 v3, 16, v13
	v_and_or_b32 v2, 0x8000, v3, v2
	global_store_b16 v[0:1], v2, off
.LBB9_1810:
	s_mov_b32 s0, 0
.LBB9_1811:
	s_delay_alu instid0(SALU_CYCLE_1)
	s_and_not1_b32 vcc_lo, exec_lo, s0
	s_cbranch_vccnz .LBB9_1827
; %bb.1812:
	s_sext_i32_i16 s1, s6
	s_mov_b32 s0, -1
	s_cmp_lt_i32 s1, 2
	s_cbranch_scc1 .LBB9_1822
; %bb.1813:
	s_cmp_lt_i32 s1, 3
	s_cbranch_scc1 .LBB9_1819
; %bb.1814:
	s_cmp_gt_i32 s1, 3
	s_cbranch_scc0 .LBB9_1816
; %bb.1815:
	s_wait_xcnt 0x0
	v_trunc_f64_e32 v[2:3], v[12:13]
	s_mov_b32 s0, 0
	s_wait_loadcnt 0x0
	s_delay_alu instid0(VALU_DEP_1) | instskip(NEXT) | instid1(VALU_DEP_1)
	v_ldexp_f64 v[4:5], v[2:3], 0xffffffe0
	v_floor_f64_e32 v[4:5], v[4:5]
	s_delay_alu instid0(VALU_DEP_1) | instskip(SKIP_1) | instid1(VALU_DEP_2)
	v_fmamk_f64 v[2:3], v[4:5], 0xc1f00000, v[2:3]
	v_cvt_i32_f64_e32 v5, v[4:5]
	v_cvt_u32_f64_e32 v4, v[2:3]
	global_store_b64 v[0:1], v[4:5], off
.LBB9_1816:
	s_and_not1_b32 vcc_lo, exec_lo, s0
	s_cbranch_vccnz .LBB9_1818
; %bb.1817:
	s_wait_xcnt 0x0
	v_cvt_i32_f64_e32 v2, v[12:13]
	global_store_b32 v[0:1], v2, off
.LBB9_1818:
	s_mov_b32 s0, 0
.LBB9_1819:
	s_delay_alu instid0(SALU_CYCLE_1)
	s_and_not1_b32 vcc_lo, exec_lo, s0
	s_cbranch_vccnz .LBB9_1821
; %bb.1820:
	s_wait_xcnt 0x0
	v_cvt_i32_f64_e32 v2, v[12:13]
	global_store_b16 v[0:1], v2, off
.LBB9_1821:
	s_mov_b32 s0, 0
.LBB9_1822:
	s_delay_alu instid0(SALU_CYCLE_1)
	s_and_not1_b32 vcc_lo, exec_lo, s0
	s_cbranch_vccnz .LBB9_1827
; %bb.1823:
	s_sext_i32_i16 s0, s6
	s_delay_alu instid0(SALU_CYCLE_1)
	s_cmp_gt_i32 s0, 0
	s_mov_b32 s0, -1
	s_cbranch_scc0 .LBB9_1825
; %bb.1824:
	s_wait_xcnt 0x0
	v_cvt_i32_f64_e32 v2, v[12:13]
	s_mov_b32 s0, 0
	global_store_b8 v[0:1], v2, off
.LBB9_1825:
	s_and_not1_b32 vcc_lo, exec_lo, s0
	s_cbranch_vccnz .LBB9_1827
; %bb.1826:
	s_wait_xcnt 0x0
	v_trunc_f64_e32 v[2:3], v[12:13]
	s_wait_loadcnt 0x0
	s_delay_alu instid0(VALU_DEP_1) | instskip(NEXT) | instid1(VALU_DEP_1)
	v_ldexp_f64 v[4:5], v[2:3], 0xffffffe0
	v_floor_f64_e32 v[4:5], v[4:5]
	s_delay_alu instid0(VALU_DEP_1) | instskip(NEXT) | instid1(VALU_DEP_1)
	v_fmamk_f64 v[2:3], v[4:5], 0xc1f00000, v[2:3]
	v_cvt_u32_f64_e32 v2, v[2:3]
	global_store_b8 v[0:1], v2, off
	s_endpgm
.LBB9_1827:
	s_endpgm
.LBB9_1828:
	s_mov_b32 s0, -1
	s_mov_b32 s7, 0
.LBB9_1829:
	s_and_b32 vcc_lo, exec_lo, s0
	s_cbranch_vccz .LBB9_1868
; %bb.1830:
	s_and_b32 s0, 0xffff, s6
	s_wait_xcnt 0x0
	s_mov_b32 s2, -1
	s_cmp_lt_i32 s0, 5
	s_cbranch_scc1 .LBB9_1851
; %bb.1831:
	s_cmp_lt_i32 s0, 8
	s_cbranch_scc1 .LBB9_1841
; %bb.1832:
	;; [unrolled: 3-line block ×3, first 2 shown]
	s_cmp_gt_i32 s0, 9
	s_cbranch_scc0 .LBB9_1835
; %bb.1834:
	v_mov_b32_e32 v2, 0
	s_mov_b32 s2, 0
	s_delay_alu instid0(VALU_DEP_1)
	v_mov_b32_e32 v3, v2
	global_store_b128 v[16:17], v[0:3], off
.LBB9_1835:
	s_and_not1_b32 vcc_lo, exec_lo, s2
	s_cbranch_vccnz .LBB9_1837
; %bb.1836:
	s_wait_xcnt 0x0
	v_cvt_f32_f64_e32 v2, v[0:1]
	v_mov_b32_e32 v3, 0
	global_store_b64 v[16:17], v[2:3], off
.LBB9_1837:
	s_mov_b32 s2, 0
.LBB9_1838:
	s_delay_alu instid0(SALU_CYCLE_1)
	s_and_not1_b32 vcc_lo, exec_lo, s2
	s_cbranch_vccnz .LBB9_1840
; %bb.1839:
	s_wait_xcnt 0x0
	v_and_or_b32 v2, 0x1ff, v1, v0
	v_lshrrev_b32_e32 v3, 8, v1
	v_bfe_u32 v7, v1, 20, 11
	s_delay_alu instid0(VALU_DEP_3) | instskip(NEXT) | instid1(VALU_DEP_2)
	v_cmp_ne_u32_e32 vcc_lo, 0, v2
	v_sub_nc_u32_e32 v11, 0x3f1, v7
	v_add_nc_u32_e32 v7, 0xfffffc10, v7
	v_cndmask_b32_e64 v2, 0, 1, vcc_lo
	s_delay_alu instid0(VALU_DEP_1) | instskip(NEXT) | instid1(VALU_DEP_4)
	v_and_or_b32 v2, 0xffe, v3, v2
	v_med3_i32 v3, v11, 0, 13
	s_delay_alu instid0(VALU_DEP_2) | instskip(NEXT) | instid1(VALU_DEP_1)
	v_or_b32_e32 v11, 0x1000, v2
	v_lshrrev_b32_e32 v15, v3, v11
	s_delay_alu instid0(VALU_DEP_1) | instskip(NEXT) | instid1(VALU_DEP_1)
	v_lshlrev_b32_e32 v3, v3, v15
	v_cmp_ne_u32_e32 vcc_lo, v3, v11
	v_lshl_or_b32 v11, v7, 12, v2
	v_cndmask_b32_e64 v3, 0, 1, vcc_lo
	v_cmp_gt_i32_e32 vcc_lo, 1, v7
	s_delay_alu instid0(VALU_DEP_2) | instskip(NEXT) | instid1(VALU_DEP_1)
	v_or_b32_e32 v3, v15, v3
	v_cndmask_b32_e32 v3, v11, v3, vcc_lo
	s_delay_alu instid0(VALU_DEP_1) | instskip(NEXT) | instid1(VALU_DEP_1)
	v_dual_lshrrev_b32 v3, 2, v3 :: v_dual_bitop2_b32 v11, 7, v3 bitop3:0x40
	v_cmp_lt_i32_e32 vcc_lo, 5, v11
	v_cndmask_b32_e64 v15, 0, 1, vcc_lo
	v_cmp_eq_u32_e32 vcc_lo, 3, v11
	v_cndmask_b32_e64 v11, 0, 1, vcc_lo
	v_cmp_ne_u32_e32 vcc_lo, 0, v2
	s_delay_alu instid0(VALU_DEP_2) | instskip(SKIP_1) | instid1(VALU_DEP_2)
	v_or_b32_e32 v11, v11, v15
	v_mov_b32_e32 v15, 0x7e00
	v_add_nc_u32_e32 v3, v3, v11
	s_delay_alu instid0(VALU_DEP_2) | instskip(SKIP_2) | instid1(VALU_DEP_4)
	v_cndmask_b32_e32 v2, 0x7c00, v15, vcc_lo
	v_cmp_gt_i32_e32 vcc_lo, 31, v7
	v_lshrrev_b32_e32 v11, 16, v1
	v_cndmask_b32_e32 v3, 0x7c00, v3, vcc_lo
	v_cmp_eq_u32_e32 vcc_lo, 0x40f, v7
	s_delay_alu instid0(VALU_DEP_2) | instskip(NEXT) | instid1(VALU_DEP_4)
	v_cndmask_b32_e32 v2, v3, v2, vcc_lo
	v_and_b32_e32 v3, 0x8000, v11
	s_delay_alu instid0(VALU_DEP_1)
	v_bitop3_b32 v2, v3, 0xffff, v2 bitop3:0xc8
	global_store_b32 v[16:17], v2, off
.LBB9_1840:
	s_mov_b32 s2, 0
.LBB9_1841:
	s_delay_alu instid0(SALU_CYCLE_1)
	s_and_not1_b32 vcc_lo, exec_lo, s2
	s_cbranch_vccnz .LBB9_1850
; %bb.1842:
	s_cmp_lt_i32 s0, 6
	s_mov_b32 s2, -1
	s_cbranch_scc1 .LBB9_1848
; %bb.1843:
	s_cmp_gt_i32 s0, 6
	s_cbranch_scc0 .LBB9_1845
; %bb.1844:
	s_mov_b32 s2, 0
	global_store_b64 v[16:17], v[0:1], off
.LBB9_1845:
	s_and_not1_b32 vcc_lo, exec_lo, s2
	s_cbranch_vccnz .LBB9_1847
; %bb.1846:
	s_wait_xcnt 0x0
	v_cvt_f32_f64_e32 v2, v[0:1]
	global_store_b32 v[16:17], v2, off
.LBB9_1847:
	s_mov_b32 s2, 0
.LBB9_1848:
	s_delay_alu instid0(SALU_CYCLE_1)
	s_and_not1_b32 vcc_lo, exec_lo, s2
	s_cbranch_vccnz .LBB9_1850
; %bb.1849:
	s_wait_xcnt 0x0
	v_and_or_b32 v2, 0x1ff, v1, v0
	v_lshrrev_b32_e32 v3, 8, v1
	v_bfe_u32 v7, v1, 20, 11
	s_delay_alu instid0(VALU_DEP_3) | instskip(NEXT) | instid1(VALU_DEP_2)
	v_cmp_ne_u32_e32 vcc_lo, 0, v2
	v_sub_nc_u32_e32 v11, 0x3f1, v7
	v_add_nc_u32_e32 v7, 0xfffffc10, v7
	v_cndmask_b32_e64 v2, 0, 1, vcc_lo
	s_delay_alu instid0(VALU_DEP_1) | instskip(NEXT) | instid1(VALU_DEP_4)
	v_and_or_b32 v2, 0xffe, v3, v2
	v_med3_i32 v3, v11, 0, 13
	s_delay_alu instid0(VALU_DEP_2) | instskip(NEXT) | instid1(VALU_DEP_1)
	v_or_b32_e32 v11, 0x1000, v2
	v_lshrrev_b32_e32 v15, v3, v11
	s_delay_alu instid0(VALU_DEP_1) | instskip(NEXT) | instid1(VALU_DEP_1)
	v_lshlrev_b32_e32 v3, v3, v15
	v_cmp_ne_u32_e32 vcc_lo, v3, v11
	v_lshl_or_b32 v11, v7, 12, v2
	v_cndmask_b32_e64 v3, 0, 1, vcc_lo
	v_cmp_gt_i32_e32 vcc_lo, 1, v7
	s_delay_alu instid0(VALU_DEP_2) | instskip(NEXT) | instid1(VALU_DEP_1)
	v_or_b32_e32 v3, v15, v3
	v_cndmask_b32_e32 v3, v11, v3, vcc_lo
	s_delay_alu instid0(VALU_DEP_1) | instskip(NEXT) | instid1(VALU_DEP_1)
	v_dual_lshrrev_b32 v3, 2, v3 :: v_dual_bitop2_b32 v11, 7, v3 bitop3:0x40
	v_cmp_lt_i32_e32 vcc_lo, 5, v11
	v_cndmask_b32_e64 v15, 0, 1, vcc_lo
	v_cmp_eq_u32_e32 vcc_lo, 3, v11
	v_cndmask_b32_e64 v11, 0, 1, vcc_lo
	v_cmp_ne_u32_e32 vcc_lo, 0, v2
	s_delay_alu instid0(VALU_DEP_2) | instskip(SKIP_1) | instid1(VALU_DEP_2)
	v_or_b32_e32 v11, v11, v15
	v_mov_b32_e32 v15, 0x7e00
	v_add_nc_u32_e32 v3, v3, v11
	s_delay_alu instid0(VALU_DEP_2) | instskip(SKIP_1) | instid1(VALU_DEP_3)
	v_cndmask_b32_e32 v2, 0x7c00, v15, vcc_lo
	v_cmp_gt_i32_e32 vcc_lo, 31, v7
	v_cndmask_b32_e32 v3, 0x7c00, v3, vcc_lo
	v_cmp_eq_u32_e32 vcc_lo, 0x40f, v7
	s_delay_alu instid0(VALU_DEP_2) | instskip(NEXT) | instid1(VALU_DEP_1)
	v_dual_cndmask_b32 v2, v3, v2 :: v_dual_lshrrev_b32 v3, 16, v1
	v_and_or_b32 v2, 0x8000, v3, v2
	global_store_b16 v[16:17], v2, off
.LBB9_1850:
	s_mov_b32 s2, 0
.LBB9_1851:
	s_delay_alu instid0(SALU_CYCLE_1)
	s_and_not1_b32 vcc_lo, exec_lo, s2
	s_cbranch_vccnz .LBB9_1867
; %bb.1852:
	s_cmp_lt_i32 s0, 2
	s_mov_b32 s2, -1
	s_cbranch_scc1 .LBB9_1862
; %bb.1853:
	s_cmp_lt_i32 s0, 3
	s_cbranch_scc1 .LBB9_1859
; %bb.1854:
	s_cmp_gt_i32 s0, 3
	s_cbranch_scc0 .LBB9_1856
; %bb.1855:
	s_wait_xcnt 0x0
	v_trunc_f64_e32 v[2:3], v[0:1]
	s_mov_b32 s2, 0
	s_delay_alu instid0(VALU_DEP_1) | instskip(NEXT) | instid1(VALU_DEP_1)
	v_ldexp_f64 v[18:19], v[2:3], 0xffffffe0
	v_floor_f64_e32 v[18:19], v[18:19]
	s_delay_alu instid0(VALU_DEP_1) | instskip(SKIP_1) | instid1(VALU_DEP_2)
	v_fmamk_f64 v[2:3], v[18:19], 0xc1f00000, v[2:3]
	v_cvt_i32_f64_e32 v19, v[18:19]
	v_cvt_u32_f64_e32 v18, v[2:3]
	global_store_b64 v[16:17], v[18:19], off
.LBB9_1856:
	s_and_not1_b32 vcc_lo, exec_lo, s2
	s_cbranch_vccnz .LBB9_1858
; %bb.1857:
	s_wait_xcnt 0x0
	v_cvt_i32_f64_e32 v2, v[0:1]
	global_store_b32 v[16:17], v2, off
.LBB9_1858:
	s_mov_b32 s2, 0
.LBB9_1859:
	s_delay_alu instid0(SALU_CYCLE_1)
	s_and_not1_b32 vcc_lo, exec_lo, s2
	s_cbranch_vccnz .LBB9_1861
; %bb.1860:
	s_wait_xcnt 0x0
	v_cvt_i32_f64_e32 v2, v[0:1]
	global_store_b16 v[16:17], v2, off
.LBB9_1861:
	s_mov_b32 s2, 0
.LBB9_1862:
	s_delay_alu instid0(SALU_CYCLE_1)
	s_and_not1_b32 vcc_lo, exec_lo, s2
	s_cbranch_vccnz .LBB9_1867
; %bb.1863:
	s_cmp_gt_i32 s0, 0
	s_mov_b32 s0, -1
	s_cbranch_scc0 .LBB9_1865
; %bb.1864:
	s_wait_xcnt 0x0
	v_cvt_i32_f64_e32 v2, v[0:1]
	s_mov_b32 s0, 0
	global_store_b8 v[16:17], v2, off
.LBB9_1865:
	s_and_not1_b32 vcc_lo, exec_lo, s0
	s_cbranch_vccnz .LBB9_1867
; %bb.1866:
	s_wait_xcnt 0x0
	v_trunc_f64_e32 v[0:1], v[0:1]
	s_delay_alu instid0(VALU_DEP_1) | instskip(NEXT) | instid1(VALU_DEP_1)
	v_ldexp_f64 v[2:3], v[0:1], 0xffffffe0
	v_floor_f64_e32 v[2:3], v[2:3]
	s_delay_alu instid0(VALU_DEP_1) | instskip(NEXT) | instid1(VALU_DEP_1)
	v_fmamk_f64 v[0:1], v[2:3], 0xc1f00000, v[0:1]
	v_cvt_u32_f64_e32 v0, v[0:1]
	global_store_b8 v[16:17], v0, off
.LBB9_1867:
	s_mov_b32 s7, -1
.LBB9_1868:
	s_delay_alu instid0(SALU_CYCLE_1)
	s_and_not1_b32 vcc_lo, exec_lo, s7
	s_cbranch_vccnz .LBB9_2183
; %bb.1869:
	s_wait_xcnt 0x0
	v_mov_b32_e32 v7, 0
	s_and_b32 s2, 0xffff, s6
	s_delay_alu instid0(SALU_CYCLE_1) | instskip(NEXT) | instid1(VALU_DEP_1)
	s_cmp_lt_i32 s2, 11
	v_add_nc_u64_e32 v[0:1], s[4:5], v[6:7]
	s_cbranch_scc1 .LBB9_1947
; %bb.1870:
	s_mov_b32 s10, -1
	s_mov_b32 s3, 0
	s_cmp_gt_i32 s2, 25
	s_mov_b32 s7, 0
	s_mov_b32 s0, 0
	s_cbranch_scc0 .LBB9_1903
; %bb.1871:
	s_cmp_gt_i32 s2, 28
	s_cbranch_scc0 .LBB9_1886
; %bb.1872:
	s_cmp_gt_i32 s2, 43
	;; [unrolled: 3-line block ×3, first 2 shown]
	s_cbranch_scc0 .LBB9_1876
; %bb.1874:
	s_mov_b32 s0, -1
	s_mov_b32 s10, 0
	s_cmp_eq_u32 s2, 46
	s_cbranch_scc0 .LBB9_1876
; %bb.1875:
	v_cvt_f32_f64_e32 v2, v[4:5]
	s_mov_b32 s0, 0
	s_mov_b32 s7, -1
	s_delay_alu instid0(VALU_DEP_1) | instskip(SKIP_1) | instid1(VALU_DEP_2)
	v_bfe_u32 v3, v2, 16, 1
	v_cmp_o_f32_e32 vcc_lo, v2, v2
	v_add3_u32 v3, v2, v3, 0x7fff
	s_delay_alu instid0(VALU_DEP_1) | instskip(NEXT) | instid1(VALU_DEP_1)
	v_lshrrev_b32_e32 v3, 16, v3
	v_cndmask_b32_e32 v2, 0x7fc0, v3, vcc_lo
	global_store_b32 v[0:1], v2, off
.LBB9_1876:
	s_and_b32 vcc_lo, exec_lo, s10
	s_cbranch_vccz .LBB9_1881
; %bb.1877:
	s_cmp_eq_u32 s2, 44
	s_mov_b32 s0, -1
	s_cbranch_scc0 .LBB9_1881
; %bb.1878:
	s_wait_xcnt 0x0
	v_cvt_f32_f64_e32 v2, v[4:5]
	v_mov_b32_e32 v3, 0xff
	s_mov_b32 s7, exec_lo
	s_delay_alu instid0(VALU_DEP_2) | instskip(NEXT) | instid1(VALU_DEP_1)
	v_bfe_u32 v6, v2, 23, 8
	v_cmpx_ne_u32_e32 0xff, v6
	s_cbranch_execz .LBB9_1880
; %bb.1879:
	v_and_b32_e32 v3, 0x400000, v2
	v_and_or_b32 v6, 0x3fffff, v2, v6
	v_lshrrev_b32_e32 v2, 23, v2
	s_delay_alu instid0(VALU_DEP_3) | instskip(NEXT) | instid1(VALU_DEP_3)
	v_cmp_ne_u32_e32 vcc_lo, 0, v3
	v_cmp_ne_u32_e64 s0, 0, v6
	s_and_b32 s0, vcc_lo, s0
	s_delay_alu instid0(SALU_CYCLE_1) | instskip(NEXT) | instid1(VALU_DEP_1)
	v_cndmask_b32_e64 v3, 0, 1, s0
	v_add_nc_u32_e32 v3, v2, v3
.LBB9_1880:
	s_or_b32 exec_lo, exec_lo, s7
	s_mov_b32 s0, 0
	s_mov_b32 s7, -1
	global_store_b8 v[0:1], v3, off
.LBB9_1881:
	s_mov_b32 s10, 0
.LBB9_1882:
	s_delay_alu instid0(SALU_CYCLE_1)
	s_and_b32 vcc_lo, exec_lo, s10
	s_cbranch_vccz .LBB9_1885
; %bb.1883:
	s_cmp_eq_u32 s2, 29
	s_mov_b32 s0, -1
	s_cbranch_scc0 .LBB9_1885
; %bb.1884:
	s_wait_xcnt 0x0
	v_trunc_f64_e32 v[2:3], v[4:5]
	s_mov_b32 s0, 0
	s_mov_b32 s7, -1
	s_delay_alu instid0(VALU_DEP_1) | instskip(NEXT) | instid1(VALU_DEP_1)
	v_ldexp_f64 v[6:7], v[2:3], 0xffffffe0
	v_floor_f64_e32 v[6:7], v[6:7]
	s_delay_alu instid0(VALU_DEP_1) | instskip(SKIP_1) | instid1(VALU_DEP_2)
	v_fmamk_f64 v[2:3], v[6:7], 0xc1f00000, v[2:3]
	v_cvt_u32_f64_e32 v7, v[6:7]
	v_cvt_u32_f64_e32 v6, v[2:3]
	global_store_b64 v[0:1], v[6:7], off
.LBB9_1885:
	s_mov_b32 s10, 0
.LBB9_1886:
	s_delay_alu instid0(SALU_CYCLE_1)
	s_and_b32 vcc_lo, exec_lo, s10
	s_cbranch_vccz .LBB9_1902
; %bb.1887:
	s_cmp_lt_i32 s2, 27
	s_mov_b32 s7, -1
	s_cbranch_scc1 .LBB9_1893
; %bb.1888:
	s_cmp_gt_i32 s2, 27
	s_cbranch_scc0 .LBB9_1890
; %bb.1889:
	s_wait_xcnt 0x0
	v_cvt_u32_f64_e32 v2, v[4:5]
	s_mov_b32 s7, 0
	global_store_b32 v[0:1], v2, off
.LBB9_1890:
	s_and_not1_b32 vcc_lo, exec_lo, s7
	s_cbranch_vccnz .LBB9_1892
; %bb.1891:
	s_wait_xcnt 0x0
	v_cvt_u32_f64_e32 v2, v[4:5]
	global_store_b16 v[0:1], v2, off
.LBB9_1892:
	s_mov_b32 s7, 0
.LBB9_1893:
	s_delay_alu instid0(SALU_CYCLE_1)
	s_and_not1_b32 vcc_lo, exec_lo, s7
	s_cbranch_vccnz .LBB9_1901
; %bb.1894:
	s_wait_xcnt 0x0
	v_cvt_f32_f64_e32 v2, v[4:5]
	v_mov_b32_e32 v6, 0x80
	s_mov_b32 s7, exec_lo
	s_delay_alu instid0(VALU_DEP_2) | instskip(NEXT) | instid1(VALU_DEP_1)
	v_and_b32_e32 v3, 0x7fffffff, v2
	v_cmpx_gt_u32_e32 0x43800000, v3
	s_cbranch_execz .LBB9_1900
; %bb.1895:
	v_cmp_lt_u32_e32 vcc_lo, 0x3bffffff, v3
	s_mov_b32 s10, 0
                                        ; implicit-def: $vgpr3
	s_and_saveexec_b32 s11, vcc_lo
	s_delay_alu instid0(SALU_CYCLE_1)
	s_xor_b32 s11, exec_lo, s11
	s_cbranch_execz .LBB9_2191
; %bb.1896:
	v_bfe_u32 v3, v2, 20, 1
	s_mov_b32 s10, exec_lo
	s_delay_alu instid0(VALU_DEP_1) | instskip(NEXT) | instid1(VALU_DEP_1)
	v_add3_u32 v3, v2, v3, 0x487ffff
	v_lshrrev_b32_e32 v3, 20, v3
	s_and_not1_saveexec_b32 s11, s11
	s_cbranch_execnz .LBB9_2192
.LBB9_1897:
	s_or_b32 exec_lo, exec_lo, s11
	v_mov_b32_e32 v6, 0
	s_and_saveexec_b32 s11, s10
.LBB9_1898:
	v_lshrrev_b32_e32 v2, 24, v2
	s_delay_alu instid0(VALU_DEP_1)
	v_and_or_b32 v6, 0x80, v2, v3
.LBB9_1899:
	s_or_b32 exec_lo, exec_lo, s11
.LBB9_1900:
	s_delay_alu instid0(SALU_CYCLE_1)
	s_or_b32 exec_lo, exec_lo, s7
	global_store_b8 v[0:1], v6, off
.LBB9_1901:
	s_mov_b32 s7, -1
.LBB9_1902:
	s_mov_b32 s10, 0
.LBB9_1903:
	s_delay_alu instid0(SALU_CYCLE_1)
	s_and_b32 vcc_lo, exec_lo, s10
	s_cbranch_vccz .LBB9_1943
; %bb.1904:
	s_cmp_gt_i32 s2, 22
	s_mov_b32 s3, -1
	s_cbranch_scc0 .LBB9_1936
; %bb.1905:
	s_cmp_lt_i32 s2, 24
	s_cbranch_scc1 .LBB9_1925
; %bb.1906:
	s_cmp_gt_i32 s2, 24
	s_cbranch_scc0 .LBB9_1914
; %bb.1907:
	s_wait_xcnt 0x0
	v_cvt_f32_f64_e32 v2, v[4:5]
	v_mov_b32_e32 v6, 0x80
	s_mov_b32 s3, exec_lo
	s_delay_alu instid0(VALU_DEP_2) | instskip(NEXT) | instid1(VALU_DEP_1)
	v_and_b32_e32 v3, 0x7fffffff, v2
	v_cmpx_gt_u32_e32 0x47800000, v3
	s_cbranch_execz .LBB9_1913
; %bb.1908:
	v_cmp_lt_u32_e32 vcc_lo, 0x37ffffff, v3
	s_mov_b32 s7, 0
                                        ; implicit-def: $vgpr3
	s_and_saveexec_b32 s10, vcc_lo
	s_delay_alu instid0(SALU_CYCLE_1)
	s_xor_b32 s10, exec_lo, s10
	s_cbranch_execz .LBB9_2194
; %bb.1909:
	v_bfe_u32 v3, v2, 21, 1
	s_mov_b32 s7, exec_lo
	s_delay_alu instid0(VALU_DEP_1) | instskip(NEXT) | instid1(VALU_DEP_1)
	v_add3_u32 v3, v2, v3, 0x88fffff
	v_lshrrev_b32_e32 v3, 21, v3
	s_and_not1_saveexec_b32 s10, s10
	s_cbranch_execnz .LBB9_2195
.LBB9_1910:
	s_or_b32 exec_lo, exec_lo, s10
	v_mov_b32_e32 v6, 0
	s_and_saveexec_b32 s10, s7
.LBB9_1911:
	v_lshrrev_b32_e32 v2, 24, v2
	s_delay_alu instid0(VALU_DEP_1)
	v_and_or_b32 v6, 0x80, v2, v3
.LBB9_1912:
	s_or_b32 exec_lo, exec_lo, s10
.LBB9_1913:
	s_delay_alu instid0(SALU_CYCLE_1)
	s_or_b32 exec_lo, exec_lo, s3
	s_mov_b32 s3, 0
	global_store_b8 v[0:1], v6, off
.LBB9_1914:
	s_and_b32 vcc_lo, exec_lo, s3
	s_cbranch_vccz .LBB9_1924
; %bb.1915:
	s_wait_xcnt 0x0
	v_cvt_f32_f64_e32 v2, v[4:5]
	s_mov_b32 s3, exec_lo
                                        ; implicit-def: $vgpr3
	s_delay_alu instid0(VALU_DEP_1) | instskip(NEXT) | instid1(VALU_DEP_1)
	v_and_b32_e32 v6, 0x7fffffff, v2
	v_cmpx_gt_u32_e32 0x43f00000, v6
	s_xor_b32 s3, exec_lo, s3
	s_cbranch_execz .LBB9_1921
; %bb.1916:
	s_mov_b32 s7, exec_lo
                                        ; implicit-def: $vgpr3
	v_cmpx_lt_u32_e32 0x3c7fffff, v6
	s_xor_b32 s7, exec_lo, s7
; %bb.1917:
	v_bfe_u32 v3, v2, 20, 1
	s_delay_alu instid0(VALU_DEP_1) | instskip(NEXT) | instid1(VALU_DEP_1)
	v_add3_u32 v3, v2, v3, 0x407ffff
	v_and_b32_e32 v6, 0xff00000, v3
	v_lshrrev_b32_e32 v3, 20, v3
	s_delay_alu instid0(VALU_DEP_2) | instskip(NEXT) | instid1(VALU_DEP_2)
	v_cmp_ne_u32_e32 vcc_lo, 0x7f00000, v6
	v_cndmask_b32_e32 v3, 0x7e, v3, vcc_lo
; %bb.1918:
	s_and_not1_saveexec_b32 s7, s7
; %bb.1919:
	v_add_f32_e64 v3, 0x46800000, |v2|
; %bb.1920:
	s_or_b32 exec_lo, exec_lo, s7
                                        ; implicit-def: $vgpr6
.LBB9_1921:
	s_and_not1_saveexec_b32 s3, s3
; %bb.1922:
	v_mov_b32_e32 v3, 0x7f
	v_cmp_lt_u32_e32 vcc_lo, 0x7f800000, v6
	s_delay_alu instid0(VALU_DEP_2)
	v_cndmask_b32_e32 v3, 0x7e, v3, vcc_lo
; %bb.1923:
	s_or_b32 exec_lo, exec_lo, s3
	v_lshrrev_b32_e32 v2, 24, v2
	s_delay_alu instid0(VALU_DEP_1)
	v_and_or_b32 v2, 0x80, v2, v3
	global_store_b8 v[0:1], v2, off
.LBB9_1924:
	s_mov_b32 s3, 0
.LBB9_1925:
	s_delay_alu instid0(SALU_CYCLE_1)
	s_and_not1_b32 vcc_lo, exec_lo, s3
	s_cbranch_vccnz .LBB9_1935
; %bb.1926:
	s_wait_xcnt 0x0
	v_cvt_f32_f64_e32 v2, v[4:5]
	s_mov_b32 s3, exec_lo
                                        ; implicit-def: $vgpr3
	s_delay_alu instid0(VALU_DEP_1) | instskip(NEXT) | instid1(VALU_DEP_1)
	v_and_b32_e32 v6, 0x7fffffff, v2
	v_cmpx_gt_u32_e32 0x47800000, v6
	s_xor_b32 s3, exec_lo, s3
	s_cbranch_execz .LBB9_1932
; %bb.1927:
	s_mov_b32 s7, exec_lo
                                        ; implicit-def: $vgpr3
	v_cmpx_lt_u32_e32 0x387fffff, v6
	s_xor_b32 s7, exec_lo, s7
; %bb.1928:
	v_bfe_u32 v3, v2, 21, 1
	s_delay_alu instid0(VALU_DEP_1) | instskip(NEXT) | instid1(VALU_DEP_1)
	v_add3_u32 v3, v2, v3, 0x80fffff
	v_lshrrev_b32_e32 v3, 21, v3
; %bb.1929:
	s_and_not1_saveexec_b32 s7, s7
; %bb.1930:
	v_add_f32_e64 v3, 0x43000000, |v2|
; %bb.1931:
	s_or_b32 exec_lo, exec_lo, s7
                                        ; implicit-def: $vgpr6
.LBB9_1932:
	s_and_not1_saveexec_b32 s3, s3
; %bb.1933:
	v_mov_b32_e32 v3, 0x7f
	v_cmp_lt_u32_e32 vcc_lo, 0x7f800000, v6
	s_delay_alu instid0(VALU_DEP_2)
	v_cndmask_b32_e32 v3, 0x7c, v3, vcc_lo
; %bb.1934:
	s_or_b32 exec_lo, exec_lo, s3
	v_lshrrev_b32_e32 v2, 24, v2
	s_delay_alu instid0(VALU_DEP_1)
	v_and_or_b32 v2, 0x80, v2, v3
	global_store_b8 v[0:1], v2, off
.LBB9_1935:
	s_mov_b32 s3, 0
	s_mov_b32 s7, -1
.LBB9_1936:
	s_and_not1_b32 vcc_lo, exec_lo, s3
	s_mov_b32 s3, 0
	s_cbranch_vccnz .LBB9_1943
; %bb.1937:
	s_cmp_gt_i32 s2, 14
	s_mov_b32 s3, -1
	s_cbranch_scc0 .LBB9_1941
; %bb.1938:
	s_cmp_eq_u32 s2, 15
	s_mov_b32 s0, -1
	s_cbranch_scc0 .LBB9_1940
; %bb.1939:
	s_wait_xcnt 0x0
	v_cvt_f32_f64_e32 v2, v[4:5]
	s_mov_b32 s0, 0
	s_mov_b32 s7, -1
	s_delay_alu instid0(VALU_DEP_1) | instskip(SKIP_1) | instid1(VALU_DEP_2)
	v_bfe_u32 v3, v2, 16, 1
	v_cmp_o_f32_e32 vcc_lo, v2, v2
	v_add3_u32 v3, v2, v3, 0x7fff
	s_delay_alu instid0(VALU_DEP_1) | instskip(NEXT) | instid1(VALU_DEP_1)
	v_lshrrev_b32_e32 v3, 16, v3
	v_cndmask_b32_e32 v2, 0x7fc0, v3, vcc_lo
	global_store_b16 v[0:1], v2, off
.LBB9_1940:
	s_mov_b32 s3, 0
.LBB9_1941:
	s_delay_alu instid0(SALU_CYCLE_1)
	s_and_b32 vcc_lo, exec_lo, s3
	s_mov_b32 s3, 0
	s_cbranch_vccz .LBB9_1943
; %bb.1942:
	s_cmp_lg_u32 s2, 11
	s_mov_b32 s3, -1
	s_cselect_b32 s0, -1, 0
.LBB9_1943:
	s_delay_alu instid0(SALU_CYCLE_1)
	s_and_b32 vcc_lo, exec_lo, s0
	s_cbranch_vccnz .LBB9_2193
; %bb.1944:
	s_and_not1_b32 vcc_lo, exec_lo, s3
	s_cbranch_vccnz .LBB9_1946
.LBB9_1945:
	v_cmp_neq_f64_e32 vcc_lo, 0, v[4:5]
	s_mov_b32 s7, -1
	s_wait_xcnt 0x0
	v_cndmask_b32_e64 v2, 0, 1, vcc_lo
	global_store_b8 v[0:1], v2, off
.LBB9_1946:
	s_mov_b32 s0, 0
	s_branch .LBB9_1948
.LBB9_1947:
	s_mov_b32 s0, -1
	s_mov_b32 s7, 0
.LBB9_1948:
	s_and_b32 vcc_lo, exec_lo, s0
	s_cbranch_vccz .LBB9_1987
; %bb.1949:
	s_cmp_lt_i32 s2, 5
	s_mov_b32 s0, -1
	s_cbranch_scc1 .LBB9_1970
; %bb.1950:
	s_cmp_lt_i32 s2, 8
	s_cbranch_scc1 .LBB9_1960
; %bb.1951:
	s_cmp_lt_i32 s2, 9
	s_cbranch_scc1 .LBB9_1957
; %bb.1952:
	s_cmp_gt_i32 s2, 9
	s_cbranch_scc0 .LBB9_1954
; %bb.1953:
	s_wait_xcnt 0x0
	v_mov_b32_e32 v6, 0
	s_mov_b32 s0, 0
	s_delay_alu instid0(VALU_DEP_1)
	v_mov_b32_e32 v7, v6
	global_store_b128 v[0:1], v[4:7], off
.LBB9_1954:
	s_and_not1_b32 vcc_lo, exec_lo, s0
	s_cbranch_vccnz .LBB9_1956
; %bb.1955:
	s_wait_xcnt 0x0
	v_cvt_f32_f64_e32 v2, v[4:5]
	v_mov_b32_e32 v3, 0
	global_store_b64 v[0:1], v[2:3], off
.LBB9_1956:
	s_mov_b32 s0, 0
.LBB9_1957:
	s_delay_alu instid0(SALU_CYCLE_1)
	s_and_not1_b32 vcc_lo, exec_lo, s0
	s_cbranch_vccnz .LBB9_1959
; %bb.1958:
	s_wait_xcnt 0x0
	v_and_or_b32 v2, 0x1ff, v5, v4
	v_lshrrev_b32_e32 v3, 8, v5
	v_bfe_u32 v6, v5, 20, 11
	s_delay_alu instid0(VALU_DEP_3) | instskip(NEXT) | instid1(VALU_DEP_2)
	v_cmp_ne_u32_e32 vcc_lo, 0, v2
	v_sub_nc_u32_e32 v7, 0x3f1, v6
	v_cndmask_b32_e64 v2, 0, 1, vcc_lo
	s_delay_alu instid0(VALU_DEP_1) | instskip(NEXT) | instid1(VALU_DEP_3)
	v_and_or_b32 v2, 0xffe, v3, v2
	v_med3_i32 v3, v7, 0, 13
	s_delay_alu instid0(VALU_DEP_2) | instskip(NEXT) | instid1(VALU_DEP_1)
	v_or_b32_e32 v7, 0x1000, v2
	v_lshrrev_b32_e32 v11, v3, v7
	s_delay_alu instid0(VALU_DEP_1) | instskip(NEXT) | instid1(VALU_DEP_1)
	v_lshlrev_b32_e32 v3, v3, v11
	v_cmp_ne_u32_e32 vcc_lo, v3, v7
	v_cndmask_b32_e64 v3, 0, 1, vcc_lo
	s_delay_alu instid0(VALU_DEP_1) | instskip(SKIP_1) | instid1(VALU_DEP_1)
	v_or_b32_e32 v3, v11, v3
	v_add_nc_u32_e32 v6, 0xfffffc10, v6
	v_lshl_or_b32 v7, v6, 12, v2
	v_cmp_gt_i32_e32 vcc_lo, 1, v6
	s_delay_alu instid0(VALU_DEP_2) | instskip(NEXT) | instid1(VALU_DEP_1)
	v_cndmask_b32_e32 v3, v7, v3, vcc_lo
	v_dual_lshrrev_b32 v3, 2, v3 :: v_dual_bitop2_b32 v7, 7, v3 bitop3:0x40
	s_delay_alu instid0(VALU_DEP_1) | instskip(SKIP_4) | instid1(VALU_DEP_2)
	v_cmp_lt_i32_e32 vcc_lo, 5, v7
	v_cndmask_b32_e64 v11, 0, 1, vcc_lo
	v_cmp_eq_u32_e32 vcc_lo, 3, v7
	v_cndmask_b32_e64 v7, 0, 1, vcc_lo
	v_cmp_ne_u32_e32 vcc_lo, 0, v2
	v_or_b32_e32 v7, v7, v11
	v_mov_b32_e32 v11, 0x7e00
	s_delay_alu instid0(VALU_DEP_2) | instskip(NEXT) | instid1(VALU_DEP_2)
	v_add_nc_u32_e32 v3, v3, v7
	v_cndmask_b32_e32 v2, 0x7c00, v11, vcc_lo
	v_cmp_gt_i32_e32 vcc_lo, 31, v6
	v_lshrrev_b32_e32 v7, 16, v5
	s_delay_alu instid0(VALU_DEP_4) | instskip(SKIP_1) | instid1(VALU_DEP_2)
	v_cndmask_b32_e32 v3, 0x7c00, v3, vcc_lo
	v_cmp_eq_u32_e32 vcc_lo, 0x40f, v6
	v_cndmask_b32_e32 v2, v3, v2, vcc_lo
	s_delay_alu instid0(VALU_DEP_4) | instskip(NEXT) | instid1(VALU_DEP_1)
	v_and_b32_e32 v3, 0x8000, v7
	v_bitop3_b32 v2, v3, 0xffff, v2 bitop3:0xc8
	global_store_b32 v[0:1], v2, off
.LBB9_1959:
	s_mov_b32 s0, 0
.LBB9_1960:
	s_delay_alu instid0(SALU_CYCLE_1)
	s_and_not1_b32 vcc_lo, exec_lo, s0
	s_cbranch_vccnz .LBB9_1969
; %bb.1961:
	s_cmp_lt_i32 s2, 6
	s_mov_b32 s0, -1
	s_cbranch_scc1 .LBB9_1967
; %bb.1962:
	s_cmp_gt_i32 s2, 6
	s_cbranch_scc0 .LBB9_1964
; %bb.1963:
	s_mov_b32 s0, 0
	global_store_b64 v[0:1], v[4:5], off
.LBB9_1964:
	s_and_not1_b32 vcc_lo, exec_lo, s0
	s_cbranch_vccnz .LBB9_1966
; %bb.1965:
	s_wait_xcnt 0x0
	v_cvt_f32_f64_e32 v2, v[4:5]
	global_store_b32 v[0:1], v2, off
.LBB9_1966:
	s_mov_b32 s0, 0
.LBB9_1967:
	s_delay_alu instid0(SALU_CYCLE_1)
	s_and_not1_b32 vcc_lo, exec_lo, s0
	s_cbranch_vccnz .LBB9_1969
; %bb.1968:
	s_wait_xcnt 0x0
	v_and_or_b32 v2, 0x1ff, v5, v4
	v_lshrrev_b32_e32 v3, 8, v5
	v_bfe_u32 v6, v5, 20, 11
	s_delay_alu instid0(VALU_DEP_3) | instskip(NEXT) | instid1(VALU_DEP_2)
	v_cmp_ne_u32_e32 vcc_lo, 0, v2
	v_sub_nc_u32_e32 v7, 0x3f1, v6
	v_cndmask_b32_e64 v2, 0, 1, vcc_lo
	s_delay_alu instid0(VALU_DEP_1) | instskip(NEXT) | instid1(VALU_DEP_3)
	v_and_or_b32 v2, 0xffe, v3, v2
	v_med3_i32 v3, v7, 0, 13
	s_delay_alu instid0(VALU_DEP_2) | instskip(NEXT) | instid1(VALU_DEP_1)
	v_or_b32_e32 v7, 0x1000, v2
	v_lshrrev_b32_e32 v11, v3, v7
	s_delay_alu instid0(VALU_DEP_1) | instskip(NEXT) | instid1(VALU_DEP_1)
	v_lshlrev_b32_e32 v3, v3, v11
	v_cmp_ne_u32_e32 vcc_lo, v3, v7
	v_cndmask_b32_e64 v3, 0, 1, vcc_lo
	s_delay_alu instid0(VALU_DEP_1) | instskip(SKIP_1) | instid1(VALU_DEP_1)
	v_or_b32_e32 v3, v11, v3
	v_add_nc_u32_e32 v6, 0xfffffc10, v6
	v_lshl_or_b32 v7, v6, 12, v2
	v_cmp_gt_i32_e32 vcc_lo, 1, v6
	s_delay_alu instid0(VALU_DEP_2) | instskip(NEXT) | instid1(VALU_DEP_1)
	v_cndmask_b32_e32 v3, v7, v3, vcc_lo
	v_dual_lshrrev_b32 v3, 2, v3 :: v_dual_bitop2_b32 v7, 7, v3 bitop3:0x40
	s_delay_alu instid0(VALU_DEP_1) | instskip(SKIP_4) | instid1(VALU_DEP_2)
	v_cmp_lt_i32_e32 vcc_lo, 5, v7
	v_cndmask_b32_e64 v11, 0, 1, vcc_lo
	v_cmp_eq_u32_e32 vcc_lo, 3, v7
	v_cndmask_b32_e64 v7, 0, 1, vcc_lo
	v_cmp_ne_u32_e32 vcc_lo, 0, v2
	v_or_b32_e32 v7, v7, v11
	v_mov_b32_e32 v11, 0x7e00
	s_delay_alu instid0(VALU_DEP_2) | instskip(NEXT) | instid1(VALU_DEP_2)
	v_add_nc_u32_e32 v3, v3, v7
	v_cndmask_b32_e32 v2, 0x7c00, v11, vcc_lo
	v_cmp_gt_i32_e32 vcc_lo, 31, v6
	s_delay_alu instid0(VALU_DEP_3) | instskip(SKIP_1) | instid1(VALU_DEP_2)
	v_cndmask_b32_e32 v3, 0x7c00, v3, vcc_lo
	v_cmp_eq_u32_e32 vcc_lo, 0x40f, v6
	v_dual_cndmask_b32 v2, v3, v2 :: v_dual_lshrrev_b32 v3, 16, v5
	s_delay_alu instid0(VALU_DEP_1)
	v_and_or_b32 v2, 0x8000, v3, v2
	global_store_b16 v[0:1], v2, off
.LBB9_1969:
	s_mov_b32 s0, 0
.LBB9_1970:
	s_delay_alu instid0(SALU_CYCLE_1)
	s_and_not1_b32 vcc_lo, exec_lo, s0
	s_cbranch_vccnz .LBB9_1986
; %bb.1971:
	s_cmp_lt_i32 s2, 2
	s_mov_b32 s0, -1
	s_cbranch_scc1 .LBB9_1981
; %bb.1972:
	s_cmp_lt_i32 s2, 3
	s_cbranch_scc1 .LBB9_1978
; %bb.1973:
	s_cmp_gt_i32 s2, 3
	s_cbranch_scc0 .LBB9_1975
; %bb.1974:
	s_wait_xcnt 0x0
	v_trunc_f64_e32 v[2:3], v[4:5]
	s_mov_b32 s0, 0
	s_delay_alu instid0(VALU_DEP_1) | instskip(NEXT) | instid1(VALU_DEP_1)
	v_ldexp_f64 v[6:7], v[2:3], 0xffffffe0
	v_floor_f64_e32 v[6:7], v[6:7]
	s_delay_alu instid0(VALU_DEP_1) | instskip(SKIP_1) | instid1(VALU_DEP_2)
	v_fmamk_f64 v[2:3], v[6:7], 0xc1f00000, v[2:3]
	v_cvt_i32_f64_e32 v7, v[6:7]
	v_cvt_u32_f64_e32 v6, v[2:3]
	global_store_b64 v[0:1], v[6:7], off
.LBB9_1975:
	s_and_not1_b32 vcc_lo, exec_lo, s0
	s_cbranch_vccnz .LBB9_1977
; %bb.1976:
	s_wait_xcnt 0x0
	v_cvt_i32_f64_e32 v2, v[4:5]
	global_store_b32 v[0:1], v2, off
.LBB9_1977:
	s_mov_b32 s0, 0
.LBB9_1978:
	s_delay_alu instid0(SALU_CYCLE_1)
	s_and_not1_b32 vcc_lo, exec_lo, s0
	s_cbranch_vccnz .LBB9_1980
; %bb.1979:
	s_wait_xcnt 0x0
	v_cvt_i32_f64_e32 v2, v[4:5]
	global_store_b16 v[0:1], v2, off
.LBB9_1980:
	s_mov_b32 s0, 0
.LBB9_1981:
	s_delay_alu instid0(SALU_CYCLE_1)
	s_and_not1_b32 vcc_lo, exec_lo, s0
	s_cbranch_vccnz .LBB9_1986
; %bb.1982:
	s_cmp_gt_i32 s2, 0
	s_mov_b32 s0, -1
	s_cbranch_scc0 .LBB9_1984
; %bb.1983:
	s_wait_xcnt 0x0
	v_cvt_i32_f64_e32 v2, v[4:5]
	s_mov_b32 s0, 0
	global_store_b8 v[0:1], v2, off
.LBB9_1984:
	s_and_not1_b32 vcc_lo, exec_lo, s0
	s_cbranch_vccnz .LBB9_1986
; %bb.1985:
	s_wait_xcnt 0x0
	v_trunc_f64_e32 v[2:3], v[4:5]
	s_delay_alu instid0(VALU_DEP_1) | instskip(NEXT) | instid1(VALU_DEP_1)
	v_ldexp_f64 v[4:5], v[2:3], 0xffffffe0
	v_floor_f64_e32 v[4:5], v[4:5]
	s_delay_alu instid0(VALU_DEP_1) | instskip(NEXT) | instid1(VALU_DEP_1)
	v_fmamk_f64 v[2:3], v[4:5], 0xc1f00000, v[2:3]
	v_cvt_u32_f64_e32 v2, v[2:3]
	global_store_b8 v[0:1], v2, off
.LBB9_1986:
	s_mov_b32 s7, -1
.LBB9_1987:
	s_delay_alu instid0(SALU_CYCLE_1)
	s_and_not1_b32 vcc_lo, exec_lo, s7
	s_cbranch_vccnz .LBB9_2183
; %bb.1988:
	v_mov_b32_e32 v11, 0
	s_cmp_lt_i32 s2, 11
	s_wait_xcnt 0x0
	s_delay_alu instid0(VALU_DEP_1)
	v_add_nc_u64_e32 v[0:1], s[4:5], v[10:11]
	s_cbranch_scc1 .LBB9_2066
; %bb.1989:
	s_mov_b32 s10, -1
	s_mov_b32 s3, 0
	s_cmp_gt_i32 s2, 25
	s_mov_b32 s7, 0
	s_mov_b32 s0, 0
	s_cbranch_scc0 .LBB9_2022
; %bb.1990:
	s_cmp_gt_i32 s2, 28
	s_cbranch_scc0 .LBB9_2005
; %bb.1991:
	s_cmp_gt_i32 s2, 43
	;; [unrolled: 3-line block ×3, first 2 shown]
	s_cbranch_scc0 .LBB9_1995
; %bb.1993:
	s_mov_b32 s0, -1
	s_mov_b32 s10, 0
	s_cmp_eq_u32 s2, 46
	s_cbranch_scc0 .LBB9_1995
; %bb.1994:
	v_cvt_f32_f64_e32 v2, v[8:9]
	s_mov_b32 s0, 0
	s_mov_b32 s7, -1
	s_delay_alu instid0(VALU_DEP_1) | instskip(SKIP_1) | instid1(VALU_DEP_2)
	v_bfe_u32 v3, v2, 16, 1
	v_cmp_o_f32_e32 vcc_lo, v2, v2
	v_add3_u32 v3, v2, v3, 0x7fff
	s_delay_alu instid0(VALU_DEP_1) | instskip(NEXT) | instid1(VALU_DEP_1)
	v_lshrrev_b32_e32 v3, 16, v3
	v_cndmask_b32_e32 v2, 0x7fc0, v3, vcc_lo
	global_store_b32 v[0:1], v2, off
.LBB9_1995:
	s_and_b32 vcc_lo, exec_lo, s10
	s_cbranch_vccz .LBB9_2000
; %bb.1996:
	s_cmp_eq_u32 s2, 44
	s_mov_b32 s0, -1
	s_cbranch_scc0 .LBB9_2000
; %bb.1997:
	s_wait_xcnt 0x0
	v_cvt_f32_f64_e32 v2, v[8:9]
	v_mov_b32_e32 v3, 0xff
	s_mov_b32 s7, exec_lo
	s_delay_alu instid0(VALU_DEP_2) | instskip(NEXT) | instid1(VALU_DEP_1)
	v_bfe_u32 v4, v2, 23, 8
	v_cmpx_ne_u32_e32 0xff, v4
	s_cbranch_execz .LBB9_1999
; %bb.1998:
	v_and_b32_e32 v3, 0x400000, v2
	v_and_or_b32 v4, 0x3fffff, v2, v4
	v_lshrrev_b32_e32 v2, 23, v2
	s_delay_alu instid0(VALU_DEP_3) | instskip(NEXT) | instid1(VALU_DEP_3)
	v_cmp_ne_u32_e32 vcc_lo, 0, v3
	v_cmp_ne_u32_e64 s0, 0, v4
	s_and_b32 s0, vcc_lo, s0
	s_delay_alu instid0(SALU_CYCLE_1) | instskip(NEXT) | instid1(VALU_DEP_1)
	v_cndmask_b32_e64 v3, 0, 1, s0
	v_add_nc_u32_e32 v3, v2, v3
.LBB9_1999:
	s_or_b32 exec_lo, exec_lo, s7
	s_mov_b32 s0, 0
	s_mov_b32 s7, -1
	global_store_b8 v[0:1], v3, off
.LBB9_2000:
	s_mov_b32 s10, 0
.LBB9_2001:
	s_delay_alu instid0(SALU_CYCLE_1)
	s_and_b32 vcc_lo, exec_lo, s10
	s_cbranch_vccz .LBB9_2004
; %bb.2002:
	s_cmp_eq_u32 s2, 29
	s_mov_b32 s0, -1
	s_cbranch_scc0 .LBB9_2004
; %bb.2003:
	s_wait_xcnt 0x0
	v_trunc_f64_e32 v[2:3], v[8:9]
	s_mov_b32 s0, 0
	s_mov_b32 s7, -1
	s_delay_alu instid0(VALU_DEP_1) | instskip(NEXT) | instid1(VALU_DEP_1)
	v_ldexp_f64 v[4:5], v[2:3], 0xffffffe0
	v_floor_f64_e32 v[4:5], v[4:5]
	s_delay_alu instid0(VALU_DEP_1) | instskip(SKIP_1) | instid1(VALU_DEP_2)
	v_fmamk_f64 v[2:3], v[4:5], 0xc1f00000, v[2:3]
	v_cvt_u32_f64_e32 v5, v[4:5]
	v_cvt_u32_f64_e32 v4, v[2:3]
	global_store_b64 v[0:1], v[4:5], off
.LBB9_2004:
	s_mov_b32 s10, 0
.LBB9_2005:
	s_delay_alu instid0(SALU_CYCLE_1)
	s_and_b32 vcc_lo, exec_lo, s10
	s_cbranch_vccz .LBB9_2021
; %bb.2006:
	s_cmp_lt_i32 s2, 27
	s_mov_b32 s7, -1
	s_cbranch_scc1 .LBB9_2012
; %bb.2007:
	s_wait_xcnt 0x0
	v_cvt_u32_f64_e32 v2, v[8:9]
	s_cmp_gt_i32 s2, 27
	s_cbranch_scc0 .LBB9_2009
; %bb.2008:
	s_mov_b32 s7, 0
	global_store_b32 v[0:1], v2, off
.LBB9_2009:
	s_and_not1_b32 vcc_lo, exec_lo, s7
	s_cbranch_vccnz .LBB9_2011
; %bb.2010:
	global_store_b16 v[0:1], v2, off
.LBB9_2011:
	s_mov_b32 s7, 0
.LBB9_2012:
	s_delay_alu instid0(SALU_CYCLE_1)
	s_and_not1_b32 vcc_lo, exec_lo, s7
	s_cbranch_vccnz .LBB9_2020
; %bb.2013:
	s_wait_xcnt 0x0
	v_cvt_f32_f64_e32 v2, v[8:9]
	v_mov_b32_e32 v4, 0x80
	s_mov_b32 s7, exec_lo
	s_delay_alu instid0(VALU_DEP_2) | instskip(NEXT) | instid1(VALU_DEP_1)
	v_and_b32_e32 v3, 0x7fffffff, v2
	v_cmpx_gt_u32_e32 0x43800000, v3
	s_cbranch_execz .LBB9_2019
; %bb.2014:
	v_cmp_lt_u32_e32 vcc_lo, 0x3bffffff, v3
	s_mov_b32 s10, 0
                                        ; implicit-def: $vgpr3
	s_and_saveexec_b32 s11, vcc_lo
	s_delay_alu instid0(SALU_CYCLE_1)
	s_xor_b32 s11, exec_lo, s11
	s_cbranch_execz .LBB9_2196
; %bb.2015:
	v_bfe_u32 v3, v2, 20, 1
	s_mov_b32 s10, exec_lo
	s_delay_alu instid0(VALU_DEP_1) | instskip(NEXT) | instid1(VALU_DEP_1)
	v_add3_u32 v3, v2, v3, 0x487ffff
	v_lshrrev_b32_e32 v3, 20, v3
	s_and_not1_saveexec_b32 s11, s11
	s_cbranch_execnz .LBB9_2197
.LBB9_2016:
	s_or_b32 exec_lo, exec_lo, s11
	v_mov_b32_e32 v4, 0
	s_and_saveexec_b32 s11, s10
.LBB9_2017:
	v_lshrrev_b32_e32 v2, 24, v2
	s_delay_alu instid0(VALU_DEP_1)
	v_and_or_b32 v4, 0x80, v2, v3
.LBB9_2018:
	s_or_b32 exec_lo, exec_lo, s11
.LBB9_2019:
	s_delay_alu instid0(SALU_CYCLE_1)
	s_or_b32 exec_lo, exec_lo, s7
	global_store_b8 v[0:1], v4, off
.LBB9_2020:
	s_mov_b32 s7, -1
.LBB9_2021:
	s_mov_b32 s10, 0
.LBB9_2022:
	s_delay_alu instid0(SALU_CYCLE_1)
	s_and_b32 vcc_lo, exec_lo, s10
	s_cbranch_vccz .LBB9_2062
; %bb.2023:
	s_cmp_gt_i32 s2, 22
	s_mov_b32 s3, -1
	s_cbranch_scc0 .LBB9_2055
; %bb.2024:
	s_cmp_lt_i32 s2, 24
	s_cbranch_scc1 .LBB9_2044
; %bb.2025:
	s_cmp_gt_i32 s2, 24
	s_cbranch_scc0 .LBB9_2033
; %bb.2026:
	s_wait_xcnt 0x0
	v_cvt_f32_f64_e32 v2, v[8:9]
	v_mov_b32_e32 v4, 0x80
	s_mov_b32 s3, exec_lo
	s_delay_alu instid0(VALU_DEP_2) | instskip(NEXT) | instid1(VALU_DEP_1)
	v_and_b32_e32 v3, 0x7fffffff, v2
	v_cmpx_gt_u32_e32 0x47800000, v3
	s_cbranch_execz .LBB9_2032
; %bb.2027:
	v_cmp_lt_u32_e32 vcc_lo, 0x37ffffff, v3
	s_mov_b32 s7, 0
                                        ; implicit-def: $vgpr3
	s_and_saveexec_b32 s10, vcc_lo
	s_delay_alu instid0(SALU_CYCLE_1)
	s_xor_b32 s10, exec_lo, s10
	s_cbranch_execz .LBB9_2199
; %bb.2028:
	v_bfe_u32 v3, v2, 21, 1
	s_mov_b32 s7, exec_lo
	s_delay_alu instid0(VALU_DEP_1) | instskip(NEXT) | instid1(VALU_DEP_1)
	v_add3_u32 v3, v2, v3, 0x88fffff
	v_lshrrev_b32_e32 v3, 21, v3
	s_and_not1_saveexec_b32 s10, s10
	s_cbranch_execnz .LBB9_2200
.LBB9_2029:
	s_or_b32 exec_lo, exec_lo, s10
	v_mov_b32_e32 v4, 0
	s_and_saveexec_b32 s10, s7
.LBB9_2030:
	v_lshrrev_b32_e32 v2, 24, v2
	s_delay_alu instid0(VALU_DEP_1)
	v_and_or_b32 v4, 0x80, v2, v3
.LBB9_2031:
	s_or_b32 exec_lo, exec_lo, s10
.LBB9_2032:
	s_delay_alu instid0(SALU_CYCLE_1)
	s_or_b32 exec_lo, exec_lo, s3
	s_mov_b32 s3, 0
	global_store_b8 v[0:1], v4, off
.LBB9_2033:
	s_and_b32 vcc_lo, exec_lo, s3
	s_cbranch_vccz .LBB9_2043
; %bb.2034:
	s_wait_xcnt 0x0
	v_cvt_f32_f64_e32 v2, v[8:9]
	s_mov_b32 s3, exec_lo
                                        ; implicit-def: $vgpr3
	s_delay_alu instid0(VALU_DEP_1) | instskip(NEXT) | instid1(VALU_DEP_1)
	v_and_b32_e32 v4, 0x7fffffff, v2
	v_cmpx_gt_u32_e32 0x43f00000, v4
	s_xor_b32 s3, exec_lo, s3
	s_cbranch_execz .LBB9_2040
; %bb.2035:
	s_mov_b32 s7, exec_lo
                                        ; implicit-def: $vgpr3
	v_cmpx_lt_u32_e32 0x3c7fffff, v4
	s_xor_b32 s7, exec_lo, s7
; %bb.2036:
	v_bfe_u32 v3, v2, 20, 1
	s_delay_alu instid0(VALU_DEP_1) | instskip(NEXT) | instid1(VALU_DEP_1)
	v_add3_u32 v3, v2, v3, 0x407ffff
	v_and_b32_e32 v4, 0xff00000, v3
	v_lshrrev_b32_e32 v3, 20, v3
	s_delay_alu instid0(VALU_DEP_2) | instskip(NEXT) | instid1(VALU_DEP_2)
	v_cmp_ne_u32_e32 vcc_lo, 0x7f00000, v4
	v_cndmask_b32_e32 v3, 0x7e, v3, vcc_lo
; %bb.2037:
	s_and_not1_saveexec_b32 s7, s7
; %bb.2038:
	v_add_f32_e64 v3, 0x46800000, |v2|
; %bb.2039:
	s_or_b32 exec_lo, exec_lo, s7
                                        ; implicit-def: $vgpr4
.LBB9_2040:
	s_and_not1_saveexec_b32 s3, s3
; %bb.2041:
	v_mov_b32_e32 v3, 0x7f
	v_cmp_lt_u32_e32 vcc_lo, 0x7f800000, v4
	s_delay_alu instid0(VALU_DEP_2)
	v_cndmask_b32_e32 v3, 0x7e, v3, vcc_lo
; %bb.2042:
	s_or_b32 exec_lo, exec_lo, s3
	v_lshrrev_b32_e32 v2, 24, v2
	s_delay_alu instid0(VALU_DEP_1)
	v_and_or_b32 v2, 0x80, v2, v3
	global_store_b8 v[0:1], v2, off
.LBB9_2043:
	s_mov_b32 s3, 0
.LBB9_2044:
	s_delay_alu instid0(SALU_CYCLE_1)
	s_and_not1_b32 vcc_lo, exec_lo, s3
	s_cbranch_vccnz .LBB9_2054
; %bb.2045:
	s_wait_xcnt 0x0
	v_cvt_f32_f64_e32 v2, v[8:9]
	s_mov_b32 s3, exec_lo
                                        ; implicit-def: $vgpr3
	s_delay_alu instid0(VALU_DEP_1) | instskip(NEXT) | instid1(VALU_DEP_1)
	v_and_b32_e32 v4, 0x7fffffff, v2
	v_cmpx_gt_u32_e32 0x47800000, v4
	s_xor_b32 s3, exec_lo, s3
	s_cbranch_execz .LBB9_2051
; %bb.2046:
	s_mov_b32 s7, exec_lo
                                        ; implicit-def: $vgpr3
	v_cmpx_lt_u32_e32 0x387fffff, v4
	s_xor_b32 s7, exec_lo, s7
; %bb.2047:
	v_bfe_u32 v3, v2, 21, 1
	s_delay_alu instid0(VALU_DEP_1) | instskip(NEXT) | instid1(VALU_DEP_1)
	v_add3_u32 v3, v2, v3, 0x80fffff
	v_lshrrev_b32_e32 v3, 21, v3
; %bb.2048:
	s_and_not1_saveexec_b32 s7, s7
; %bb.2049:
	v_add_f32_e64 v3, 0x43000000, |v2|
; %bb.2050:
	s_or_b32 exec_lo, exec_lo, s7
                                        ; implicit-def: $vgpr4
.LBB9_2051:
	s_and_not1_saveexec_b32 s3, s3
; %bb.2052:
	v_mov_b32_e32 v3, 0x7f
	v_cmp_lt_u32_e32 vcc_lo, 0x7f800000, v4
	s_delay_alu instid0(VALU_DEP_2)
	v_cndmask_b32_e32 v3, 0x7c, v3, vcc_lo
; %bb.2053:
	s_or_b32 exec_lo, exec_lo, s3
	v_lshrrev_b32_e32 v2, 24, v2
	s_delay_alu instid0(VALU_DEP_1)
	v_and_or_b32 v2, 0x80, v2, v3
	global_store_b8 v[0:1], v2, off
.LBB9_2054:
	s_mov_b32 s3, 0
	s_mov_b32 s7, -1
.LBB9_2055:
	s_and_not1_b32 vcc_lo, exec_lo, s3
	s_mov_b32 s3, 0
	s_cbranch_vccnz .LBB9_2062
; %bb.2056:
	s_cmp_gt_i32 s2, 14
	s_mov_b32 s3, -1
	s_cbranch_scc0 .LBB9_2060
; %bb.2057:
	s_cmp_eq_u32 s2, 15
	s_mov_b32 s0, -1
	s_cbranch_scc0 .LBB9_2059
; %bb.2058:
	s_wait_xcnt 0x0
	v_cvt_f32_f64_e32 v2, v[8:9]
	s_mov_b32 s0, 0
	s_mov_b32 s7, -1
	s_delay_alu instid0(VALU_DEP_1) | instskip(SKIP_1) | instid1(VALU_DEP_2)
	v_bfe_u32 v3, v2, 16, 1
	v_cmp_o_f32_e32 vcc_lo, v2, v2
	v_add3_u32 v3, v2, v3, 0x7fff
	s_delay_alu instid0(VALU_DEP_1) | instskip(NEXT) | instid1(VALU_DEP_1)
	v_lshrrev_b32_e32 v3, 16, v3
	v_cndmask_b32_e32 v2, 0x7fc0, v3, vcc_lo
	global_store_b16 v[0:1], v2, off
.LBB9_2059:
	s_mov_b32 s3, 0
.LBB9_2060:
	s_delay_alu instid0(SALU_CYCLE_1)
	s_and_b32 vcc_lo, exec_lo, s3
	s_mov_b32 s3, 0
	s_cbranch_vccz .LBB9_2062
; %bb.2061:
	s_cmp_lg_u32 s2, 11
	s_mov_b32 s3, -1
	s_cselect_b32 s0, -1, 0
.LBB9_2062:
	s_delay_alu instid0(SALU_CYCLE_1)
	s_and_b32 vcc_lo, exec_lo, s0
	s_cbranch_vccnz .LBB9_2198
; %bb.2063:
	s_and_not1_b32 vcc_lo, exec_lo, s3
	s_cbranch_vccnz .LBB9_2065
.LBB9_2064:
	v_cmp_neq_f64_e32 vcc_lo, 0, v[8:9]
	s_mov_b32 s7, -1
	s_wait_xcnt 0x0
	v_cndmask_b32_e64 v2, 0, 1, vcc_lo
	global_store_b8 v[0:1], v2, off
.LBB9_2065:
	s_mov_b32 s0, 0
	s_branch .LBB9_2067
.LBB9_2066:
	s_mov_b32 s0, -1
	s_mov_b32 s7, 0
.LBB9_2067:
	s_and_b32 vcc_lo, exec_lo, s0
	s_cbranch_vccz .LBB9_2106
; %bb.2068:
	s_cmp_lt_i32 s2, 5
	s_mov_b32 s0, -1
	s_cbranch_scc1 .LBB9_2089
; %bb.2069:
	s_cmp_lt_i32 s2, 8
	s_cbranch_scc1 .LBB9_2079
; %bb.2070:
	s_cmp_lt_i32 s2, 9
	s_cbranch_scc1 .LBB9_2076
; %bb.2071:
	s_cmp_gt_i32 s2, 9
	s_cbranch_scc0 .LBB9_2073
; %bb.2072:
	v_mov_b32_e32 v10, 0
	s_mov_b32 s0, 0
	s_delay_alu instid0(VALU_DEP_1)
	v_mov_b32_e32 v11, v10
	global_store_b128 v[0:1], v[8:11], off
.LBB9_2073:
	s_and_not1_b32 vcc_lo, exec_lo, s0
	s_cbranch_vccnz .LBB9_2075
; %bb.2074:
	s_wait_xcnt 0x0
	v_cvt_f32_f64_e32 v2, v[8:9]
	v_mov_b32_e32 v3, 0
	global_store_b64 v[0:1], v[2:3], off
.LBB9_2075:
	s_mov_b32 s0, 0
.LBB9_2076:
	s_delay_alu instid0(SALU_CYCLE_1)
	s_and_not1_b32 vcc_lo, exec_lo, s0
	s_cbranch_vccnz .LBB9_2078
; %bb.2077:
	s_wait_xcnt 0x0
	v_and_or_b32 v2, 0x1ff, v9, v8
	v_lshrrev_b32_e32 v3, 8, v9
	v_bfe_u32 v4, v9, 20, 11
	s_delay_alu instid0(VALU_DEP_3) | instskip(NEXT) | instid1(VALU_DEP_2)
	v_cmp_ne_u32_e32 vcc_lo, 0, v2
	v_sub_nc_u32_e32 v5, 0x3f1, v4
	v_add_nc_u32_e32 v4, 0xfffffc10, v4
	v_cndmask_b32_e64 v2, 0, 1, vcc_lo
	s_delay_alu instid0(VALU_DEP_1) | instskip(NEXT) | instid1(VALU_DEP_4)
	v_and_or_b32 v2, 0xffe, v3, v2
	v_med3_i32 v3, v5, 0, 13
	s_delay_alu instid0(VALU_DEP_2) | instskip(NEXT) | instid1(VALU_DEP_1)
	v_or_b32_e32 v5, 0x1000, v2
	v_lshrrev_b32_e32 v6, v3, v5
	s_delay_alu instid0(VALU_DEP_1) | instskip(NEXT) | instid1(VALU_DEP_1)
	v_lshlrev_b32_e32 v3, v3, v6
	v_cmp_ne_u32_e32 vcc_lo, v3, v5
	v_lshl_or_b32 v5, v4, 12, v2
	v_cndmask_b32_e64 v3, 0, 1, vcc_lo
	v_cmp_gt_i32_e32 vcc_lo, 1, v4
	s_delay_alu instid0(VALU_DEP_2) | instskip(NEXT) | instid1(VALU_DEP_1)
	v_or_b32_e32 v3, v6, v3
	v_cndmask_b32_e32 v3, v5, v3, vcc_lo
	s_delay_alu instid0(VALU_DEP_1) | instskip(NEXT) | instid1(VALU_DEP_1)
	v_dual_lshrrev_b32 v3, 2, v3 :: v_dual_bitop2_b32 v5, 7, v3 bitop3:0x40
	v_cmp_lt_i32_e32 vcc_lo, 5, v5
	v_cndmask_b32_e64 v6, 0, 1, vcc_lo
	v_cmp_eq_u32_e32 vcc_lo, 3, v5
	v_cndmask_b32_e64 v5, 0, 1, vcc_lo
	v_cmp_ne_u32_e32 vcc_lo, 0, v2
	s_delay_alu instid0(VALU_DEP_2) | instskip(NEXT) | instid1(VALU_DEP_1)
	v_or_b32_e32 v5, v5, v6
	v_dual_mov_b32 v6, 0x7e00 :: v_dual_add_nc_u32 v3, v3, v5
	s_delay_alu instid0(VALU_DEP_1) | instskip(SKIP_2) | instid1(VALU_DEP_4)
	v_cndmask_b32_e32 v2, 0x7c00, v6, vcc_lo
	v_cmp_gt_i32_e32 vcc_lo, 31, v4
	v_lshrrev_b32_e32 v5, 16, v9
	v_cndmask_b32_e32 v3, 0x7c00, v3, vcc_lo
	v_cmp_eq_u32_e32 vcc_lo, 0x40f, v4
	s_delay_alu instid0(VALU_DEP_2) | instskip(NEXT) | instid1(VALU_DEP_4)
	v_cndmask_b32_e32 v2, v3, v2, vcc_lo
	v_and_b32_e32 v3, 0x8000, v5
	s_delay_alu instid0(VALU_DEP_1)
	v_bitop3_b32 v2, v3, 0xffff, v2 bitop3:0xc8
	global_store_b32 v[0:1], v2, off
.LBB9_2078:
	s_mov_b32 s0, 0
.LBB9_2079:
	s_delay_alu instid0(SALU_CYCLE_1)
	s_and_not1_b32 vcc_lo, exec_lo, s0
	s_cbranch_vccnz .LBB9_2088
; %bb.2080:
	s_cmp_lt_i32 s2, 6
	s_mov_b32 s0, -1
	s_cbranch_scc1 .LBB9_2086
; %bb.2081:
	s_cmp_gt_i32 s2, 6
	s_cbranch_scc0 .LBB9_2083
; %bb.2082:
	s_mov_b32 s0, 0
	global_store_b64 v[0:1], v[8:9], off
.LBB9_2083:
	s_and_not1_b32 vcc_lo, exec_lo, s0
	s_cbranch_vccnz .LBB9_2085
; %bb.2084:
	s_wait_xcnt 0x0
	v_cvt_f32_f64_e32 v2, v[8:9]
	global_store_b32 v[0:1], v2, off
.LBB9_2085:
	s_mov_b32 s0, 0
.LBB9_2086:
	s_delay_alu instid0(SALU_CYCLE_1)
	s_and_not1_b32 vcc_lo, exec_lo, s0
	s_cbranch_vccnz .LBB9_2088
; %bb.2087:
	s_wait_xcnt 0x0
	v_and_or_b32 v2, 0x1ff, v9, v8
	v_lshrrev_b32_e32 v3, 8, v9
	v_bfe_u32 v4, v9, 20, 11
	s_delay_alu instid0(VALU_DEP_3) | instskip(NEXT) | instid1(VALU_DEP_2)
	v_cmp_ne_u32_e32 vcc_lo, 0, v2
	v_sub_nc_u32_e32 v5, 0x3f1, v4
	v_add_nc_u32_e32 v4, 0xfffffc10, v4
	v_cndmask_b32_e64 v2, 0, 1, vcc_lo
	s_delay_alu instid0(VALU_DEP_1) | instskip(NEXT) | instid1(VALU_DEP_4)
	v_and_or_b32 v2, 0xffe, v3, v2
	v_med3_i32 v3, v5, 0, 13
	s_delay_alu instid0(VALU_DEP_2) | instskip(NEXT) | instid1(VALU_DEP_1)
	v_or_b32_e32 v5, 0x1000, v2
	v_lshrrev_b32_e32 v6, v3, v5
	s_delay_alu instid0(VALU_DEP_1) | instskip(NEXT) | instid1(VALU_DEP_1)
	v_lshlrev_b32_e32 v3, v3, v6
	v_cmp_ne_u32_e32 vcc_lo, v3, v5
	v_lshl_or_b32 v5, v4, 12, v2
	v_cndmask_b32_e64 v3, 0, 1, vcc_lo
	v_cmp_gt_i32_e32 vcc_lo, 1, v4
	s_delay_alu instid0(VALU_DEP_2) | instskip(NEXT) | instid1(VALU_DEP_1)
	v_or_b32_e32 v3, v6, v3
	v_cndmask_b32_e32 v3, v5, v3, vcc_lo
	s_delay_alu instid0(VALU_DEP_1) | instskip(NEXT) | instid1(VALU_DEP_1)
	v_dual_lshrrev_b32 v3, 2, v3 :: v_dual_bitop2_b32 v5, 7, v3 bitop3:0x40
	v_cmp_lt_i32_e32 vcc_lo, 5, v5
	v_cndmask_b32_e64 v6, 0, 1, vcc_lo
	v_cmp_eq_u32_e32 vcc_lo, 3, v5
	v_cndmask_b32_e64 v5, 0, 1, vcc_lo
	v_cmp_ne_u32_e32 vcc_lo, 0, v2
	s_delay_alu instid0(VALU_DEP_2) | instskip(NEXT) | instid1(VALU_DEP_1)
	v_or_b32_e32 v5, v5, v6
	v_dual_mov_b32 v6, 0x7e00 :: v_dual_add_nc_u32 v3, v3, v5
	s_delay_alu instid0(VALU_DEP_1) | instskip(SKIP_1) | instid1(VALU_DEP_3)
	v_cndmask_b32_e32 v2, 0x7c00, v6, vcc_lo
	v_cmp_gt_i32_e32 vcc_lo, 31, v4
	v_cndmask_b32_e32 v3, 0x7c00, v3, vcc_lo
	v_cmp_eq_u32_e32 vcc_lo, 0x40f, v4
	s_delay_alu instid0(VALU_DEP_2) | instskip(NEXT) | instid1(VALU_DEP_1)
	v_dual_cndmask_b32 v2, v3, v2 :: v_dual_lshrrev_b32 v3, 16, v9
	v_and_or_b32 v2, 0x8000, v3, v2
	global_store_b16 v[0:1], v2, off
.LBB9_2088:
	s_mov_b32 s0, 0
.LBB9_2089:
	s_delay_alu instid0(SALU_CYCLE_1)
	s_and_not1_b32 vcc_lo, exec_lo, s0
	s_cbranch_vccnz .LBB9_2105
; %bb.2090:
	s_cmp_lt_i32 s2, 2
	s_mov_b32 s0, -1
	s_cbranch_scc1 .LBB9_2100
; %bb.2091:
	s_cmp_lt_i32 s2, 3
	s_cbranch_scc1 .LBB9_2097
; %bb.2092:
	s_cmp_gt_i32 s2, 3
	s_cbranch_scc0 .LBB9_2094
; %bb.2093:
	s_wait_xcnt 0x0
	v_trunc_f64_e32 v[2:3], v[8:9]
	s_mov_b32 s0, 0
	s_delay_alu instid0(VALU_DEP_1) | instskip(NEXT) | instid1(VALU_DEP_1)
	v_ldexp_f64 v[4:5], v[2:3], 0xffffffe0
	v_floor_f64_e32 v[4:5], v[4:5]
	s_delay_alu instid0(VALU_DEP_1) | instskip(SKIP_1) | instid1(VALU_DEP_2)
	v_fmamk_f64 v[2:3], v[4:5], 0xc1f00000, v[2:3]
	v_cvt_i32_f64_e32 v5, v[4:5]
	v_cvt_u32_f64_e32 v4, v[2:3]
	global_store_b64 v[0:1], v[4:5], off
.LBB9_2094:
	s_and_not1_b32 vcc_lo, exec_lo, s0
	s_cbranch_vccnz .LBB9_2096
; %bb.2095:
	s_wait_xcnt 0x0
	v_cvt_i32_f64_e32 v2, v[8:9]
	global_store_b32 v[0:1], v2, off
.LBB9_2096:
	s_mov_b32 s0, 0
.LBB9_2097:
	s_delay_alu instid0(SALU_CYCLE_1)
	s_and_not1_b32 vcc_lo, exec_lo, s0
	s_cbranch_vccnz .LBB9_2099
; %bb.2098:
	s_wait_xcnt 0x0
	v_cvt_i32_f64_e32 v2, v[8:9]
	global_store_b16 v[0:1], v2, off
.LBB9_2099:
	s_mov_b32 s0, 0
.LBB9_2100:
	s_delay_alu instid0(SALU_CYCLE_1)
	s_and_not1_b32 vcc_lo, exec_lo, s0
	s_cbranch_vccnz .LBB9_2105
; %bb.2101:
	s_cmp_gt_i32 s2, 0
	s_mov_b32 s0, -1
	s_cbranch_scc0 .LBB9_2103
; %bb.2102:
	s_wait_xcnt 0x0
	v_cvt_i32_f64_e32 v2, v[8:9]
	s_mov_b32 s0, 0
	global_store_b8 v[0:1], v2, off
.LBB9_2103:
	s_and_not1_b32 vcc_lo, exec_lo, s0
	s_cbranch_vccnz .LBB9_2105
; %bb.2104:
	s_wait_xcnt 0x0
	v_trunc_f64_e32 v[2:3], v[8:9]
	s_delay_alu instid0(VALU_DEP_1) | instskip(NEXT) | instid1(VALU_DEP_1)
	v_ldexp_f64 v[4:5], v[2:3], 0xffffffe0
	v_floor_f64_e32 v[4:5], v[4:5]
	s_delay_alu instid0(VALU_DEP_1) | instskip(NEXT) | instid1(VALU_DEP_1)
	v_fmamk_f64 v[2:3], v[4:5], 0xc1f00000, v[2:3]
	v_cvt_u32_f64_e32 v2, v[2:3]
	global_store_b8 v[0:1], v2, off
.LBB9_2105:
	s_mov_b32 s7, -1
.LBB9_2106:
	s_delay_alu instid0(SALU_CYCLE_1)
	s_and_not1_b32 vcc_lo, exec_lo, s7
	s_cbranch_vccnz .LBB9_2183
; %bb.2107:
	v_mov_b32_e32 v15, 0
	s_cmp_lt_i32 s2, 11
	s_wait_xcnt 0x0
	s_delay_alu instid0(VALU_DEP_1)
	v_add_nc_u64_e32 v[0:1], s[4:5], v[14:15]
	s_cbranch_scc1 .LBB9_2184
; %bb.2108:
	s_mov_b32 s4, -1
	s_mov_b32 s3, 0
	s_cmp_gt_i32 s2, 25
	s_mov_b32 s0, 0
	s_cbranch_scc0 .LBB9_2141
; %bb.2109:
	s_cmp_gt_i32 s2, 28
	s_cbranch_scc0 .LBB9_2125
; %bb.2110:
	s_cmp_gt_i32 s2, 43
	;; [unrolled: 3-line block ×3, first 2 shown]
	s_cbranch_scc0 .LBB9_2115
; %bb.2112:
	s_cmp_eq_u32 s2, 46
	s_mov_b32 s0, -1
	s_cbranch_scc0 .LBB9_2114
; %bb.2113:
	v_cvt_f32_f64_e32 v2, v[12:13]
	s_mov_b32 s0, 0
	s_delay_alu instid0(VALU_DEP_1) | instskip(SKIP_1) | instid1(VALU_DEP_2)
	v_bfe_u32 v3, v2, 16, 1
	v_cmp_o_f32_e32 vcc_lo, v2, v2
	v_add3_u32 v3, v2, v3, 0x7fff
	s_delay_alu instid0(VALU_DEP_1) | instskip(NEXT) | instid1(VALU_DEP_1)
	v_lshrrev_b32_e32 v3, 16, v3
	v_cndmask_b32_e32 v2, 0x7fc0, v3, vcc_lo
	global_store_b32 v[0:1], v2, off
.LBB9_2114:
	s_mov_b32 s4, 0
.LBB9_2115:
	s_delay_alu instid0(SALU_CYCLE_1)
	s_and_b32 vcc_lo, exec_lo, s4
	s_cbranch_vccz .LBB9_2120
; %bb.2116:
	s_cmp_eq_u32 s2, 44
	s_mov_b32 s0, -1
	s_cbranch_scc0 .LBB9_2120
; %bb.2117:
	s_wait_xcnt 0x0
	v_cvt_f32_f64_e32 v2, v[12:13]
	v_mov_b32_e32 v3, 0xff
	s_mov_b32 s4, exec_lo
	s_delay_alu instid0(VALU_DEP_2) | instskip(NEXT) | instid1(VALU_DEP_1)
	v_bfe_u32 v4, v2, 23, 8
	v_cmpx_ne_u32_e32 0xff, v4
	s_cbranch_execz .LBB9_2119
; %bb.2118:
	v_and_b32_e32 v3, 0x400000, v2
	v_and_or_b32 v4, 0x3fffff, v2, v4
	v_lshrrev_b32_e32 v2, 23, v2
	s_delay_alu instid0(VALU_DEP_3) | instskip(NEXT) | instid1(VALU_DEP_3)
	v_cmp_ne_u32_e32 vcc_lo, 0, v3
	v_cmp_ne_u32_e64 s0, 0, v4
	s_and_b32 s0, vcc_lo, s0
	s_delay_alu instid0(SALU_CYCLE_1) | instskip(NEXT) | instid1(VALU_DEP_1)
	v_cndmask_b32_e64 v3, 0, 1, s0
	v_add_nc_u32_e32 v3, v2, v3
.LBB9_2119:
	s_or_b32 exec_lo, exec_lo, s4
	s_mov_b32 s0, 0
	global_store_b8 v[0:1], v3, off
.LBB9_2120:
	s_mov_b32 s4, 0
.LBB9_2121:
	s_delay_alu instid0(SALU_CYCLE_1)
	s_and_b32 vcc_lo, exec_lo, s4
	s_cbranch_vccz .LBB9_2124
; %bb.2122:
	s_cmp_eq_u32 s2, 29
	s_mov_b32 s0, -1
	s_cbranch_scc0 .LBB9_2124
; %bb.2123:
	s_wait_xcnt 0x0
	v_trunc_f64_e32 v[2:3], v[12:13]
	s_mov_b32 s0, 0
	s_delay_alu instid0(VALU_DEP_1) | instskip(NEXT) | instid1(VALU_DEP_1)
	v_ldexp_f64 v[4:5], v[2:3], 0xffffffe0
	v_floor_f64_e32 v[4:5], v[4:5]
	s_delay_alu instid0(VALU_DEP_1) | instskip(SKIP_1) | instid1(VALU_DEP_2)
	v_fmamk_f64 v[2:3], v[4:5], 0xc1f00000, v[2:3]
	v_cvt_u32_f64_e32 v5, v[4:5]
	v_cvt_u32_f64_e32 v4, v[2:3]
	global_store_b64 v[0:1], v[4:5], off
.LBB9_2124:
	s_mov_b32 s4, 0
.LBB9_2125:
	s_delay_alu instid0(SALU_CYCLE_1)
	s_and_b32 vcc_lo, exec_lo, s4
	s_cbranch_vccz .LBB9_2140
; %bb.2126:
	s_cmp_lt_i32 s2, 27
	s_mov_b32 s4, -1
	s_cbranch_scc1 .LBB9_2132
; %bb.2127:
	s_cmp_gt_i32 s2, 27
	s_cbranch_scc0 .LBB9_2129
; %bb.2128:
	s_wait_xcnt 0x0
	v_cvt_u32_f64_e32 v2, v[12:13]
	s_mov_b32 s4, 0
	global_store_b32 v[0:1], v2, off
.LBB9_2129:
	s_and_not1_b32 vcc_lo, exec_lo, s4
	s_cbranch_vccnz .LBB9_2131
; %bb.2130:
	s_wait_xcnt 0x0
	v_cvt_u32_f64_e32 v2, v[12:13]
	global_store_b16 v[0:1], v2, off
.LBB9_2131:
	s_mov_b32 s4, 0
.LBB9_2132:
	s_delay_alu instid0(SALU_CYCLE_1)
	s_and_not1_b32 vcc_lo, exec_lo, s4
	s_cbranch_vccnz .LBB9_2140
; %bb.2133:
	s_wait_xcnt 0x0
	v_cvt_f32_f64_e32 v2, v[12:13]
	v_mov_b32_e32 v4, 0x80
	s_mov_b32 s4, exec_lo
	s_delay_alu instid0(VALU_DEP_2) | instskip(NEXT) | instid1(VALU_DEP_1)
	v_and_b32_e32 v3, 0x7fffffff, v2
	v_cmpx_gt_u32_e32 0x43800000, v3
	s_cbranch_execz .LBB9_2139
; %bb.2134:
	v_cmp_lt_u32_e32 vcc_lo, 0x3bffffff, v3
	s_mov_b32 s5, 0
                                        ; implicit-def: $vgpr3
	s_and_saveexec_b32 s7, vcc_lo
	s_delay_alu instid0(SALU_CYCLE_1)
	s_xor_b32 s7, exec_lo, s7
	s_cbranch_execz .LBB9_2201
; %bb.2135:
	v_bfe_u32 v3, v2, 20, 1
	s_mov_b32 s5, exec_lo
	s_delay_alu instid0(VALU_DEP_1) | instskip(NEXT) | instid1(VALU_DEP_1)
	v_add3_u32 v3, v2, v3, 0x487ffff
	v_lshrrev_b32_e32 v3, 20, v3
	s_and_not1_saveexec_b32 s7, s7
	s_cbranch_execnz .LBB9_2202
.LBB9_2136:
	s_or_b32 exec_lo, exec_lo, s7
	v_mov_b32_e32 v4, 0
	s_and_saveexec_b32 s7, s5
.LBB9_2137:
	v_lshrrev_b32_e32 v2, 24, v2
	s_delay_alu instid0(VALU_DEP_1)
	v_and_or_b32 v4, 0x80, v2, v3
.LBB9_2138:
	s_or_b32 exec_lo, exec_lo, s7
.LBB9_2139:
	s_delay_alu instid0(SALU_CYCLE_1)
	s_or_b32 exec_lo, exec_lo, s4
	global_store_b8 v[0:1], v4, off
.LBB9_2140:
	s_mov_b32 s4, 0
.LBB9_2141:
	s_delay_alu instid0(SALU_CYCLE_1)
	s_and_b32 vcc_lo, exec_lo, s4
	s_cbranch_vccz .LBB9_2181
; %bb.2142:
	s_cmp_gt_i32 s2, 22
	s_mov_b32 s3, -1
	s_cbranch_scc0 .LBB9_2174
; %bb.2143:
	s_cmp_lt_i32 s2, 24
	s_cbranch_scc1 .LBB9_2163
; %bb.2144:
	s_cmp_gt_i32 s2, 24
	s_cbranch_scc0 .LBB9_2152
; %bb.2145:
	s_wait_xcnt 0x0
	v_cvt_f32_f64_e32 v2, v[12:13]
	v_mov_b32_e32 v4, 0x80
	s_mov_b32 s3, exec_lo
	s_delay_alu instid0(VALU_DEP_2) | instskip(NEXT) | instid1(VALU_DEP_1)
	v_and_b32_e32 v3, 0x7fffffff, v2
	v_cmpx_gt_u32_e32 0x47800000, v3
	s_cbranch_execz .LBB9_2151
; %bb.2146:
	v_cmp_lt_u32_e32 vcc_lo, 0x37ffffff, v3
	s_mov_b32 s4, 0
                                        ; implicit-def: $vgpr3
	s_and_saveexec_b32 s5, vcc_lo
	s_delay_alu instid0(SALU_CYCLE_1)
	s_xor_b32 s5, exec_lo, s5
	s_cbranch_execz .LBB9_2204
; %bb.2147:
	v_bfe_u32 v3, v2, 21, 1
	s_mov_b32 s4, exec_lo
	s_delay_alu instid0(VALU_DEP_1) | instskip(NEXT) | instid1(VALU_DEP_1)
	v_add3_u32 v3, v2, v3, 0x88fffff
	v_lshrrev_b32_e32 v3, 21, v3
	s_and_not1_saveexec_b32 s5, s5
	s_cbranch_execnz .LBB9_2205
.LBB9_2148:
	s_or_b32 exec_lo, exec_lo, s5
	v_mov_b32_e32 v4, 0
	s_and_saveexec_b32 s5, s4
.LBB9_2149:
	v_lshrrev_b32_e32 v2, 24, v2
	s_delay_alu instid0(VALU_DEP_1)
	v_and_or_b32 v4, 0x80, v2, v3
.LBB9_2150:
	s_or_b32 exec_lo, exec_lo, s5
.LBB9_2151:
	s_delay_alu instid0(SALU_CYCLE_1)
	s_or_b32 exec_lo, exec_lo, s3
	s_mov_b32 s3, 0
	global_store_b8 v[0:1], v4, off
.LBB9_2152:
	s_and_b32 vcc_lo, exec_lo, s3
	s_cbranch_vccz .LBB9_2162
; %bb.2153:
	s_wait_xcnt 0x0
	v_cvt_f32_f64_e32 v2, v[12:13]
	s_mov_b32 s3, exec_lo
                                        ; implicit-def: $vgpr3
	s_delay_alu instid0(VALU_DEP_1) | instskip(NEXT) | instid1(VALU_DEP_1)
	v_and_b32_e32 v4, 0x7fffffff, v2
	v_cmpx_gt_u32_e32 0x43f00000, v4
	s_xor_b32 s3, exec_lo, s3
	s_cbranch_execz .LBB9_2159
; %bb.2154:
	s_mov_b32 s4, exec_lo
                                        ; implicit-def: $vgpr3
	v_cmpx_lt_u32_e32 0x3c7fffff, v4
	s_xor_b32 s4, exec_lo, s4
; %bb.2155:
	v_bfe_u32 v3, v2, 20, 1
	s_delay_alu instid0(VALU_DEP_1) | instskip(NEXT) | instid1(VALU_DEP_1)
	v_add3_u32 v3, v2, v3, 0x407ffff
	v_and_b32_e32 v4, 0xff00000, v3
	v_lshrrev_b32_e32 v3, 20, v3
	s_delay_alu instid0(VALU_DEP_2) | instskip(NEXT) | instid1(VALU_DEP_2)
	v_cmp_ne_u32_e32 vcc_lo, 0x7f00000, v4
	v_cndmask_b32_e32 v3, 0x7e, v3, vcc_lo
; %bb.2156:
	s_and_not1_saveexec_b32 s4, s4
; %bb.2157:
	v_add_f32_e64 v3, 0x46800000, |v2|
; %bb.2158:
	s_or_b32 exec_lo, exec_lo, s4
                                        ; implicit-def: $vgpr4
.LBB9_2159:
	s_and_not1_saveexec_b32 s3, s3
; %bb.2160:
	v_mov_b32_e32 v3, 0x7f
	v_cmp_lt_u32_e32 vcc_lo, 0x7f800000, v4
	s_delay_alu instid0(VALU_DEP_2)
	v_cndmask_b32_e32 v3, 0x7e, v3, vcc_lo
; %bb.2161:
	s_or_b32 exec_lo, exec_lo, s3
	v_lshrrev_b32_e32 v2, 24, v2
	s_delay_alu instid0(VALU_DEP_1)
	v_and_or_b32 v2, 0x80, v2, v3
	global_store_b8 v[0:1], v2, off
.LBB9_2162:
	s_mov_b32 s3, 0
.LBB9_2163:
	s_delay_alu instid0(SALU_CYCLE_1)
	s_and_not1_b32 vcc_lo, exec_lo, s3
	s_cbranch_vccnz .LBB9_2173
; %bb.2164:
	s_wait_xcnt 0x0
	v_cvt_f32_f64_e32 v2, v[12:13]
	s_mov_b32 s3, exec_lo
                                        ; implicit-def: $vgpr3
	s_delay_alu instid0(VALU_DEP_1) | instskip(NEXT) | instid1(VALU_DEP_1)
	v_and_b32_e32 v4, 0x7fffffff, v2
	v_cmpx_gt_u32_e32 0x47800000, v4
	s_xor_b32 s3, exec_lo, s3
	s_cbranch_execz .LBB9_2170
; %bb.2165:
	s_mov_b32 s4, exec_lo
                                        ; implicit-def: $vgpr3
	v_cmpx_lt_u32_e32 0x387fffff, v4
	s_xor_b32 s4, exec_lo, s4
; %bb.2166:
	v_bfe_u32 v3, v2, 21, 1
	s_delay_alu instid0(VALU_DEP_1) | instskip(NEXT) | instid1(VALU_DEP_1)
	v_add3_u32 v3, v2, v3, 0x80fffff
	v_lshrrev_b32_e32 v3, 21, v3
; %bb.2167:
	s_and_not1_saveexec_b32 s4, s4
; %bb.2168:
	v_add_f32_e64 v3, 0x43000000, |v2|
; %bb.2169:
	s_or_b32 exec_lo, exec_lo, s4
                                        ; implicit-def: $vgpr4
.LBB9_2170:
	s_and_not1_saveexec_b32 s3, s3
; %bb.2171:
	v_mov_b32_e32 v3, 0x7f
	v_cmp_lt_u32_e32 vcc_lo, 0x7f800000, v4
	s_delay_alu instid0(VALU_DEP_2)
	v_cndmask_b32_e32 v3, 0x7c, v3, vcc_lo
; %bb.2172:
	s_or_b32 exec_lo, exec_lo, s3
	v_lshrrev_b32_e32 v2, 24, v2
	s_delay_alu instid0(VALU_DEP_1)
	v_and_or_b32 v2, 0x80, v2, v3
	global_store_b8 v[0:1], v2, off
.LBB9_2173:
	s_mov_b32 s3, 0
.LBB9_2174:
	s_delay_alu instid0(SALU_CYCLE_1)
	s_and_not1_b32 vcc_lo, exec_lo, s3
	s_mov_b32 s3, 0
	s_cbranch_vccnz .LBB9_2181
; %bb.2175:
	s_cmp_gt_i32 s2, 14
	s_mov_b32 s3, -1
	s_cbranch_scc0 .LBB9_2179
; %bb.2176:
	s_cmp_eq_u32 s2, 15
	s_mov_b32 s0, -1
	s_cbranch_scc0 .LBB9_2178
; %bb.2177:
	s_wait_xcnt 0x0
	v_cvt_f32_f64_e32 v2, v[12:13]
	s_mov_b32 s0, 0
	s_delay_alu instid0(VALU_DEP_1) | instskip(SKIP_1) | instid1(VALU_DEP_2)
	v_bfe_u32 v3, v2, 16, 1
	v_cmp_o_f32_e32 vcc_lo, v2, v2
	v_add3_u32 v3, v2, v3, 0x7fff
	s_delay_alu instid0(VALU_DEP_1) | instskip(NEXT) | instid1(VALU_DEP_1)
	v_lshrrev_b32_e32 v3, 16, v3
	v_cndmask_b32_e32 v2, 0x7fc0, v3, vcc_lo
	global_store_b16 v[0:1], v2, off
.LBB9_2178:
	s_mov_b32 s3, 0
.LBB9_2179:
	s_delay_alu instid0(SALU_CYCLE_1)
	s_and_b32 vcc_lo, exec_lo, s3
	s_mov_b32 s3, 0
	s_cbranch_vccz .LBB9_2181
; %bb.2180:
	s_cmp_lg_u32 s2, 11
	s_mov_b32 s3, -1
	s_cselect_b32 s0, -1, 0
.LBB9_2181:
	s_delay_alu instid0(SALU_CYCLE_1)
	s_and_b32 vcc_lo, exec_lo, s0
	s_cbranch_vccnz .LBB9_2203
.LBB9_2182:
	s_mov_b32 s0, 0
	s_branch .LBB9_1784
.LBB9_2183:
	s_mov_b32 s0, 0
	s_wait_xcnt 0x0
	s_mov_b32 s3, 0
                                        ; implicit-def: $vgpr0_vgpr1
                                        ; implicit-def: $sgpr6
	s_branch .LBB9_1784
.LBB9_2184:
	s_mov_b32 s3, 0
	s_mov_b32 s0, -1
	s_branch .LBB9_1784
.LBB9_2185:
	s_or_b32 s1, s1, exec_lo
	s_trap 2
	s_cbranch_execz .LBB9_1649
	s_branch .LBB9_1650
.LBB9_2186:
	s_and_not1_saveexec_b32 s11, s11
	s_cbranch_execz .LBB9_1733
.LBB9_2187:
	v_add_f32_e64 v3, 0x46000000, |v2|
	s_and_not1_b32 s10, s10, exec_lo
	s_delay_alu instid0(VALU_DEP_1) | instskip(NEXT) | instid1(VALU_DEP_1)
	v_and_b32_e32 v3, 0xff, v3
	v_cmp_ne_u32_e32 vcc_lo, 0, v3
	s_and_b32 s12, vcc_lo, exec_lo
	s_delay_alu instid0(SALU_CYCLE_1)
	s_or_b32 s10, s10, s12
	s_or_b32 exec_lo, exec_lo, s11
	v_mov_b32_e32 v7, 0
	s_and_saveexec_b32 s11, s10
	s_cbranch_execnz .LBB9_1734
	s_branch .LBB9_1735
.LBB9_2188:
	s_or_b32 s1, s1, exec_lo
	s_trap 2
	s_cbranch_execz .LBB9_1781
	s_branch .LBB9_1782
.LBB9_2189:
	s_and_not1_saveexec_b32 s10, s10
	s_cbranch_execz .LBB9_1746
.LBB9_2190:
	v_add_f32_e64 v3, 0x42800000, |v2|
	s_and_not1_b32 s7, s7, exec_lo
	s_delay_alu instid0(VALU_DEP_1) | instskip(NEXT) | instid1(VALU_DEP_1)
	v_and_b32_e32 v3, 0xff, v3
	v_cmp_ne_u32_e32 vcc_lo, 0, v3
	s_and_b32 s11, vcc_lo, exec_lo
	s_delay_alu instid0(SALU_CYCLE_1)
	s_or_b32 s7, s7, s11
	s_or_b32 exec_lo, exec_lo, s10
	v_mov_b32_e32 v7, 0
	s_and_saveexec_b32 s10, s7
	s_cbranch_execnz .LBB9_1747
	s_branch .LBB9_1748
.LBB9_2191:
	s_and_not1_saveexec_b32 s11, s11
	s_cbranch_execz .LBB9_1897
.LBB9_2192:
	v_add_f32_e64 v3, 0x46000000, |v2|
	s_and_not1_b32 s10, s10, exec_lo
	s_delay_alu instid0(VALU_DEP_1) | instskip(NEXT) | instid1(VALU_DEP_1)
	v_and_b32_e32 v3, 0xff, v3
	v_cmp_ne_u32_e32 vcc_lo, 0, v3
	s_and_b32 s12, vcc_lo, exec_lo
	s_delay_alu instid0(SALU_CYCLE_1)
	s_or_b32 s10, s10, s12
	s_or_b32 exec_lo, exec_lo, s11
	v_mov_b32_e32 v6, 0
	s_and_saveexec_b32 s11, s10
	s_cbranch_execnz .LBB9_1898
	s_branch .LBB9_1899
.LBB9_2193:
	s_or_b32 s1, s1, exec_lo
	s_trap 2
	s_cbranch_execz .LBB9_1945
	s_branch .LBB9_1946
.LBB9_2194:
	s_and_not1_saveexec_b32 s10, s10
	s_cbranch_execz .LBB9_1910
.LBB9_2195:
	v_add_f32_e64 v3, 0x42800000, |v2|
	s_and_not1_b32 s7, s7, exec_lo
	s_delay_alu instid0(VALU_DEP_1) | instskip(NEXT) | instid1(VALU_DEP_1)
	v_and_b32_e32 v3, 0xff, v3
	v_cmp_ne_u32_e32 vcc_lo, 0, v3
	s_and_b32 s11, vcc_lo, exec_lo
	s_delay_alu instid0(SALU_CYCLE_1)
	s_or_b32 s7, s7, s11
	s_or_b32 exec_lo, exec_lo, s10
	v_mov_b32_e32 v6, 0
	s_and_saveexec_b32 s10, s7
	s_cbranch_execnz .LBB9_1911
	s_branch .LBB9_1912
.LBB9_2196:
	s_and_not1_saveexec_b32 s11, s11
	s_cbranch_execz .LBB9_2016
.LBB9_2197:
	v_add_f32_e64 v3, 0x46000000, |v2|
	s_and_not1_b32 s10, s10, exec_lo
	s_delay_alu instid0(VALU_DEP_1) | instskip(NEXT) | instid1(VALU_DEP_1)
	v_and_b32_e32 v3, 0xff, v3
	v_cmp_ne_u32_e32 vcc_lo, 0, v3
	s_and_b32 s12, vcc_lo, exec_lo
	s_delay_alu instid0(SALU_CYCLE_1)
	s_or_b32 s10, s10, s12
	s_or_b32 exec_lo, exec_lo, s11
	v_mov_b32_e32 v4, 0
	s_and_saveexec_b32 s11, s10
	s_cbranch_execnz .LBB9_2017
	s_branch .LBB9_2018
.LBB9_2198:
	s_or_b32 s1, s1, exec_lo
	s_trap 2
	s_cbranch_execz .LBB9_2064
	s_branch .LBB9_2065
.LBB9_2199:
	s_and_not1_saveexec_b32 s10, s10
	s_cbranch_execz .LBB9_2029
.LBB9_2200:
	v_add_f32_e64 v3, 0x42800000, |v2|
	s_and_not1_b32 s7, s7, exec_lo
	s_delay_alu instid0(VALU_DEP_1) | instskip(NEXT) | instid1(VALU_DEP_1)
	v_and_b32_e32 v3, 0xff, v3
	v_cmp_ne_u32_e32 vcc_lo, 0, v3
	s_and_b32 s11, vcc_lo, exec_lo
	s_delay_alu instid0(SALU_CYCLE_1)
	s_or_b32 s7, s7, s11
	s_or_b32 exec_lo, exec_lo, s10
	v_mov_b32_e32 v4, 0
	s_and_saveexec_b32 s10, s7
	s_cbranch_execnz .LBB9_2030
	s_branch .LBB9_2031
.LBB9_2201:
	s_and_not1_saveexec_b32 s7, s7
	s_cbranch_execz .LBB9_2136
.LBB9_2202:
	v_add_f32_e64 v3, 0x46000000, |v2|
	s_and_not1_b32 s5, s5, exec_lo
	s_delay_alu instid0(VALU_DEP_1) | instskip(NEXT) | instid1(VALU_DEP_1)
	v_and_b32_e32 v3, 0xff, v3
	v_cmp_ne_u32_e32 vcc_lo, 0, v3
	s_and_b32 s10, vcc_lo, exec_lo
	s_delay_alu instid0(SALU_CYCLE_1)
	s_or_b32 s5, s5, s10
	s_or_b32 exec_lo, exec_lo, s7
	v_mov_b32_e32 v4, 0
	s_and_saveexec_b32 s7, s5
	s_cbranch_execnz .LBB9_2137
	s_branch .LBB9_2138
.LBB9_2203:
	s_mov_b32 s3, 0
	s_or_b32 s1, s1, exec_lo
	s_trap 2
	s_branch .LBB9_2182
.LBB9_2204:
	s_and_not1_saveexec_b32 s5, s5
	s_cbranch_execz .LBB9_2148
.LBB9_2205:
	v_add_f32_e64 v3, 0x42800000, |v2|
	s_and_not1_b32 s4, s4, exec_lo
	s_delay_alu instid0(VALU_DEP_1) | instskip(NEXT) | instid1(VALU_DEP_1)
	v_and_b32_e32 v3, 0xff, v3
	v_cmp_ne_u32_e32 vcc_lo, 0, v3
	s_and_b32 s7, vcc_lo, exec_lo
	s_delay_alu instid0(SALU_CYCLE_1)
	s_or_b32 s4, s4, s7
	s_or_b32 exec_lo, exec_lo, s5
	v_mov_b32_e32 v4, 0
	s_and_saveexec_b32 s5, s4
	s_cbranch_execnz .LBB9_2149
	s_branch .LBB9_2150
	.section	.rodata,"a",@progbits
	.p2align	6, 0x0
	.amdhsa_kernel _ZN2at6native32elementwise_kernel_manual_unrollILi128ELi4EZNS0_15gpu_kernel_implIZZZNS0_12_GLOBAL__N_130modified_bessel_i0_kernel_cudaERNS_18TensorIteratorBaseEENKUlvE_clEvENKUlvE_clEvEUldE_EEvS5_RKT_EUlibE0_EEviT1_
		.amdhsa_group_segment_fixed_size 0
		.amdhsa_private_segment_fixed_size 0
		.amdhsa_kernarg_size 360
		.amdhsa_user_sgpr_count 2
		.amdhsa_user_sgpr_dispatch_ptr 0
		.amdhsa_user_sgpr_queue_ptr 0
		.amdhsa_user_sgpr_kernarg_segment_ptr 1
		.amdhsa_user_sgpr_dispatch_id 0
		.amdhsa_user_sgpr_kernarg_preload_length 0
		.amdhsa_user_sgpr_kernarg_preload_offset 0
		.amdhsa_user_sgpr_private_segment_size 0
		.amdhsa_wavefront_size32 1
		.amdhsa_uses_dynamic_stack 0
		.amdhsa_enable_private_segment 0
		.amdhsa_system_sgpr_workgroup_id_x 1
		.amdhsa_system_sgpr_workgroup_id_y 0
		.amdhsa_system_sgpr_workgroup_id_z 0
		.amdhsa_system_sgpr_workgroup_info 0
		.amdhsa_system_vgpr_workitem_id 0
		.amdhsa_next_free_vgpr 36
		.amdhsa_next_free_sgpr 68
		.amdhsa_named_barrier_count 0
		.amdhsa_reserve_vcc 1
		.amdhsa_float_round_mode_32 0
		.amdhsa_float_round_mode_16_64 0
		.amdhsa_float_denorm_mode_32 3
		.amdhsa_float_denorm_mode_16_64 3
		.amdhsa_fp16_overflow 0
		.amdhsa_memory_ordered 1
		.amdhsa_forward_progress 1
		.amdhsa_inst_pref_size 255
		.amdhsa_round_robin_scheduling 0
		.amdhsa_exception_fp_ieee_invalid_op 0
		.amdhsa_exception_fp_denorm_src 0
		.amdhsa_exception_fp_ieee_div_zero 0
		.amdhsa_exception_fp_ieee_overflow 0
		.amdhsa_exception_fp_ieee_underflow 0
		.amdhsa_exception_fp_ieee_inexact 0
		.amdhsa_exception_int_div_zero 0
	.end_amdhsa_kernel
	.section	.text._ZN2at6native32elementwise_kernel_manual_unrollILi128ELi4EZNS0_15gpu_kernel_implIZZZNS0_12_GLOBAL__N_130modified_bessel_i0_kernel_cudaERNS_18TensorIteratorBaseEENKUlvE_clEvENKUlvE_clEvEUldE_EEvS5_RKT_EUlibE0_EEviT1_,"axG",@progbits,_ZN2at6native32elementwise_kernel_manual_unrollILi128ELi4EZNS0_15gpu_kernel_implIZZZNS0_12_GLOBAL__N_130modified_bessel_i0_kernel_cudaERNS_18TensorIteratorBaseEENKUlvE_clEvENKUlvE_clEvEUldE_EEvS5_RKT_EUlibE0_EEviT1_,comdat
.Lfunc_end9:
	.size	_ZN2at6native32elementwise_kernel_manual_unrollILi128ELi4EZNS0_15gpu_kernel_implIZZZNS0_12_GLOBAL__N_130modified_bessel_i0_kernel_cudaERNS_18TensorIteratorBaseEENKUlvE_clEvENKUlvE_clEvEUldE_EEvS5_RKT_EUlibE0_EEviT1_, .Lfunc_end9-_ZN2at6native32elementwise_kernel_manual_unrollILi128ELi4EZNS0_15gpu_kernel_implIZZZNS0_12_GLOBAL__N_130modified_bessel_i0_kernel_cudaERNS_18TensorIteratorBaseEENKUlvE_clEvENKUlvE_clEvEUldE_EEvS5_RKT_EUlibE0_EEviT1_
                                        ; -- End function
	.set _ZN2at6native32elementwise_kernel_manual_unrollILi128ELi4EZNS0_15gpu_kernel_implIZZZNS0_12_GLOBAL__N_130modified_bessel_i0_kernel_cudaERNS_18TensorIteratorBaseEENKUlvE_clEvENKUlvE_clEvEUldE_EEvS5_RKT_EUlibE0_EEviT1_.num_vgpr, 36
	.set _ZN2at6native32elementwise_kernel_manual_unrollILi128ELi4EZNS0_15gpu_kernel_implIZZZNS0_12_GLOBAL__N_130modified_bessel_i0_kernel_cudaERNS_18TensorIteratorBaseEENKUlvE_clEvENKUlvE_clEvEUldE_EEvS5_RKT_EUlibE0_EEviT1_.num_agpr, 0
	.set _ZN2at6native32elementwise_kernel_manual_unrollILi128ELi4EZNS0_15gpu_kernel_implIZZZNS0_12_GLOBAL__N_130modified_bessel_i0_kernel_cudaERNS_18TensorIteratorBaseEENKUlvE_clEvENKUlvE_clEvEUldE_EEvS5_RKT_EUlibE0_EEviT1_.numbered_sgpr, 68
	.set _ZN2at6native32elementwise_kernel_manual_unrollILi128ELi4EZNS0_15gpu_kernel_implIZZZNS0_12_GLOBAL__N_130modified_bessel_i0_kernel_cudaERNS_18TensorIteratorBaseEENKUlvE_clEvENKUlvE_clEvEUldE_EEvS5_RKT_EUlibE0_EEviT1_.num_named_barrier, 0
	.set _ZN2at6native32elementwise_kernel_manual_unrollILi128ELi4EZNS0_15gpu_kernel_implIZZZNS0_12_GLOBAL__N_130modified_bessel_i0_kernel_cudaERNS_18TensorIteratorBaseEENKUlvE_clEvENKUlvE_clEvEUldE_EEvS5_RKT_EUlibE0_EEviT1_.private_seg_size, 0
	.set _ZN2at6native32elementwise_kernel_manual_unrollILi128ELi4EZNS0_15gpu_kernel_implIZZZNS0_12_GLOBAL__N_130modified_bessel_i0_kernel_cudaERNS_18TensorIteratorBaseEENKUlvE_clEvENKUlvE_clEvEUldE_EEvS5_RKT_EUlibE0_EEviT1_.uses_vcc, 1
	.set _ZN2at6native32elementwise_kernel_manual_unrollILi128ELi4EZNS0_15gpu_kernel_implIZZZNS0_12_GLOBAL__N_130modified_bessel_i0_kernel_cudaERNS_18TensorIteratorBaseEENKUlvE_clEvENKUlvE_clEvEUldE_EEvS5_RKT_EUlibE0_EEviT1_.uses_flat_scratch, 0
	.set _ZN2at6native32elementwise_kernel_manual_unrollILi128ELi4EZNS0_15gpu_kernel_implIZZZNS0_12_GLOBAL__N_130modified_bessel_i0_kernel_cudaERNS_18TensorIteratorBaseEENKUlvE_clEvENKUlvE_clEvEUldE_EEvS5_RKT_EUlibE0_EEviT1_.has_dyn_sized_stack, 0
	.set _ZN2at6native32elementwise_kernel_manual_unrollILi128ELi4EZNS0_15gpu_kernel_implIZZZNS0_12_GLOBAL__N_130modified_bessel_i0_kernel_cudaERNS_18TensorIteratorBaseEENKUlvE_clEvENKUlvE_clEvEUldE_EEvS5_RKT_EUlibE0_EEviT1_.has_recursion, 0
	.set _ZN2at6native32elementwise_kernel_manual_unrollILi128ELi4EZNS0_15gpu_kernel_implIZZZNS0_12_GLOBAL__N_130modified_bessel_i0_kernel_cudaERNS_18TensorIteratorBaseEENKUlvE_clEvENKUlvE_clEvEUldE_EEvS5_RKT_EUlibE0_EEviT1_.has_indirect_call, 0
	.section	.AMDGPU.csdata,"",@progbits
; Kernel info:
; codeLenInByte = 65328
; TotalNumSgprs: 70
; NumVgprs: 36
; ScratchSize: 0
; MemoryBound: 1
; FloatMode: 240
; IeeeMode: 1
; LDSByteSize: 0 bytes/workgroup (compile time only)
; SGPRBlocks: 0
; VGPRBlocks: 2
; NumSGPRsForWavesPerEU: 70
; NumVGPRsForWavesPerEU: 36
; NamedBarCnt: 0
; Occupancy: 16
; WaveLimiterHint : 1
; COMPUTE_PGM_RSRC2:SCRATCH_EN: 0
; COMPUTE_PGM_RSRC2:USER_SGPR: 2
; COMPUTE_PGM_RSRC2:TRAP_HANDLER: 0
; COMPUTE_PGM_RSRC2:TGID_X_EN: 1
; COMPUTE_PGM_RSRC2:TGID_Y_EN: 0
; COMPUTE_PGM_RSRC2:TGID_Z_EN: 0
; COMPUTE_PGM_RSRC2:TIDIG_COMP_CNT: 0
	.text
	.p2align	2                               ; -- Begin function _ZN2at6native25elementwise_kernel_helperILb0EZZZNS0_12_GLOBAL__N_130modified_bessel_i0_kernel_cudaERNS_18TensorIteratorBaseEENKUlvE_clEvENKUlvE0_clEvEUlfE_NS0_6memory8policies11unroll_baseILi256ESt5arrayIPcLm2EE23TrivialOffsetCalculatorILi1EjESF_NS8_15LoadWithoutCastENS8_16StoreWithoutCastELi4ELi1EEEEEvT0_T1_
	.type	_ZN2at6native25elementwise_kernel_helperILb0EZZZNS0_12_GLOBAL__N_130modified_bessel_i0_kernel_cudaERNS_18TensorIteratorBaseEENKUlvE_clEvENKUlvE0_clEvEUlfE_NS0_6memory8policies11unroll_baseILi256ESt5arrayIPcLm2EE23TrivialOffsetCalculatorILi1EjESF_NS8_15LoadWithoutCastENS8_16StoreWithoutCastELi4ELi1EEEEEvT0_T1_,@function
_ZN2at6native25elementwise_kernel_helperILb0EZZZNS0_12_GLOBAL__N_130modified_bessel_i0_kernel_cudaERNS_18TensorIteratorBaseEENKUlvE_clEvENKUlvE0_clEvEUlfE_NS0_6memory8policies11unroll_baseILi256ESt5arrayIPcLm2EE23TrivialOffsetCalculatorILi1EjESF_NS8_15LoadWithoutCastENS8_16StoreWithoutCastELi4ELi1EEEEEvT0_T1_: ; @_ZN2at6native25elementwise_kernel_helperILb0EZZZNS0_12_GLOBAL__N_130modified_bessel_i0_kernel_cudaERNS_18TensorIteratorBaseEENKUlvE_clEvENKUlvE0_clEvEUlfE_NS0_6memory8policies11unroll_baseILi256ESt5arrayIPcLm2EE23TrivialOffsetCalculatorILi1EjESF_NS8_15LoadWithoutCastENS8_16StoreWithoutCastELi4ELi1EEEEEvT0_T1_
; %bb.0:
	s_wait_loadcnt_dscnt 0x0
	s_wait_kmcnt 0x0
	s_bfe_u32 s0, ttmp6, 0x4000c
	s_and_b32 s1, ttmp6, 15
	s_add_co_i32 s0, s0, 1
	s_getreg_b32 s2, hwreg(HW_REG_IB_STS2, 6, 4)
	s_mul_i32 s0, ttmp9, s0
	v_and_b32_e32 v7, 0x3ff, v31
	s_add_co_i32 s1, s1, s0
	s_cmp_eq_u32 s2, 0
	v_mov_b32_e32 v13, 0
	s_cselect_b32 s0, ttmp9, s1
	v_add_nc_u32_e32 v10, 0x100, v7
	s_lshl_b32 s2, s0, 10
	v_cmp_lt_i32_e64 s0, v7, v4
	v_dual_mov_b32 v12, 0 :: v_dual_bitop2_b32 v8, s2, v7 bitop3:0x54
	v_mov_b32_e32 v5, v7
	s_and_saveexec_b32 s1, s0
	s_cbranch_execz .LBB10_2
; %bb.1:
	v_mov_b32_e32 v9, 0
	v_add_nc_u32_e32 v5, 0x100, v7
	s_delay_alu instid0(VALU_DEP_2)
	v_lshl_add_u64 v[14:15], v[8:9], 2, v[2:3]
	flat_load_b32 v6, v[14:15]
	s_wait_loadcnt_dscnt 0x0
	v_and_b32_e32 v13, 0x7fffffff, v6
.LBB10_2:
	s_wait_xcnt 0x0
	s_or_b32 exec_lo, exec_lo, s1
	s_delay_alu instid0(SALU_CYCLE_1)
	s_mov_b32 s1, exec_lo
	v_cmpx_lt_i32_e64 v5, v4
	s_cbranch_execz .LBB10_4
; %bb.3:
	v_dual_mov_b32 v15, 0 :: v_dual_add_nc_u32 v14, s2, v5
	v_add_nc_u32_e32 v5, 0x100, v5
	s_delay_alu instid0(VALU_DEP_2)
	v_lshl_add_u64 v[14:15], v[14:15], 2, v[2:3]
	flat_load_b32 v6, v[14:15]
	s_wait_loadcnt_dscnt 0x0
	v_and_b32_e32 v12, 0x7fffffff, v6
.LBB10_4:
	s_wait_xcnt 0x0
	s_or_b32 exec_lo, exec_lo, s1
	v_dual_mov_b32 v9, 0 :: v_dual_mov_b32 v11, 0
	s_mov_b32 s1, exec_lo
	v_cmpx_lt_i32_e64 v5, v4
	s_cbranch_execz .LBB10_6
; %bb.5:
	v_dual_mov_b32 v15, 0 :: v_dual_add_nc_u32 v14, s2, v5
	v_add_nc_u32_e32 v5, 0x100, v5
	s_delay_alu instid0(VALU_DEP_2)
	v_lshl_add_u64 v[14:15], v[14:15], 2, v[2:3]
	flat_load_b32 v6, v[14:15]
	s_wait_loadcnt_dscnt 0x0
	v_and_b32_e32 v11, 0x7fffffff, v6
.LBB10_6:
	s_wait_xcnt 0x0
	s_or_b32 exec_lo, exec_lo, s1
	s_delay_alu instid0(SALU_CYCLE_1)
	s_mov_b32 s1, exec_lo
	v_cmpx_lt_i32_e64 v5, v4
	s_cbranch_execz .LBB10_8
; %bb.7:
	v_dual_mov_b32 v15, 0 :: v_dual_add_nc_u32 v14, s2, v5
	s_delay_alu instid0(VALU_DEP_1)
	v_lshl_add_u64 v[2:3], v[14:15], 2, v[2:3]
	flat_load_b32 v2, v[2:3]
	s_wait_loadcnt_dscnt 0x0
	v_and_b32_e32 v9, 0x7fffffff, v2
.LBB10_8:
	s_wait_xcnt 0x0
	s_or_b32 exec_lo, exec_lo, s1
	v_mov_b32_e32 v2, 0
	s_delay_alu instid0(VALU_DEP_1)
	v_dual_mov_b32 v5, v2 :: v_dual_mov_b32 v6, v2
	v_mov_b32_e32 v3, v2
	s_and_saveexec_b32 s3, s0
	s_cbranch_execz .LBB10_14
; %bb.9:
	v_mul_f32_e32 v3, 0x3fb8aa3b, v13
	s_mov_b32 s1, exec_lo
                                        ; implicit-def: $vgpr2
	v_cmpx_ge_f32_e32 0x41000000, v13
	s_xor_b32 s1, exec_lo, s1
	s_cbranch_execz .LBB10_11
; %bb.10:
	v_fma_f32 v2, v13, 0.5, -2.0
	s_mov_b32 s4, 0xa2a2e5b9
	v_rndne_f32_e32 v14, v3
	v_fma_f32 v15, 0x3fb8aa3b, v13, -v3
	v_cmp_ngt_f32_e32 vcc_lo, 0xc2ce8ed0, v13
	v_fmaak_f32 v5, s4, v2, 0x24199b15
	s_delay_alu instid0(VALU_DEP_4) | instskip(NEXT) | instid1(VALU_DEP_4)
	v_sub_f32_e32 v3, v3, v14
	v_fmamk_f32 v15, v13, 0x32a5705f, v15
	v_cvt_i32_f32_e32 v14, v14
	s_delay_alu instid0(VALU_DEP_2) | instskip(NEXT) | instid1(VALU_DEP_1)
	v_dual_fmaak_f32 v6, v2, v5, 0x22a2e5b9 :: v_dual_add_f32 v3, v3, v15
	v_add_f32_e32 v6, 0xa58c275c, v6
	s_delay_alu instid0(VALU_DEP_2) | instskip(SKIP_1) | instid1(TRANS32_DEP_1)
	v_exp_f32_e32 v3, v3
	v_nop
	v_ldexp_f32 v3, v3, v14
	s_delay_alu instid0(VALU_DEP_1) | instskip(SKIP_1) | instid1(VALU_DEP_2)
	v_dual_fma_f32 v5, v2, v6, -v5 :: v_dual_cndmask_b32 v3, 0, v3, vcc_lo
	v_cmp_nlt_f32_e32 vcc_lo, 0x42b17218, v13
                                        ; implicit-def: $vgpr13
	v_cndmask_b32_e32 v3, 0x7f800000, v3, vcc_lo
	s_delay_alu instid0(VALU_DEP_3) | instskip(NEXT) | instid1(VALU_DEP_1)
	v_add_f32_e32 v5, 0x26f736c5, v5
	v_fma_f32 v6, v2, v5, -v6
	s_delay_alu instid0(VALU_DEP_1) | instskip(NEXT) | instid1(VALU_DEP_1)
	v_add_f32_e32 v6, 0xa8528116, v6
	v_fma_f32 v5, v2, v6, -v5
	s_delay_alu instid0(VALU_DEP_1) | instskip(NEXT) | instid1(VALU_DEP_1)
	;; [unrolled: 3-line block ×26, first 2 shown]
	v_add_f32_e32 v2, 0x3f2d4275, v2
	v_sub_f32_e32 v2, v2, v5
	s_delay_alu instid0(VALU_DEP_1) | instskip(NEXT) | instid1(VALU_DEP_1)
	v_mul_f32_e32 v2, 0.5, v2
	v_mul_f32_e32 v2, v3, v2
                                        ; implicit-def: $vgpr3
.LBB10_11:
	s_and_not1_saveexec_b32 s4, s1
	s_cbranch_execz .LBB10_13
; %bb.12:
	v_div_scale_f32 v2, null, v13, v13, 0x42000000
	v_div_scale_f32 v14, vcc_lo, 0x42000000, v13, 0x42000000
	s_mov_b32 s1, 0xa3056dbb
	v_rcp_f32_e32 v5, v2
	v_fma_f32 v16, 0x3fb8aa3b, v13, -v3
	s_delay_alu instid0(VALU_DEP_1) | instskip(NEXT) | instid1(TRANS32_DEP_1)
	v_fmamk_f32 v16, v13, 0x32a5705f, v16
	v_fma_f32 v6, -v2, v5, 1.0
	s_delay_alu instid0(VALU_DEP_1) | instskip(NEXT) | instid1(VALU_DEP_1)
	v_fmac_f32_e32 v5, v6, v5
	v_mul_f32_e32 v6, v14, v5
	s_delay_alu instid0(VALU_DEP_1) | instskip(NEXT) | instid1(VALU_DEP_1)
	v_fma_f32 v15, -v2, v6, v14
	v_fmac_f32_e32 v6, v15, v5
	v_rndne_f32_e32 v15, v3
	s_delay_alu instid0(VALU_DEP_2) | instskip(NEXT) | instid1(VALU_DEP_2)
	v_fma_f32 v2, -v2, v6, v14
	v_dual_mul_f32 v14, 0x4f800000, v13 :: v_dual_sub_f32 v3, v3, v15
	v_cvt_i32_f32_e32 v15, v15
	s_delay_alu instid0(VALU_DEP_3) | instskip(SKIP_1) | instid1(VALU_DEP_4)
	v_div_fmas_f32 v2, v2, v5, v6
	v_cmp_gt_f32_e32 vcc_lo, 0xf800000, v13
	v_add_f32_e32 v3, v3, v16
	s_delay_alu instid0(VALU_DEP_3) | instskip(NEXT) | instid1(VALU_DEP_2)
	v_div_fixup_f32 v2, v2, v13, 0x42000000
	v_exp_f32_e32 v3, v3
	s_delay_alu instid0(VALU_DEP_1) | instskip(SKIP_1) | instid1(TRANS32_DEP_1)
	v_add_f32_e32 v2, -2.0, v2
	v_cndmask_b32_e32 v14, v13, v14, vcc_lo
	v_ldexp_f32 v3, v3, v15
	s_delay_alu instid0(VALU_DEP_3) | instskip(NEXT) | instid1(VALU_DEP_3)
	v_fmaak_f32 v5, s1, v2, 0xa2b236d3
	v_sqrt_f32_e32 v17, v14
	s_delay_alu instid0(VALU_DEP_1) | instskip(NEXT) | instid1(TRANS32_DEP_1)
	v_fmaak_f32 v6, v2, v5, 0x23056dbb
	v_dual_add_nc_u32 v18, -1, v17 :: v_dual_add_nc_u32 v16, 1, v17
	s_delay_alu instid0(VALU_DEP_2) | instskip(NEXT) | instid1(VALU_DEP_2)
	v_add_f32_e32 v6, 0x244df0c1, v6
	v_dual_fma_f32 v19, -v18, v17, v14 :: v_dual_fma_f32 v20, -v16, v17, v14
	s_delay_alu instid0(VALU_DEP_2) | instskip(NEXT) | instid1(VALU_DEP_2)
	v_fma_f32 v5, v2, v6, -v5
	v_cmp_ge_f32_e64 s1, 0, v19
	s_delay_alu instid0(VALU_DEP_2) | instskip(NEXT) | instid1(VALU_DEP_2)
	v_add_f32_e32 v5, 0x241f9ee8, v5
	v_cndmask_b32_e64 v17, v17, v18, s1
	v_cmp_lt_f32_e64 s1, 0, v20
	s_delay_alu instid0(VALU_DEP_3) | instskip(NEXT) | instid1(VALU_DEP_1)
	v_fma_f32 v6, v2, v5, -v6
	v_add_f32_e32 v6, 0xa5a3005d, v6
	s_delay_alu instid0(VALU_DEP_1) | instskip(NEXT) | instid1(VALU_DEP_1)
	v_fma_f32 v5, v2, v6, -v5
	v_add_f32_e32 v5, 0xa5c5773f, v5
	s_delay_alu instid0(VALU_DEP_1) | instskip(NEXT) | instid1(VALU_DEP_1)
	;; [unrolled: 3-line block ×19, first 2 shown]
	v_fma_f32 v5, v2, v6, -v5
	v_add_f32_e32 v5, 0x3b5ccc65, v5
	s_delay_alu instid0(VALU_DEP_1) | instskip(SKIP_1) | instid1(VALU_DEP_2)
	v_dual_fma_f32 v2, v2, v5, -v6 :: v_dual_cndmask_b32 v5, v17, v16, s1
	v_cmp_ngt_f32_e64 s1, 0xc2ce8ed0, v13
	v_add_f32_e32 v2, 0x3f4df315, v2
	s_delay_alu instid0(VALU_DEP_3) | instskip(NEXT) | instid1(VALU_DEP_3)
	v_mul_f32_e32 v15, 0x37800000, v5
	v_cndmask_b32_e64 v3, 0, v3, s1
	v_cmp_nlt_f32_e64 s1, 0x42b17218, v13
	s_delay_alu instid0(VALU_DEP_3) | instskip(SKIP_1) | instid1(VALU_DEP_3)
	v_dual_sub_f32 v2, v2, v6 :: v_dual_cndmask_b32 v5, v5, v15
	v_cmp_class_f32_e64 vcc_lo, v14, 0x260
	v_cndmask_b32_e64 v3, 0x7f800000, v3, s1
	s_delay_alu instid0(VALU_DEP_3) | instskip(NEXT) | instid1(VALU_DEP_4)
	v_mul_f32_e32 v2, 0.5, v2
	v_cndmask_b32_e32 v5, v5, v14, vcc_lo
	s_delay_alu instid0(VALU_DEP_2) | instskip(NEXT) | instid1(VALU_DEP_1)
	v_mul_f32_e32 v2, v3, v2
	v_div_scale_f32 v3, null, v5, v5, v2
	s_delay_alu instid0(VALU_DEP_1) | instskip(SKIP_1) | instid1(TRANS32_DEP_1)
	v_rcp_f32_e32 v6, v3
	v_nop
	v_fma_f32 v13, -v3, v6, 1.0
	s_delay_alu instid0(VALU_DEP_1) | instskip(SKIP_1) | instid1(VALU_DEP_1)
	v_fmac_f32_e32 v6, v13, v6
	v_div_scale_f32 v13, vcc_lo, v2, v5, v2
	v_mul_f32_e32 v14, v13, v6
	s_delay_alu instid0(VALU_DEP_1) | instskip(NEXT) | instid1(VALU_DEP_1)
	v_fma_f32 v15, -v3, v14, v13
	v_fmac_f32_e32 v14, v15, v6
	s_delay_alu instid0(VALU_DEP_1) | instskip(NEXT) | instid1(VALU_DEP_1)
	v_fma_f32 v3, -v3, v14, v13
	v_div_fmas_f32 v3, v3, v6, v14
	s_delay_alu instid0(VALU_DEP_1)
	v_div_fixup_f32 v2, v3, v5, v2
.LBB10_13:
	s_or_b32 exec_lo, exec_lo, s4
	v_mov_b32_e32 v5, 0
	s_delay_alu instid0(VALU_DEP_1)
	v_dual_mov_b32 v6, v5 :: v_dual_mov_b32 v3, v5
.LBB10_14:
	s_or_b32 exec_lo, exec_lo, s3
	s_delay_alu instid0(SALU_CYCLE_1)
	s_mov_b32 s3, exec_lo
	v_cmpx_lt_i32_e64 v10, v4
	s_cbranch_execz .LBB10_20
; %bb.15:
	v_mul_f32_e32 v13, 0x3fb8aa3b, v12
	s_mov_b32 s1, exec_lo
	v_cmpx_ge_f32_e32 0x41000000, v12
	s_xor_b32 s1, exec_lo, s1
                                        ; implicit-def: $vgpr5
	s_cbranch_execz .LBB10_17
; %bb.16:
	v_fma_f32 v5, v12, 0.5, -2.0
	v_rndne_f32_e32 v16, v13
	v_fma_f32 v17, 0x3fb8aa3b, v12, -v13
	s_mov_b32 s4, 0xa2a2e5b9
	v_cmp_ngt_f32_e32 vcc_lo, 0xc2ce8ed0, v12
	s_delay_alu instid0(VALU_DEP_3) | instskip(NEXT) | instid1(VALU_DEP_3)
	v_dual_fmaak_f32 v14, s4, v5, 0x24199b15 :: v_dual_sub_f32 v13, v13, v16
	v_fmamk_f32 v17, v12, 0x32a5705f, v17
	v_cvt_i32_f32_e32 v16, v16
	s_delay_alu instid0(VALU_DEP_3) | instskip(NEXT) | instid1(VALU_DEP_3)
	v_fmaak_f32 v15, v5, v14, 0x22a2e5b9
	v_add_f32_e32 v13, v13, v17
	s_delay_alu instid0(VALU_DEP_2) | instskip(NEXT) | instid1(VALU_DEP_2)
	v_add_f32_e32 v15, 0xa58c275c, v15
	v_exp_f32_e32 v13, v13
	v_nop
	s_delay_alu instid0(TRANS32_DEP_1) | instskip(NEXT) | instid1(VALU_DEP_1)
	v_ldexp_f32 v13, v13, v16
	v_dual_fma_f32 v14, v5, v15, -v14 :: v_dual_cndmask_b32 v13, 0, v13, vcc_lo
	s_delay_alu instid0(VALU_DEP_1) | instskip(SKIP_1) | instid1(VALU_DEP_2)
	v_add_f32_e32 v14, 0x26f736c5, v14
	v_cmp_nlt_f32_e32 vcc_lo, 0x42b17218, v12
	v_fma_f32 v15, v5, v14, -v15
	s_delay_alu instid0(VALU_DEP_4) | instskip(NEXT) | instid1(VALU_DEP_2)
	v_cndmask_b32_e32 v12, 0x7f800000, v13, vcc_lo
                                        ; implicit-def: $vgpr13
	v_add_f32_e32 v15, 0xa8528116, v15
	s_delay_alu instid0(VALU_DEP_1) | instskip(NEXT) | instid1(VALU_DEP_1)
	v_fma_f32 v14, v5, v15, -v14
	v_add_f32_e32 v14, 0x29acda32, v14
	s_delay_alu instid0(VALU_DEP_1) | instskip(NEXT) | instid1(VALU_DEP_1)
	v_fma_f32 v15, v5, v14, -v15
	;; [unrolled: 3-line block ×25, first 2 shown]
	v_add_f32_e32 v5, 0x3f2d4275, v5
	s_delay_alu instid0(VALU_DEP_1) | instskip(NEXT) | instid1(VALU_DEP_1)
	v_sub_f32_e32 v5, v5, v14
	v_mul_f32_e32 v5, 0.5, v5
	s_delay_alu instid0(VALU_DEP_1)
	v_mul_f32_e32 v5, v12, v5
                                        ; implicit-def: $vgpr12
.LBB10_17:
	s_and_not1_saveexec_b32 s4, s1
	s_cbranch_execz .LBB10_19
; %bb.18:
	v_div_scale_f32 v5, null, v12, v12, 0x42000000
	v_div_scale_f32 v16, vcc_lo, 0x42000000, v12, 0x42000000
	s_mov_b32 s1, 0xa3056dbb
	v_rcp_f32_e32 v14, v5
	v_fma_f32 v18, 0x3fb8aa3b, v12, -v13
	s_delay_alu instid0(VALU_DEP_1) | instskip(NEXT) | instid1(TRANS32_DEP_1)
	v_fmamk_f32 v18, v12, 0x32a5705f, v18
	v_fma_f32 v15, -v5, v14, 1.0
	s_delay_alu instid0(VALU_DEP_1) | instskip(NEXT) | instid1(VALU_DEP_1)
	v_fmac_f32_e32 v14, v15, v14
	v_mul_f32_e32 v15, v16, v14
	s_delay_alu instid0(VALU_DEP_1) | instskip(NEXT) | instid1(VALU_DEP_1)
	v_fma_f32 v17, -v5, v15, v16
	v_fmac_f32_e32 v15, v17, v14
	v_rndne_f32_e32 v17, v13
	s_delay_alu instid0(VALU_DEP_2) | instskip(NEXT) | instid1(VALU_DEP_2)
	v_fma_f32 v5, -v5, v15, v16
	v_dual_mul_f32 v16, 0x4f800000, v12 :: v_dual_sub_f32 v13, v13, v17
	v_cvt_i32_f32_e32 v17, v17
	s_delay_alu instid0(VALU_DEP_3) | instskip(SKIP_1) | instid1(VALU_DEP_2)
	v_div_fmas_f32 v5, v5, v14, v15
	v_cmp_gt_f32_e32 vcc_lo, 0xf800000, v12
	v_div_fixup_f32 v5, v5, v12, 0x42000000
	s_delay_alu instid0(VALU_DEP_1) | instskip(NEXT) | instid1(VALU_DEP_1)
	v_dual_cndmask_b32 v16, v12, v16 :: v_dual_add_f32 v5, -2.0, v5
	v_sqrt_f32_e32 v19, v16
	s_delay_alu instid0(VALU_DEP_1) | instskip(NEXT) | instid1(TRANS32_DEP_1)
	v_dual_add_f32 v13, v13, v18 :: v_dual_fmaak_f32 v14, s1, v5, 0xa2b236d3
	v_add_nc_u32_e32 v18, 1, v19
	s_delay_alu instid0(VALU_DEP_2) | instskip(NEXT) | instid1(VALU_DEP_2)
	v_exp_f32_e32 v13, v13
	v_dual_fmaak_f32 v15, v5, v14, 0x23056dbb :: v_dual_add_nc_u32 v20, -1, v19
	s_delay_alu instid0(VALU_DEP_2) | instskip(NEXT) | instid1(VALU_DEP_2)
	v_fma_f32 v22, -v18, v19, v16
	v_add_f32_e32 v15, 0x244df0c1, v15
	s_delay_alu instid0(VALU_DEP_3) | instskip(NEXT) | instid1(TRANS32_DEP_1)
	v_fma_f32 v21, -v20, v19, v16
	v_ldexp_f32 v13, v13, v17
	s_delay_alu instid0(VALU_DEP_2) | instskip(NEXT) | instid1(VALU_DEP_1)
	v_cmp_ge_f32_e64 s1, 0, v21
	v_dual_fma_f32 v14, v5, v15, -v14 :: v_dual_cndmask_b32 v19, v19, v20, s1
	s_delay_alu instid0(VALU_DEP_1) | instskip(SKIP_1) | instid1(VALU_DEP_2)
	v_add_f32_e32 v14, 0x241f9ee8, v14
	v_cmp_lt_f32_e64 s1, 0, v22
	v_fma_f32 v15, v5, v14, -v15
	s_delay_alu instid0(VALU_DEP_1) | instskip(NEXT) | instid1(VALU_DEP_1)
	v_add_f32_e32 v15, 0xa5a3005d, v15
	v_fma_f32 v14, v5, v15, -v14
	s_delay_alu instid0(VALU_DEP_1) | instskip(NEXT) | instid1(VALU_DEP_1)
	v_add_f32_e32 v14, 0xa5c5773f, v14
	;; [unrolled: 3-line block ×20, first 2 shown]
	v_fma_f32 v5, v5, v14, -v15
	v_cndmask_b32_e64 v14, v19, v18, s1
	v_cmp_ngt_f32_e64 s1, 0xc2ce8ed0, v12
	s_delay_alu instid0(VALU_DEP_3) | instskip(NEXT) | instid1(VALU_DEP_3)
	v_add_f32_e32 v5, 0x3f4df315, v5
	v_mul_f32_e32 v17, 0x37800000, v14
	s_delay_alu instid0(VALU_DEP_3) | instskip(SKIP_1) | instid1(VALU_DEP_4)
	v_cndmask_b32_e64 v13, 0, v13, s1
	v_cmp_nlt_f32_e64 s1, 0x42b17218, v12
	v_sub_f32_e32 v5, v5, v15
	s_delay_alu instid0(VALU_DEP_2) | instskip(SKIP_1) | instid1(VALU_DEP_3)
	v_cndmask_b32_e64 v12, 0x7f800000, v13, s1
	v_cndmask_b32_e32 v13, v14, v17, vcc_lo
	v_mul_f32_e32 v5, 0.5, v5
	v_cmp_class_f32_e64 vcc_lo, v16, 0x260
	s_delay_alu instid0(VALU_DEP_1) | instskip(NEXT) | instid1(VALU_DEP_1)
	v_dual_mul_f32 v5, v12, v5 :: v_dual_cndmask_b32 v13, v13, v16, vcc_lo
	v_div_scale_f32 v12, null, v13, v13, v5
	s_delay_alu instid0(VALU_DEP_1) | instskip(SKIP_1) | instid1(TRANS32_DEP_1)
	v_rcp_f32_e32 v14, v12
	v_nop
	v_fma_f32 v15, -v12, v14, 1.0
	s_delay_alu instid0(VALU_DEP_1) | instskip(SKIP_1) | instid1(VALU_DEP_1)
	v_fmac_f32_e32 v14, v15, v14
	v_div_scale_f32 v15, vcc_lo, v5, v13, v5
	v_mul_f32_e32 v16, v15, v14
	s_delay_alu instid0(VALU_DEP_1) | instskip(NEXT) | instid1(VALU_DEP_1)
	v_fma_f32 v17, -v12, v16, v15
	v_fmac_f32_e32 v16, v17, v14
	s_delay_alu instid0(VALU_DEP_1) | instskip(NEXT) | instid1(VALU_DEP_1)
	v_fma_f32 v12, -v12, v16, v15
	v_div_fmas_f32 v12, v12, v14, v16
	s_delay_alu instid0(VALU_DEP_1)
	v_div_fixup_f32 v5, v12, v13, v5
.LBB10_19:
	s_or_b32 exec_lo, exec_lo, s4
.LBB10_20:
	s_delay_alu instid0(SALU_CYCLE_1) | instskip(SKIP_2) | instid1(VALU_DEP_1)
	s_or_b32 exec_lo, exec_lo, s3
	v_add_nc_u32_e32 v12, 0x200, v7
	s_mov_b32 s3, exec_lo
	v_cmpx_lt_i32_e64 v12, v4
	s_cbranch_execz .LBB10_26
; %bb.21:
	v_mul_f32_e32 v12, 0x3fb8aa3b, v11
	s_mov_b32 s1, exec_lo
	v_cmpx_ge_f32_e32 0x41000000, v11
	s_xor_b32 s1, exec_lo, s1
                                        ; implicit-def: $vgpr6
	s_cbranch_execz .LBB10_23
; %bb.22:
	v_fma_f32 v6, v11, 0.5, -2.0
	s_mov_b32 s4, 0xa2a2e5b9
	v_rndne_f32_e32 v15, v12
	v_fma_f32 v16, 0x3fb8aa3b, v11, -v12
	v_cmp_ngt_f32_e32 vcc_lo, 0xc2ce8ed0, v11
	s_delay_alu instid0(VALU_DEP_3) | instskip(NEXT) | instid1(VALU_DEP_3)
	v_dual_fmaak_f32 v13, s4, v6, 0x24199b15 :: v_dual_sub_f32 v12, v12, v15
	v_fmamk_f32 v16, v11, 0x32a5705f, v16
	v_cvt_i32_f32_e32 v15, v15
	s_delay_alu instid0(VALU_DEP_3) | instskip(NEXT) | instid1(VALU_DEP_3)
	v_fmaak_f32 v14, v6, v13, 0x22a2e5b9
	v_add_f32_e32 v12, v12, v16
	s_delay_alu instid0(VALU_DEP_2) | instskip(NEXT) | instid1(VALU_DEP_2)
	v_add_f32_e32 v14, 0xa58c275c, v14
	v_exp_f32_e32 v12, v12
	s_delay_alu instid0(VALU_DEP_1) | instskip(NEXT) | instid1(TRANS32_DEP_1)
	v_fma_f32 v13, v6, v14, -v13
	v_ldexp_f32 v12, v12, v15
	s_delay_alu instid0(VALU_DEP_1) | instskip(NEXT) | instid1(VALU_DEP_1)
	v_dual_add_f32 v13, 0x26f736c5, v13 :: v_dual_cndmask_b32 v12, 0, v12
	v_fma_f32 v14, v6, v13, -v14
	v_cmp_nlt_f32_e32 vcc_lo, 0x42b17218, v11
	s_delay_alu instid0(VALU_DEP_2) | instskip(NEXT) | instid1(VALU_DEP_4)
	v_add_f32_e32 v14, 0xa8528116, v14
	v_cndmask_b32_e32 v11, 0x7f800000, v12, vcc_lo
                                        ; implicit-def: $vgpr12
	s_delay_alu instid0(VALU_DEP_2) | instskip(NEXT) | instid1(VALU_DEP_1)
	v_fma_f32 v13, v6, v14, -v13
	v_add_f32_e32 v13, 0x29acda32, v13
	s_delay_alu instid0(VALU_DEP_1) | instskip(NEXT) | instid1(VALU_DEP_1)
	v_fma_f32 v14, v6, v13, -v14
	v_add_f32_e32 v14, 0xab08b263, v14
	s_delay_alu instid0(VALU_DEP_1) | instskip(NEXT) | instid1(VALU_DEP_1)
	;; [unrolled: 3-line block ×25, first 2 shown]
	v_sub_f32_e32 v6, v6, v13
	v_mul_f32_e32 v6, 0.5, v6
	s_delay_alu instid0(VALU_DEP_1)
	v_mul_f32_e32 v6, v11, v6
                                        ; implicit-def: $vgpr11
.LBB10_23:
	s_and_not1_saveexec_b32 s4, s1
	s_cbranch_execz .LBB10_25
; %bb.24:
	v_div_scale_f32 v6, null, v11, v11, 0x42000000
	v_div_scale_f32 v15, vcc_lo, 0x42000000, v11, 0x42000000
	s_mov_b32 s1, 0xa3056dbb
	v_rcp_f32_e32 v13, v6
	v_fma_f32 v17, 0x3fb8aa3b, v11, -v12
	s_delay_alu instid0(VALU_DEP_1) | instskip(NEXT) | instid1(TRANS32_DEP_1)
	v_fmamk_f32 v17, v11, 0x32a5705f, v17
	v_fma_f32 v14, -v6, v13, 1.0
	s_delay_alu instid0(VALU_DEP_1) | instskip(NEXT) | instid1(VALU_DEP_1)
	v_fmac_f32_e32 v13, v14, v13
	v_mul_f32_e32 v14, v15, v13
	s_delay_alu instid0(VALU_DEP_1) | instskip(NEXT) | instid1(VALU_DEP_1)
	v_fma_f32 v16, -v6, v14, v15
	v_fmac_f32_e32 v14, v16, v13
	v_rndne_f32_e32 v16, v12
	s_delay_alu instid0(VALU_DEP_2) | instskip(NEXT) | instid1(VALU_DEP_2)
	v_fma_f32 v6, -v6, v14, v15
	v_dual_mul_f32 v15, 0x4f800000, v11 :: v_dual_sub_f32 v12, v12, v16
	v_cvt_i32_f32_e32 v16, v16
	s_delay_alu instid0(VALU_DEP_3) | instskip(SKIP_1) | instid1(VALU_DEP_4)
	v_div_fmas_f32 v6, v6, v13, v14
	v_cmp_gt_f32_e32 vcc_lo, 0xf800000, v11
	v_add_f32_e32 v12, v12, v17
	s_delay_alu instid0(VALU_DEP_3) | instskip(SKIP_1) | instid1(VALU_DEP_3)
	v_div_fixup_f32 v6, v6, v11, 0x42000000
	v_cndmask_b32_e32 v15, v11, v15, vcc_lo
	v_exp_f32_e32 v12, v12
	s_delay_alu instid0(VALU_DEP_2) | instskip(NEXT) | instid1(VALU_DEP_2)
	v_add_f32_e32 v6, -2.0, v6
	v_sqrt_f32_e32 v18, v15
	s_delay_alu instid0(TRANS32_DEP_2) | instskip(NEXT) | instid1(VALU_DEP_2)
	v_ldexp_f32 v12, v12, v16
	v_fmaak_f32 v13, s1, v6, 0xa2b236d3
	s_delay_alu instid0(TRANS32_DEP_1) | instskip(NEXT) | instid1(VALU_DEP_2)
	v_dual_add_nc_u32 v19, -1, v18 :: v_dual_add_nc_u32 v17, 1, v18
	v_fmaak_f32 v14, v6, v13, 0x23056dbb
	s_delay_alu instid0(VALU_DEP_2) | instskip(NEXT) | instid1(VALU_DEP_2)
	v_dual_fma_f32 v20, -v19, v18, v15 :: v_dual_fma_f32 v21, -v17, v18, v15
	v_add_f32_e32 v14, 0x244df0c1, v14
	s_delay_alu instid0(VALU_DEP_2) | instskip(NEXT) | instid1(VALU_DEP_2)
	v_cmp_ge_f32_e64 s1, 0, v20
	v_fma_f32 v13, v6, v14, -v13
	s_delay_alu instid0(VALU_DEP_2) | instskip(SKIP_1) | instid1(VALU_DEP_3)
	v_cndmask_b32_e64 v18, v18, v19, s1
	v_cmp_lt_f32_e64 s1, 0, v21
	v_add_f32_e32 v13, 0x241f9ee8, v13
	s_delay_alu instid0(VALU_DEP_1) | instskip(NEXT) | instid1(VALU_DEP_1)
	v_fma_f32 v14, v6, v13, -v14
	v_add_f32_e32 v14, 0xa5a3005d, v14
	s_delay_alu instid0(VALU_DEP_1) | instskip(NEXT) | instid1(VALU_DEP_1)
	v_fma_f32 v13, v6, v14, -v13
	v_add_f32_e32 v13, 0xa5c5773f, v13
	s_delay_alu instid0(VALU_DEP_1) | instskip(NEXT) | instid1(VALU_DEP_1)
	v_fma_f32 v14, v6, v13, -v14
	v_add_f32_e32 v14, 0x26ff73ed, v14
	s_delay_alu instid0(VALU_DEP_1) | instskip(NEXT) | instid1(VALU_DEP_1)
	v_fma_f32 v13, v6, v14, -v13
	v_add_f32_e32 v13, 0x2789548d, v13
	s_delay_alu instid0(VALU_DEP_1) | instskip(NEXT) | instid1(VALU_DEP_1)
	v_fma_f32 v14, v6, v13, -v14
	v_add_f32_e32 v14, 0xa82c1ff4, v14
	s_delay_alu instid0(VALU_DEP_1) | instskip(NEXT) | instid1(VALU_DEP_1)
	v_fma_f32 v13, v6, v14, -v13
	v_add_f32_e32 v13, 0xa93aecce, v13
	s_delay_alu instid0(VALU_DEP_1) | instskip(NEXT) | instid1(VALU_DEP_1)
	v_fma_f32 v14, v6, v13, -v14
	v_add_f32_e32 v14, 0x288ab7f8, v14
	s_delay_alu instid0(VALU_DEP_1) | instskip(NEXT) | instid1(VALU_DEP_1)
	v_fma_f32 v13, v6, v14, -v13
	v_add_f32_e32 v13, 0x2ad8e463, v13
	s_delay_alu instid0(VALU_DEP_1) | instskip(NEXT) | instid1(VALU_DEP_1)
	v_fma_f32 v14, v6, v13, -v14
	v_add_f32_e32 v14, 0x2b4a1a40, v14
	s_delay_alu instid0(VALU_DEP_1) | instskip(NEXT) | instid1(VALU_DEP_1)
	v_fma_f32 v13, v6, v14, -v13
	v_add_f32_e32 v13, 0xabfc8218, v13
	s_delay_alu instid0(VALU_DEP_1) | instskip(NEXT) | instid1(VALU_DEP_1)
	v_fma_f32 v14, v6, v13, -v14
	v_add_f32_e32 v14, 0xad687eba, v14
	s_delay_alu instid0(VALU_DEP_1) | instskip(NEXT) | instid1(VALU_DEP_1)
	v_fma_f32 v13, v6, v14, -v13
	v_add_f32_e32 v13, 0xae0a88e8, v13
	s_delay_alu instid0(VALU_DEP_1) | instskip(NEXT) | instid1(VALU_DEP_1)
	v_fma_f32 v14, v6, v13, -v14
	v_add_f32_e32 v14, 0x2d5127f5, v14
	s_delay_alu instid0(VALU_DEP_1) | instskip(NEXT) | instid1(VALU_DEP_1)
	v_fma_f32 v13, v6, v14, -v13
	v_add_f32_e32 v13, 0x3007ce66, v13
	s_delay_alu instid0(VALU_DEP_1) | instskip(NEXT) | instid1(VALU_DEP_1)
	v_fma_f32 v14, v6, v13, -v14
	v_add_f32_e32 v14, 0x31696325, v14
	s_delay_alu instid0(VALU_DEP_1) | instskip(NEXT) | instid1(VALU_DEP_1)
	v_fma_f32 v13, v6, v14, -v13
	v_add_f32_e32 v13, 0x32c2b494, v13
	s_delay_alu instid0(VALU_DEP_1) | instskip(NEXT) | instid1(VALU_DEP_1)
	v_fma_f32 v14, v6, v13, -v14
	v_add_f32_e32 v14, 0x345c003f, v14
	s_delay_alu instid0(VALU_DEP_1) | instskip(NEXT) | instid1(VALU_DEP_1)
	v_fma_f32 v13, v6, v14, -v13
	v_add_f32_e32 v13, 0x3642095e, v13
	s_delay_alu instid0(VALU_DEP_1) | instskip(NEXT) | instid1(VALU_DEP_1)
	v_fma_f32 v14, v6, v13, -v14
	v_add_f32_e32 v14, 0x38907d1c, v14
	s_delay_alu instid0(VALU_DEP_1) | instskip(NEXT) | instid1(VALU_DEP_1)
	v_fma_f32 v13, v6, v14, -v13
	v_add_f32_e32 v13, 0x3b5ccc65, v13
	s_delay_alu instid0(VALU_DEP_1) | instskip(SKIP_2) | instid1(VALU_DEP_3)
	v_fma_f32 v6, v6, v13, -v14
	v_cndmask_b32_e64 v13, v18, v17, s1
	v_cmp_ngt_f32_e64 s1, 0xc2ce8ed0, v11
	v_add_f32_e32 v6, 0x3f4df315, v6
	s_delay_alu instid0(VALU_DEP_3) | instskip(NEXT) | instid1(VALU_DEP_3)
	v_mul_f32_e32 v16, 0x37800000, v13
	v_cndmask_b32_e64 v12, 0, v12, s1
	v_cmp_nlt_f32_e64 s1, 0x42b17218, v11
	s_delay_alu instid0(VALU_DEP_4) | instskip(NEXT) | instid1(VALU_DEP_2)
	v_sub_f32_e32 v6, v6, v14
	v_cndmask_b32_e64 v11, 0x7f800000, v12, s1
	s_delay_alu instid0(VALU_DEP_2) | instskip(SKIP_1) | instid1(VALU_DEP_1)
	v_dual_cndmask_b32 v12, v13, v16, vcc_lo :: v_dual_mul_f32 v6, 0.5, v6
	v_cmp_class_f32_e64 vcc_lo, v15, 0x260
	v_dual_mul_f32 v6, v11, v6 :: v_dual_cndmask_b32 v12, v12, v15, vcc_lo
	s_delay_alu instid0(VALU_DEP_1) | instskip(NEXT) | instid1(VALU_DEP_1)
	v_div_scale_f32 v11, null, v12, v12, v6
	v_rcp_f32_e32 v13, v11
	v_nop
	s_delay_alu instid0(TRANS32_DEP_1) | instskip(NEXT) | instid1(VALU_DEP_1)
	v_fma_f32 v14, -v11, v13, 1.0
	v_fmac_f32_e32 v13, v14, v13
	v_div_scale_f32 v14, vcc_lo, v6, v12, v6
	s_delay_alu instid0(VALU_DEP_1) | instskip(NEXT) | instid1(VALU_DEP_1)
	v_mul_f32_e32 v15, v14, v13
	v_fma_f32 v16, -v11, v15, v14
	s_delay_alu instid0(VALU_DEP_1) | instskip(NEXT) | instid1(VALU_DEP_1)
	v_fmac_f32_e32 v15, v16, v13
	v_fma_f32 v11, -v11, v15, v14
	s_delay_alu instid0(VALU_DEP_1) | instskip(NEXT) | instid1(VALU_DEP_1)
	v_div_fmas_f32 v11, v11, v13, v15
	v_div_fixup_f32 v6, v11, v12, v6
.LBB10_25:
	s_or_b32 exec_lo, exec_lo, s4
.LBB10_26:
	s_delay_alu instid0(SALU_CYCLE_1) | instskip(SKIP_2) | instid1(VALU_DEP_1)
	s_or_b32 exec_lo, exec_lo, s3
	v_add_nc_u32_e32 v11, 0x300, v7
	s_mov_b32 s3, exec_lo
	v_cmpx_lt_i32_e64 v11, v4
	s_cbranch_execnz .LBB10_32
; %bb.27:
	s_or_b32 exec_lo, exec_lo, s3
	s_and_saveexec_b32 s1, s0
	s_delay_alu instid0(SALU_CYCLE_1)
	s_xor_b32 s0, exec_lo, s1
	s_cbranch_execnz .LBB10_37
.LBB10_28:
	s_or_b32 exec_lo, exec_lo, s0
	s_delay_alu instid0(SALU_CYCLE_1)
	s_mov_b32 s0, exec_lo
	v_cmpx_lt_i32_e64 v7, v4
	s_cbranch_execnz .LBB10_38
.LBB10_29:
	s_or_b32 exec_lo, exec_lo, s0
	s_delay_alu instid0(SALU_CYCLE_1)
	s_mov_b32 s0, exec_lo
	v_cmpx_lt_i32_e64 v7, v4
	s_cbranch_execnz .LBB10_39
.LBB10_30:
	s_or_b32 exec_lo, exec_lo, s0
	s_delay_alu instid0(SALU_CYCLE_1)
	s_mov_b32 s0, exec_lo
	v_cmpx_lt_i32_e64 v7, v4
	s_cbranch_execnz .LBB10_40
.LBB10_31:
	s_or_b32 exec_lo, exec_lo, s0
	s_wait_dscnt 0x0
	s_set_pc_i64 s[30:31]
.LBB10_32:
	v_mul_f32_e32 v11, 0x3fb8aa3b, v9
	s_mov_b32 s1, exec_lo
	v_cmpx_ge_f32_e32 0x41000000, v9
	s_xor_b32 s1, exec_lo, s1
                                        ; implicit-def: $vgpr3
	s_cbranch_execz .LBB10_34
; %bb.33:
	v_fma_f32 v3, v9, 0.5, -2.0
	v_rndne_f32_e32 v14, v11
	v_fma_f32 v15, 0x3fb8aa3b, v9, -v11
	s_mov_b32 s4, 0xa2a2e5b9
	v_cmp_ngt_f32_e32 vcc_lo, 0xc2ce8ed0, v9
	s_delay_alu instid0(VALU_DEP_3) | instskip(NEXT) | instid1(VALU_DEP_3)
	v_dual_fmaak_f32 v12, s4, v3, 0x24199b15 :: v_dual_sub_f32 v11, v11, v14
	v_fmamk_f32 v15, v9, 0x32a5705f, v15
	v_cvt_i32_f32_e32 v14, v14
	s_delay_alu instid0(VALU_DEP_3) | instskip(NEXT) | instid1(VALU_DEP_3)
	v_fmaak_f32 v13, v3, v12, 0x22a2e5b9
	v_add_f32_e32 v11, v11, v15
	s_delay_alu instid0(VALU_DEP_2) | instskip(NEXT) | instid1(VALU_DEP_2)
	v_add_f32_e32 v13, 0xa58c275c, v13
	v_exp_f32_e32 v11, v11
	v_nop
	s_delay_alu instid0(TRANS32_DEP_1) | instskip(NEXT) | instid1(VALU_DEP_1)
	v_ldexp_f32 v11, v11, v14
	v_dual_fma_f32 v12, v3, v13, -v12 :: v_dual_cndmask_b32 v11, 0, v11, vcc_lo
	s_delay_alu instid0(VALU_DEP_1) | instskip(SKIP_1) | instid1(VALU_DEP_2)
	v_add_f32_e32 v12, 0x26f736c5, v12
	v_cmp_nlt_f32_e32 vcc_lo, 0x42b17218, v9
	v_fma_f32 v13, v3, v12, -v13
	s_delay_alu instid0(VALU_DEP_4) | instskip(NEXT) | instid1(VALU_DEP_2)
	v_cndmask_b32_e32 v9, 0x7f800000, v11, vcc_lo
                                        ; implicit-def: $vgpr11
	v_add_f32_e32 v13, 0xa8528116, v13
	s_delay_alu instid0(VALU_DEP_1) | instskip(NEXT) | instid1(VALU_DEP_1)
	v_fma_f32 v12, v3, v13, -v12
	v_add_f32_e32 v12, 0x29acda32, v12
	s_delay_alu instid0(VALU_DEP_1) | instskip(NEXT) | instid1(VALU_DEP_1)
	v_fma_f32 v13, v3, v12, -v13
	;; [unrolled: 3-line block ×25, first 2 shown]
	v_add_f32_e32 v3, 0x3f2d4275, v3
	s_delay_alu instid0(VALU_DEP_1) | instskip(NEXT) | instid1(VALU_DEP_1)
	v_sub_f32_e32 v3, v3, v12
	v_mul_f32_e32 v3, 0.5, v3
	s_delay_alu instid0(VALU_DEP_1)
	v_mul_f32_e32 v3, v9, v3
                                        ; implicit-def: $vgpr9
.LBB10_34:
	s_and_not1_saveexec_b32 s4, s1
	s_cbranch_execz .LBB10_36
; %bb.35:
	v_div_scale_f32 v3, null, v9, v9, 0x42000000
	v_div_scale_f32 v14, vcc_lo, 0x42000000, v9, 0x42000000
	s_mov_b32 s1, 0xa3056dbb
	v_rcp_f32_e32 v12, v3
	v_fma_f32 v16, 0x3fb8aa3b, v9, -v11
	s_delay_alu instid0(VALU_DEP_1) | instskip(NEXT) | instid1(TRANS32_DEP_1)
	v_fmamk_f32 v16, v9, 0x32a5705f, v16
	v_fma_f32 v13, -v3, v12, 1.0
	s_delay_alu instid0(VALU_DEP_1) | instskip(NEXT) | instid1(VALU_DEP_1)
	v_fmac_f32_e32 v12, v13, v12
	v_mul_f32_e32 v13, v14, v12
	s_delay_alu instid0(VALU_DEP_1) | instskip(NEXT) | instid1(VALU_DEP_1)
	v_fma_f32 v15, -v3, v13, v14
	v_fmac_f32_e32 v13, v15, v12
	v_rndne_f32_e32 v15, v11
	s_delay_alu instid0(VALU_DEP_2) | instskip(NEXT) | instid1(VALU_DEP_2)
	v_fma_f32 v3, -v3, v13, v14
	v_dual_mul_f32 v14, 0x4f800000, v9 :: v_dual_sub_f32 v11, v11, v15
	v_cvt_i32_f32_e32 v15, v15
	s_delay_alu instid0(VALU_DEP_3) | instskip(SKIP_1) | instid1(VALU_DEP_2)
	v_div_fmas_f32 v3, v3, v12, v13
	v_cmp_gt_f32_e32 vcc_lo, 0xf800000, v9
	v_div_fixup_f32 v3, v3, v9, 0x42000000
	s_delay_alu instid0(VALU_DEP_1) | instskip(NEXT) | instid1(VALU_DEP_1)
	v_dual_cndmask_b32 v14, v9, v14 :: v_dual_add_f32 v3, -2.0, v3
	v_sqrt_f32_e32 v17, v14
	s_delay_alu instid0(VALU_DEP_1) | instskip(NEXT) | instid1(TRANS32_DEP_1)
	v_dual_add_f32 v11, v11, v16 :: v_dual_fmaak_f32 v12, s1, v3, 0xa2b236d3
	v_add_nc_u32_e32 v16, 1, v17
	s_delay_alu instid0(VALU_DEP_2) | instskip(NEXT) | instid1(VALU_DEP_2)
	v_exp_f32_e32 v11, v11
	v_dual_fmaak_f32 v13, v3, v12, 0x23056dbb :: v_dual_add_nc_u32 v18, -1, v17
	s_delay_alu instid0(VALU_DEP_2) | instskip(NEXT) | instid1(VALU_DEP_2)
	v_fma_f32 v20, -v16, v17, v14
	v_add_f32_e32 v13, 0x244df0c1, v13
	s_delay_alu instid0(VALU_DEP_3) | instskip(NEXT) | instid1(TRANS32_DEP_1)
	v_fma_f32 v19, -v18, v17, v14
	v_ldexp_f32 v11, v11, v15
	s_delay_alu instid0(VALU_DEP_2) | instskip(NEXT) | instid1(VALU_DEP_1)
	v_cmp_ge_f32_e64 s1, 0, v19
	v_dual_fma_f32 v12, v3, v13, -v12 :: v_dual_cndmask_b32 v17, v17, v18, s1
	s_delay_alu instid0(VALU_DEP_1) | instskip(SKIP_1) | instid1(VALU_DEP_2)
	v_add_f32_e32 v12, 0x241f9ee8, v12
	v_cmp_lt_f32_e64 s1, 0, v20
	v_fma_f32 v13, v3, v12, -v13
	s_delay_alu instid0(VALU_DEP_1) | instskip(NEXT) | instid1(VALU_DEP_1)
	v_add_f32_e32 v13, 0xa5a3005d, v13
	v_fma_f32 v12, v3, v13, -v12
	s_delay_alu instid0(VALU_DEP_1) | instskip(NEXT) | instid1(VALU_DEP_1)
	v_add_f32_e32 v12, 0xa5c5773f, v12
	;; [unrolled: 3-line block ×20, first 2 shown]
	v_fma_f32 v3, v3, v12, -v13
	v_cndmask_b32_e64 v12, v17, v16, s1
	v_cmp_ngt_f32_e64 s1, 0xc2ce8ed0, v9
	s_delay_alu instid0(VALU_DEP_3) | instskip(NEXT) | instid1(VALU_DEP_3)
	v_add_f32_e32 v3, 0x3f4df315, v3
	v_mul_f32_e32 v15, 0x37800000, v12
	s_delay_alu instid0(VALU_DEP_3) | instskip(SKIP_1) | instid1(VALU_DEP_4)
	v_cndmask_b32_e64 v11, 0, v11, s1
	v_cmp_nlt_f32_e64 s1, 0x42b17218, v9
	v_sub_f32_e32 v3, v3, v13
	s_delay_alu instid0(VALU_DEP_2) | instskip(SKIP_1) | instid1(VALU_DEP_3)
	v_cndmask_b32_e64 v9, 0x7f800000, v11, s1
	v_cndmask_b32_e32 v11, v12, v15, vcc_lo
	v_mul_f32_e32 v3, 0.5, v3
	v_cmp_class_f32_e64 vcc_lo, v14, 0x260
	s_delay_alu instid0(VALU_DEP_1) | instskip(NEXT) | instid1(VALU_DEP_1)
	v_dual_mul_f32 v3, v9, v3 :: v_dual_cndmask_b32 v11, v11, v14, vcc_lo
	v_div_scale_f32 v9, null, v11, v11, v3
	s_delay_alu instid0(VALU_DEP_1) | instskip(SKIP_1) | instid1(TRANS32_DEP_1)
	v_rcp_f32_e32 v12, v9
	v_nop
	v_fma_f32 v13, -v9, v12, 1.0
	s_delay_alu instid0(VALU_DEP_1) | instskip(SKIP_1) | instid1(VALU_DEP_1)
	v_fmac_f32_e32 v12, v13, v12
	v_div_scale_f32 v13, vcc_lo, v3, v11, v3
	v_mul_f32_e32 v14, v13, v12
	s_delay_alu instid0(VALU_DEP_1) | instskip(NEXT) | instid1(VALU_DEP_1)
	v_fma_f32 v15, -v9, v14, v13
	v_fmac_f32_e32 v14, v15, v12
	s_delay_alu instid0(VALU_DEP_1) | instskip(NEXT) | instid1(VALU_DEP_1)
	v_fma_f32 v9, -v9, v14, v13
	v_div_fmas_f32 v9, v9, v12, v14
	s_delay_alu instid0(VALU_DEP_1)
	v_div_fixup_f32 v3, v9, v11, v3
.LBB10_36:
	s_or_b32 exec_lo, exec_lo, s4
	s_delay_alu instid0(SALU_CYCLE_1) | instskip(SKIP_1) | instid1(SALU_CYCLE_1)
	s_or_b32 exec_lo, exec_lo, s3
	s_and_saveexec_b32 s1, s0
	s_xor_b32 s0, exec_lo, s1
	s_cbranch_execz .LBB10_28
.LBB10_37:
	v_dual_mov_b32 v9, 0 :: v_dual_mov_b32 v7, v10
	s_delay_alu instid0(VALU_DEP_1) | instskip(SKIP_3) | instid1(SALU_CYCLE_1)
	v_lshl_add_u64 v[8:9], v[8:9], 2, v[0:1]
	flat_store_b32 v[8:9], v2
	s_wait_xcnt 0x0
	s_or_b32 exec_lo, exec_lo, s0
	s_mov_b32 s0, exec_lo
	v_cmpx_lt_i32_e64 v7, v4
	s_cbranch_execz .LBB10_29
.LBB10_38:
	v_dual_mov_b32 v9, 0 :: v_dual_add_nc_u32 v8, s2, v7
	v_add_nc_u32_e32 v7, 0x100, v7
	s_delay_alu instid0(VALU_DEP_2) | instskip(SKIP_3) | instid1(SALU_CYCLE_1)
	v_lshl_add_u64 v[8:9], v[8:9], 2, v[0:1]
	flat_store_b32 v[8:9], v5
	s_wait_xcnt 0x0
	s_or_b32 exec_lo, exec_lo, s0
	s_mov_b32 s0, exec_lo
	v_cmpx_lt_i32_e64 v7, v4
	s_cbranch_execz .LBB10_30
.LBB10_39:
	v_dual_mov_b32 v9, 0 :: v_dual_add_nc_u32 v8, s2, v7
	v_add_nc_u32_e32 v7, 0x100, v7
	s_delay_alu instid0(VALU_DEP_2) | instskip(SKIP_3) | instid1(SALU_CYCLE_1)
	v_lshl_add_u64 v[8:9], v[8:9], 2, v[0:1]
	flat_store_b32 v[8:9], v6
	s_wait_xcnt 0x0
	s_or_b32 exec_lo, exec_lo, s0
	s_mov_b32 s0, exec_lo
	v_cmpx_lt_i32_e64 v7, v4
	s_cbranch_execz .LBB10_31
.LBB10_40:
	v_dual_mov_b32 v5, 0 :: v_dual_add_nc_u32 v4, s2, v7
	s_delay_alu instid0(VALU_DEP_1)
	v_lshl_add_u64 v[0:1], v[4:5], 2, v[0:1]
	flat_store_b32 v[0:1], v3
	s_wait_xcnt 0x0
	s_or_b32 exec_lo, exec_lo, s0
	s_wait_dscnt 0x0
	s_set_pc_i64 s[30:31]
.Lfunc_end10:
	.size	_ZN2at6native25elementwise_kernel_helperILb0EZZZNS0_12_GLOBAL__N_130modified_bessel_i0_kernel_cudaERNS_18TensorIteratorBaseEENKUlvE_clEvENKUlvE0_clEvEUlfE_NS0_6memory8policies11unroll_baseILi256ESt5arrayIPcLm2EE23TrivialOffsetCalculatorILi1EjESF_NS8_15LoadWithoutCastENS8_16StoreWithoutCastELi4ELi1EEEEEvT0_T1_, .Lfunc_end10-_ZN2at6native25elementwise_kernel_helperILb0EZZZNS0_12_GLOBAL__N_130modified_bessel_i0_kernel_cudaERNS_18TensorIteratorBaseEENKUlvE_clEvENKUlvE0_clEvEUlfE_NS0_6memory8policies11unroll_baseILi256ESt5arrayIPcLm2EE23TrivialOffsetCalculatorILi1EjESF_NS8_15LoadWithoutCastENS8_16StoreWithoutCastELi4ELi1EEEEEvT0_T1_
                                        ; -- End function
	.set .L_ZN2at6native25elementwise_kernel_helperILb0EZZZNS0_12_GLOBAL__N_130modified_bessel_i0_kernel_cudaERNS_18TensorIteratorBaseEENKUlvE_clEvENKUlvE0_clEvEUlfE_NS0_6memory8policies11unroll_baseILi256ESt5arrayIPcLm2EE23TrivialOffsetCalculatorILi1EjESF_NS8_15LoadWithoutCastENS8_16StoreWithoutCastELi4ELi1EEEEEvT0_T1_.num_vgpr, 32
	.set .L_ZN2at6native25elementwise_kernel_helperILb0EZZZNS0_12_GLOBAL__N_130modified_bessel_i0_kernel_cudaERNS_18TensorIteratorBaseEENKUlvE_clEvENKUlvE0_clEvEUlfE_NS0_6memory8policies11unroll_baseILi256ESt5arrayIPcLm2EE23TrivialOffsetCalculatorILi1EjESF_NS8_15LoadWithoutCastENS8_16StoreWithoutCastELi4ELi1EEEEEvT0_T1_.num_agpr, 0
	.set .L_ZN2at6native25elementwise_kernel_helperILb0EZZZNS0_12_GLOBAL__N_130modified_bessel_i0_kernel_cudaERNS_18TensorIteratorBaseEENKUlvE_clEvENKUlvE0_clEvEUlfE_NS0_6memory8policies11unroll_baseILi256ESt5arrayIPcLm2EE23TrivialOffsetCalculatorILi1EjESF_NS8_15LoadWithoutCastENS8_16StoreWithoutCastELi4ELi1EEEEEvT0_T1_.numbered_sgpr, 32
	.set .L_ZN2at6native25elementwise_kernel_helperILb0EZZZNS0_12_GLOBAL__N_130modified_bessel_i0_kernel_cudaERNS_18TensorIteratorBaseEENKUlvE_clEvENKUlvE0_clEvEUlfE_NS0_6memory8policies11unroll_baseILi256ESt5arrayIPcLm2EE23TrivialOffsetCalculatorILi1EjESF_NS8_15LoadWithoutCastENS8_16StoreWithoutCastELi4ELi1EEEEEvT0_T1_.num_named_barrier, 0
	.set .L_ZN2at6native25elementwise_kernel_helperILb0EZZZNS0_12_GLOBAL__N_130modified_bessel_i0_kernel_cudaERNS_18TensorIteratorBaseEENKUlvE_clEvENKUlvE0_clEvEUlfE_NS0_6memory8policies11unroll_baseILi256ESt5arrayIPcLm2EE23TrivialOffsetCalculatorILi1EjESF_NS8_15LoadWithoutCastENS8_16StoreWithoutCastELi4ELi1EEEEEvT0_T1_.private_seg_size, 0
	.set .L_ZN2at6native25elementwise_kernel_helperILb0EZZZNS0_12_GLOBAL__N_130modified_bessel_i0_kernel_cudaERNS_18TensorIteratorBaseEENKUlvE_clEvENKUlvE0_clEvEUlfE_NS0_6memory8policies11unroll_baseILi256ESt5arrayIPcLm2EE23TrivialOffsetCalculatorILi1EjESF_NS8_15LoadWithoutCastENS8_16StoreWithoutCastELi4ELi1EEEEEvT0_T1_.uses_vcc, 1
	.set .L_ZN2at6native25elementwise_kernel_helperILb0EZZZNS0_12_GLOBAL__N_130modified_bessel_i0_kernel_cudaERNS_18TensorIteratorBaseEENKUlvE_clEvENKUlvE0_clEvEUlfE_NS0_6memory8policies11unroll_baseILi256ESt5arrayIPcLm2EE23TrivialOffsetCalculatorILi1EjESF_NS8_15LoadWithoutCastENS8_16StoreWithoutCastELi4ELi1EEEEEvT0_T1_.uses_flat_scratch, 0
	.set .L_ZN2at6native25elementwise_kernel_helperILb0EZZZNS0_12_GLOBAL__N_130modified_bessel_i0_kernel_cudaERNS_18TensorIteratorBaseEENKUlvE_clEvENKUlvE0_clEvEUlfE_NS0_6memory8policies11unroll_baseILi256ESt5arrayIPcLm2EE23TrivialOffsetCalculatorILi1EjESF_NS8_15LoadWithoutCastENS8_16StoreWithoutCastELi4ELi1EEEEEvT0_T1_.has_dyn_sized_stack, 0
	.set .L_ZN2at6native25elementwise_kernel_helperILb0EZZZNS0_12_GLOBAL__N_130modified_bessel_i0_kernel_cudaERNS_18TensorIteratorBaseEENKUlvE_clEvENKUlvE0_clEvEUlfE_NS0_6memory8policies11unroll_baseILi256ESt5arrayIPcLm2EE23TrivialOffsetCalculatorILi1EjESF_NS8_15LoadWithoutCastENS8_16StoreWithoutCastELi4ELi1EEEEEvT0_T1_.has_recursion, 0
	.set .L_ZN2at6native25elementwise_kernel_helperILb0EZZZNS0_12_GLOBAL__N_130modified_bessel_i0_kernel_cudaERNS_18TensorIteratorBaseEENKUlvE_clEvENKUlvE0_clEvEUlfE_NS0_6memory8policies11unroll_baseILi256ESt5arrayIPcLm2EE23TrivialOffsetCalculatorILi1EjESF_NS8_15LoadWithoutCastENS8_16StoreWithoutCastELi4ELi1EEEEEvT0_T1_.has_indirect_call, 0
	.section	.AMDGPU.csdata,"",@progbits
; Function info:
; codeLenInByte = 7528
; TotalNumSgprs: 34
; NumVgprs: 32
; ScratchSize: 0
; MemoryBound: 0
	.section	.text._ZN2at6native29vectorized_elementwise_kernelILi16EZZZNS0_12_GLOBAL__N_130modified_bessel_i0_kernel_cudaERNS_18TensorIteratorBaseEENKUlvE_clEvENKUlvE0_clEvEUlfE_St5arrayIPcLm2EEEEviT0_T1_,"axG",@progbits,_ZN2at6native29vectorized_elementwise_kernelILi16EZZZNS0_12_GLOBAL__N_130modified_bessel_i0_kernel_cudaERNS_18TensorIteratorBaseEENKUlvE_clEvENKUlvE0_clEvEUlfE_St5arrayIPcLm2EEEEviT0_T1_,comdat
	.globl	_ZN2at6native29vectorized_elementwise_kernelILi16EZZZNS0_12_GLOBAL__N_130modified_bessel_i0_kernel_cudaERNS_18TensorIteratorBaseEENKUlvE_clEvENKUlvE0_clEvEUlfE_St5arrayIPcLm2EEEEviT0_T1_ ; -- Begin function _ZN2at6native29vectorized_elementwise_kernelILi16EZZZNS0_12_GLOBAL__N_130modified_bessel_i0_kernel_cudaERNS_18TensorIteratorBaseEENKUlvE_clEvENKUlvE0_clEvEUlfE_St5arrayIPcLm2EEEEviT0_T1_
	.p2align	8
	.type	_ZN2at6native29vectorized_elementwise_kernelILi16EZZZNS0_12_GLOBAL__N_130modified_bessel_i0_kernel_cudaERNS_18TensorIteratorBaseEENKUlvE_clEvENKUlvE0_clEvEUlfE_St5arrayIPcLm2EEEEviT0_T1_,@function
_ZN2at6native29vectorized_elementwise_kernelILi16EZZZNS0_12_GLOBAL__N_130modified_bessel_i0_kernel_cudaERNS_18TensorIteratorBaseEENKUlvE_clEvENKUlvE0_clEvEUlfE_St5arrayIPcLm2EEEEviT0_T1_: ; @_ZN2at6native29vectorized_elementwise_kernelILi16EZZZNS0_12_GLOBAL__N_130modified_bessel_i0_kernel_cudaERNS_18TensorIteratorBaseEENKUlvE_clEvENKUlvE0_clEvEUlfE_St5arrayIPcLm2EEEEviT0_T1_
; %bb.0:
	s_clause 0x1
	s_load_b32 s2, s[0:1], 0x0
	s_load_b128 s[4:7], s[0:1], 0x8
	s_wait_xcnt 0x0
	s_bfe_u32 s0, ttmp6, 0x4000c
	s_and_b32 s1, ttmp6, 15
	s_add_co_i32 s0, s0, 1
	s_getreg_b32 s3, hwreg(HW_REG_IB_STS2, 6, 4)
	s_mul_i32 s0, ttmp9, s0
	s_mov_b32 s32, 0
	s_add_co_i32 s1, s1, s0
	s_cmp_eq_u32 s3, 0
	s_cselect_b32 s0, ttmp9, s1
	s_mov_b32 s1, -1
	s_lshl_b32 s0, s0, 10
	s_wait_kmcnt 0x0
	s_sub_co_i32 s8, s2, s0
	s_delay_alu instid0(SALU_CYCLE_1)
	s_cmp_gt_i32 s8, 0x3ff
	s_cbranch_scc1 .LBB11_3
; %bb.1:
	s_and_b32 vcc_lo, exec_lo, s1
	s_cbranch_vccnz .LBB11_20
.LBB11_2:
	s_sendmsg sendmsg(MSG_DEALLOC_VGPRS)
	s_endpgm
.LBB11_3:
	s_ashr_i32 s1, s0, 31
                                        ; implicit-def: $vgpr6
	s_delay_alu instid0(SALU_CYCLE_1) | instskip(NEXT) | instid1(SALU_CYCLE_1)
	s_lshl_b64 s[2:3], s[0:1], 2
	s_add_nc_u64 s[0:1], s[6:7], s[2:3]
	global_load_b128 v[2:5], v0, s[0:1] scale_offset
	s_wait_loadcnt 0x0
	v_cmp_ge_f32_e64 s0, 0x41000000, |v2|
	v_mul_f32_e64 v1, 0x3fb8aa3b, |v2|
	s_and_saveexec_b32 s1, s0
	s_delay_alu instid0(SALU_CYCLE_1)
	s_xor_b32 s0, exec_lo, s1
	s_cbranch_execz .LBB11_5
; %bb.4:
	v_fma_f32 v6, |v2|, 0.5, -2.0
	s_mov_b32 s1, 0xa2a2e5b9
	v_rndne_f32_e32 v9, v1
	v_fma_f32 v10, 0x3fb8aa3b, |v2|, -v1
	v_cmp_ngt_f32_e64 vcc_lo, 0xc2ce8ed0, |v2|
	v_fmaak_f32 v7, s1, v6, 0x24199b15
	s_delay_alu instid0(VALU_DEP_4) | instskip(NEXT) | instid1(VALU_DEP_4)
	v_sub_f32_e32 v1, v1, v9
	v_fma_f32 v10, 0x32a5705f, |v2|, v10
	v_cvt_i32_f32_e32 v9, v9
	s_delay_alu instid0(VALU_DEP_2) | instskip(NEXT) | instid1(VALU_DEP_1)
	v_dual_fmaak_f32 v8, v6, v7, 0x22a2e5b9 :: v_dual_add_f32 v1, v1, v10
	v_add_f32_e32 v8, 0xa58c275c, v8
	s_delay_alu instid0(VALU_DEP_2) | instskip(SKIP_1) | instid1(TRANS32_DEP_1)
	v_exp_f32_e32 v1, v1
	v_nop
	v_ldexp_f32 v1, v1, v9
	s_delay_alu instid0(VALU_DEP_1) | instskip(SKIP_1) | instid1(VALU_DEP_2)
	v_dual_fma_f32 v7, v6, v8, -v7 :: v_dual_cndmask_b32 v1, 0, v1, vcc_lo
	v_cmp_nlt_f32_e64 vcc_lo, 0x42b17218, |v2|
	v_cndmask_b32_e32 v1, 0x7f800000, v1, vcc_lo
	s_delay_alu instid0(VALU_DEP_3) | instskip(NEXT) | instid1(VALU_DEP_1)
	v_add_f32_e32 v7, 0x26f736c5, v7
	v_fma_f32 v8, v6, v7, -v8
	s_delay_alu instid0(VALU_DEP_1) | instskip(NEXT) | instid1(VALU_DEP_1)
	v_add_f32_e32 v8, 0xa8528116, v8
	v_fma_f32 v7, v6, v8, -v7
	s_delay_alu instid0(VALU_DEP_1) | instskip(NEXT) | instid1(VALU_DEP_1)
	;; [unrolled: 3-line block ×26, first 2 shown]
	v_add_f32_e32 v6, 0x3f2d4275, v6
	v_sub_f32_e32 v6, v6, v7
	s_delay_alu instid0(VALU_DEP_1) | instskip(NEXT) | instid1(VALU_DEP_1)
	v_mul_f32_e32 v6, 0.5, v6
	v_mul_f32_e32 v6, v1, v6
                                        ; implicit-def: $vgpr1
.LBB11_5:
	s_and_not1_saveexec_b32 s1, s0
	s_cbranch_execz .LBB11_7
; %bb.6:
	v_and_b32_e32 v6, 0x7fffffff, v2
	v_fma_f32 v11, 0x3fb8aa3b, |v2|, -v1
	s_mov_b32 s0, 0xa3056dbb
	s_delay_alu instid0(VALU_DEP_2) | instskip(SKIP_1) | instid1(VALU_DEP_3)
	v_div_scale_f32 v7, null, v6, v6, 0x42000000
	v_div_scale_f32 v6, vcc_lo, 0x42000000, v6, 0x42000000
	v_fma_f32 v11, 0x32a5705f, |v2|, v11
	s_delay_alu instid0(VALU_DEP_3) | instskip(SKIP_1) | instid1(TRANS32_DEP_1)
	v_rcp_f32_e32 v8, v7
	v_nop
	v_fma_f32 v9, -v7, v8, 1.0
	s_delay_alu instid0(VALU_DEP_1) | instskip(NEXT) | instid1(VALU_DEP_1)
	v_fmac_f32_e32 v8, v9, v8
	v_mul_f32_e32 v9, v6, v8
	s_delay_alu instid0(VALU_DEP_1) | instskip(NEXT) | instid1(VALU_DEP_1)
	v_fma_f32 v10, -v7, v9, v6
	v_fmac_f32_e32 v9, v10, v8
	v_rndne_f32_e32 v10, v1
	s_delay_alu instid0(VALU_DEP_1) | instskip(SKIP_1) | instid1(VALU_DEP_2)
	v_dual_fma_f32 v6, -v7, v9, v6 :: v_dual_sub_f32 v1, v1, v10
	v_cvt_i32_f32_e32 v10, v10
	v_div_fmas_f32 v6, v6, v8, v9
	v_mul_f32_e64 v9, 0x4f800000, |v2|
	v_cmp_gt_f32_e64 vcc_lo, 0xf800000, |v2|
	v_add_f32_e32 v1, v1, v11
	s_delay_alu instid0(VALU_DEP_4) | instskip(NEXT) | instid1(VALU_DEP_3)
	v_div_fixup_f32 v6, v6, |v2|, 0x42000000
	v_cndmask_b32_e64 v9, |v2|, v9, vcc_lo
	s_delay_alu instid0(VALU_DEP_3) | instskip(NEXT) | instid1(VALU_DEP_2)
	v_exp_f32_e32 v1, v1
	v_add_f32_e32 v6, -2.0, v6
	s_delay_alu instid0(VALU_DEP_2) | instskip(NEXT) | instid1(VALU_DEP_1)
	v_sqrt_f32_e32 v12, v9
	v_fmaak_f32 v7, s0, v6, 0xa2b236d3
	s_delay_alu instid0(TRANS32_DEP_2)
	v_ldexp_f32 v1, v1, v10
	s_delay_alu instid0(TRANS32_DEP_1) | instid1(VALU_DEP_2)
	v_dual_fmaak_f32 v8, v6, v7, 0x23056dbb :: v_dual_add_nc_u32 v13, -1, v12
	s_delay_alu instid0(VALU_DEP_1) | instskip(NEXT) | instid1(VALU_DEP_2)
	v_dual_add_nc_u32 v11, 1, v12 :: v_dual_fma_f32 v14, -v13, v12, v9
	v_add_f32_e32 v8, 0x244df0c1, v8
	s_delay_alu instid0(VALU_DEP_2) | instskip(NEXT) | instid1(VALU_DEP_3)
	v_fma_f32 v15, -v11, v12, v9
	v_cmp_ge_f32_e64 s0, 0, v14
	s_delay_alu instid0(VALU_DEP_1) | instskip(NEXT) | instid1(VALU_DEP_1)
	v_dual_fma_f32 v7, v6, v8, -v7 :: v_dual_cndmask_b32 v12, v12, v13, s0
	v_add_f32_e32 v7, 0x241f9ee8, v7
	s_delay_alu instid0(VALU_DEP_4) | instskip(NEXT) | instid1(VALU_DEP_2)
	v_cmp_lt_f32_e64 s0, 0, v15
	v_fma_f32 v8, v6, v7, -v8
	s_delay_alu instid0(VALU_DEP_1) | instskip(NEXT) | instid1(VALU_DEP_1)
	v_add_f32_e32 v8, 0xa5a3005d, v8
	v_fma_f32 v7, v6, v8, -v7
	s_delay_alu instid0(VALU_DEP_1) | instskip(NEXT) | instid1(VALU_DEP_1)
	v_add_f32_e32 v7, 0xa5c5773f, v7
	;; [unrolled: 3-line block ×20, first 2 shown]
	v_fma_f32 v6, v6, v7, -v8
	v_cndmask_b32_e64 v7, v12, v11, s0
	v_cmp_ngt_f32_e64 s0, 0xc2ce8ed0, |v2|
	s_delay_alu instid0(VALU_DEP_3) | instskip(NEXT) | instid1(VALU_DEP_3)
	v_add_f32_e32 v6, 0x3f4df315, v6
	v_mul_f32_e32 v10, 0x37800000, v7
	s_delay_alu instid0(VALU_DEP_3) | instskip(SKIP_1) | instid1(VALU_DEP_3)
	v_cndmask_b32_e64 v1, 0, v1, s0
	v_cmp_nlt_f32_e64 s0, 0x42b17218, |v2|
	v_dual_sub_f32 v6, v6, v8 :: v_dual_cndmask_b32 v2, v7, v10, vcc_lo
	v_cmp_class_f32_e64 vcc_lo, v9, 0x260
	s_delay_alu instid0(VALU_DEP_3) | instskip(NEXT) | instid1(VALU_DEP_2)
	v_cndmask_b32_e64 v1, 0x7f800000, v1, s0
	v_dual_mul_f32 v6, 0.5, v6 :: v_dual_cndmask_b32 v2, v2, v9, vcc_lo
	s_delay_alu instid0(VALU_DEP_1) | instskip(NEXT) | instid1(VALU_DEP_1)
	v_mul_f32_e32 v1, v1, v6
	v_div_scale_f32 v6, null, v2, v2, v1
	s_delay_alu instid0(VALU_DEP_1) | instskip(SKIP_1) | instid1(TRANS32_DEP_1)
	v_rcp_f32_e32 v7, v6
	v_nop
	v_fma_f32 v8, -v6, v7, 1.0
	s_delay_alu instid0(VALU_DEP_1) | instskip(SKIP_1) | instid1(VALU_DEP_1)
	v_fmac_f32_e32 v7, v8, v7
	v_div_scale_f32 v8, vcc_lo, v1, v2, v1
	v_mul_f32_e32 v9, v8, v7
	s_delay_alu instid0(VALU_DEP_1) | instskip(NEXT) | instid1(VALU_DEP_1)
	v_fma_f32 v10, -v6, v9, v8
	v_fmac_f32_e32 v9, v10, v7
	s_delay_alu instid0(VALU_DEP_1) | instskip(NEXT) | instid1(VALU_DEP_1)
	v_fma_f32 v6, -v6, v9, v8
	v_div_fmas_f32 v6, v6, v7, v9
	s_delay_alu instid0(VALU_DEP_1)
	v_div_fixup_f32 v6, v6, v2, v1
.LBB11_7:
	s_or_b32 exec_lo, exec_lo, s1
	v_cmp_ge_f32_e64 s0, 0x41000000, |v3|
	v_mul_f32_e64 v1, 0x3fb8aa3b, |v3|
	s_and_saveexec_b32 s1, s0
	s_delay_alu instid0(SALU_CYCLE_1)
	s_xor_b32 s0, exec_lo, s1
	s_cbranch_execz .LBB11_9
; %bb.8:
	v_fma_f32 v2, |v3|, 0.5, -2.0
	s_mov_b32 s1, 0xa2a2e5b9
	v_rndne_f32_e32 v9, v1
	v_fma_f32 v10, 0x3fb8aa3b, |v3|, -v1
	v_cmp_ngt_f32_e64 vcc_lo, 0xc2ce8ed0, |v3|
	v_fmaak_f32 v7, s1, v2, 0x24199b15
	s_delay_alu instid0(VALU_DEP_4) | instskip(NEXT) | instid1(VALU_DEP_4)
	v_sub_f32_e32 v1, v1, v9
	v_fma_f32 v10, 0x32a5705f, |v3|, v10
	v_cvt_i32_f32_e32 v9, v9
	s_delay_alu instid0(VALU_DEP_2) | instskip(NEXT) | instid1(VALU_DEP_1)
	v_dual_fmaak_f32 v8, v2, v7, 0x22a2e5b9 :: v_dual_add_f32 v1, v1, v10
	v_add_f32_e32 v8, 0xa58c275c, v8
	s_delay_alu instid0(VALU_DEP_2) | instskip(SKIP_1) | instid1(TRANS32_DEP_1)
	v_exp_f32_e32 v1, v1
	v_nop
	v_ldexp_f32 v1, v1, v9
	s_delay_alu instid0(VALU_DEP_1) | instskip(NEXT) | instid1(VALU_DEP_1)
	v_dual_fma_f32 v7, v2, v8, -v7 :: v_dual_cndmask_b32 v1, 0, v1, vcc_lo
	v_add_f32_e32 v7, 0x26f736c5, v7
	v_cmp_nlt_f32_e64 vcc_lo, 0x42b17218, |v3|
	s_delay_alu instid0(VALU_DEP_2) | instskip(NEXT) | instid1(VALU_DEP_4)
	v_fma_f32 v8, v2, v7, -v8
	v_cndmask_b32_e32 v1, 0x7f800000, v1, vcc_lo
	s_delay_alu instid0(VALU_DEP_2) | instskip(NEXT) | instid1(VALU_DEP_1)
	v_add_f32_e32 v8, 0xa8528116, v8
	v_fma_f32 v7, v2, v8, -v7
	s_delay_alu instid0(VALU_DEP_1) | instskip(NEXT) | instid1(VALU_DEP_1)
	v_add_f32_e32 v7, 0x29acda32, v7
	v_fma_f32 v8, v2, v7, -v8
	s_delay_alu instid0(VALU_DEP_1) | instskip(NEXT) | instid1(VALU_DEP_1)
	;; [unrolled: 3-line block ×25, first 2 shown]
	v_add_f32_e32 v2, 0x3f2d4275, v2
	v_sub_f32_e32 v2, v2, v7
	s_delay_alu instid0(VALU_DEP_1) | instskip(NEXT) | instid1(VALU_DEP_1)
	v_mul_f32_e32 v2, 0.5, v2
	v_mul_f32_e32 v7, v1, v2
                                        ; implicit-def: $vgpr1
.LBB11_9:
	s_and_not1_saveexec_b32 s1, s0
	s_cbranch_execz .LBB11_11
; %bb.10:
	v_and_b32_e32 v2, 0x7fffffff, v3
	v_fma_f32 v11, 0x3fb8aa3b, |v3|, -v1
	s_mov_b32 s0, 0xa3056dbb
	s_delay_alu instid0(VALU_DEP_2) | instskip(SKIP_1) | instid1(VALU_DEP_3)
	v_div_scale_f32 v7, null, v2, v2, 0x42000000
	v_div_scale_f32 v2, vcc_lo, 0x42000000, v2, 0x42000000
	v_fma_f32 v11, 0x32a5705f, |v3|, v11
	s_delay_alu instid0(VALU_DEP_3) | instskip(SKIP_1) | instid1(TRANS32_DEP_1)
	v_rcp_f32_e32 v8, v7
	v_nop
	v_fma_f32 v9, -v7, v8, 1.0
	s_delay_alu instid0(VALU_DEP_1) | instskip(NEXT) | instid1(VALU_DEP_1)
	v_fmac_f32_e32 v8, v9, v8
	v_mul_f32_e32 v9, v2, v8
	s_delay_alu instid0(VALU_DEP_1) | instskip(NEXT) | instid1(VALU_DEP_1)
	v_fma_f32 v10, -v7, v9, v2
	v_fmac_f32_e32 v9, v10, v8
	v_rndne_f32_e32 v10, v1
	s_delay_alu instid0(VALU_DEP_1) | instskip(SKIP_1) | instid1(VALU_DEP_2)
	v_dual_fma_f32 v2, -v7, v9, v2 :: v_dual_sub_f32 v1, v1, v10
	v_cvt_i32_f32_e32 v10, v10
	v_div_fmas_f32 v2, v2, v8, v9
	v_mul_f32_e64 v9, 0x4f800000, |v3|
	v_cmp_gt_f32_e64 vcc_lo, 0xf800000, |v3|
	v_add_f32_e32 v1, v1, v11
	s_delay_alu instid0(VALU_DEP_4) | instskip(NEXT) | instid1(VALU_DEP_3)
	v_div_fixup_f32 v2, v2, |v3|, 0x42000000
	v_cndmask_b32_e64 v9, |v3|, v9, vcc_lo
	s_delay_alu instid0(VALU_DEP_3) | instskip(NEXT) | instid1(VALU_DEP_2)
	v_exp_f32_e32 v1, v1
	v_add_f32_e32 v2, -2.0, v2
	s_delay_alu instid0(VALU_DEP_2) | instskip(NEXT) | instid1(VALU_DEP_1)
	v_sqrt_f32_e32 v12, v9
	v_fmaak_f32 v7, s0, v2, 0xa2b236d3
	s_delay_alu instid0(TRANS32_DEP_2)
	v_ldexp_f32 v1, v1, v10
	s_delay_alu instid0(TRANS32_DEP_1) | instid1(VALU_DEP_2)
	v_dual_fmaak_f32 v8, v2, v7, 0x23056dbb :: v_dual_add_nc_u32 v13, -1, v12
	s_delay_alu instid0(VALU_DEP_1) | instskip(NEXT) | instid1(VALU_DEP_2)
	v_dual_add_nc_u32 v11, 1, v12 :: v_dual_fma_f32 v14, -v13, v12, v9
	v_add_f32_e32 v8, 0x244df0c1, v8
	s_delay_alu instid0(VALU_DEP_2) | instskip(NEXT) | instid1(VALU_DEP_3)
	v_fma_f32 v15, -v11, v12, v9
	v_cmp_ge_f32_e64 s0, 0, v14
	s_delay_alu instid0(VALU_DEP_1) | instskip(NEXT) | instid1(VALU_DEP_1)
	v_dual_fma_f32 v7, v2, v8, -v7 :: v_dual_cndmask_b32 v12, v12, v13, s0
	v_add_f32_e32 v7, 0x241f9ee8, v7
	s_delay_alu instid0(VALU_DEP_4) | instskip(NEXT) | instid1(VALU_DEP_2)
	v_cmp_lt_f32_e64 s0, 0, v15
	v_fma_f32 v8, v2, v7, -v8
	s_delay_alu instid0(VALU_DEP_1) | instskip(NEXT) | instid1(VALU_DEP_1)
	v_add_f32_e32 v8, 0xa5a3005d, v8
	v_fma_f32 v7, v2, v8, -v7
	s_delay_alu instid0(VALU_DEP_1) | instskip(NEXT) | instid1(VALU_DEP_1)
	v_add_f32_e32 v7, 0xa5c5773f, v7
	;; [unrolled: 3-line block ×20, first 2 shown]
	v_fma_f32 v2, v2, v7, -v8
	v_cndmask_b32_e64 v7, v12, v11, s0
	v_cmp_ngt_f32_e64 s0, 0xc2ce8ed0, |v3|
	s_delay_alu instid0(VALU_DEP_3) | instskip(NEXT) | instid1(VALU_DEP_3)
	v_add_f32_e32 v2, 0x3f4df315, v2
	v_mul_f32_e32 v10, 0x37800000, v7
	s_delay_alu instid0(VALU_DEP_3) | instskip(SKIP_1) | instid1(VALU_DEP_3)
	v_cndmask_b32_e64 v1, 0, v1, s0
	v_cmp_nlt_f32_e64 s0, 0x42b17218, |v3|
	v_dual_sub_f32 v2, v2, v8 :: v_dual_cndmask_b32 v3, v7, v10
	v_cmp_class_f32_e64 vcc_lo, v9, 0x260
	s_delay_alu instid0(VALU_DEP_3) | instskip(NEXT) | instid1(VALU_DEP_3)
	v_cndmask_b32_e64 v1, 0x7f800000, v1, s0
	v_dual_mul_f32 v2, 0.5, v2 :: v_dual_cndmask_b32 v3, v3, v9
	s_delay_alu instid0(VALU_DEP_1) | instskip(NEXT) | instid1(VALU_DEP_1)
	v_mul_f32_e32 v1, v1, v2
	v_div_scale_f32 v2, null, v3, v3, v1
	s_delay_alu instid0(VALU_DEP_1) | instskip(SKIP_1) | instid1(TRANS32_DEP_1)
	v_rcp_f32_e32 v7, v2
	v_nop
	v_fma_f32 v8, -v2, v7, 1.0
	s_delay_alu instid0(VALU_DEP_1) | instskip(SKIP_1) | instid1(VALU_DEP_1)
	v_fmac_f32_e32 v7, v8, v7
	v_div_scale_f32 v8, vcc_lo, v1, v3, v1
	v_mul_f32_e32 v9, v8, v7
	s_delay_alu instid0(VALU_DEP_1) | instskip(NEXT) | instid1(VALU_DEP_1)
	v_fma_f32 v10, -v2, v9, v8
	v_fmac_f32_e32 v9, v10, v7
	s_delay_alu instid0(VALU_DEP_1) | instskip(NEXT) | instid1(VALU_DEP_1)
	v_fma_f32 v2, -v2, v9, v8
	v_div_fmas_f32 v2, v2, v7, v9
	s_delay_alu instid0(VALU_DEP_1)
	v_div_fixup_f32 v7, v2, v3, v1
.LBB11_11:
	s_or_b32 exec_lo, exec_lo, s1
	v_cmp_ge_f32_e64 s0, 0x41000000, |v4|
	v_mul_f32_e64 v1, 0x3fb8aa3b, |v4|
	s_and_saveexec_b32 s1, s0
	s_delay_alu instid0(SALU_CYCLE_1)
	s_xor_b32 s0, exec_lo, s1
	s_cbranch_execz .LBB11_13
; %bb.12:
	v_fma_f32 v2, |v4|, 0.5, -2.0
	s_mov_b32 s1, 0xa2a2e5b9
	v_rndne_f32_e32 v9, v1
	v_fma_f32 v10, 0x3fb8aa3b, |v4|, -v1
	v_cmp_ngt_f32_e64 vcc_lo, 0xc2ce8ed0, |v4|
	v_fmaak_f32 v3, s1, v2, 0x24199b15
	s_delay_alu instid0(VALU_DEP_4) | instskip(NEXT) | instid1(VALU_DEP_4)
	v_sub_f32_e32 v1, v1, v9
	v_fma_f32 v10, 0x32a5705f, |v4|, v10
	v_cvt_i32_f32_e32 v9, v9
	s_delay_alu instid0(VALU_DEP_2) | instskip(NEXT) | instid1(VALU_DEP_1)
	v_dual_fmaak_f32 v8, v2, v3, 0x22a2e5b9 :: v_dual_add_f32 v1, v1, v10
	v_add_f32_e32 v8, 0xa58c275c, v8
	s_delay_alu instid0(VALU_DEP_2) | instskip(SKIP_1) | instid1(TRANS32_DEP_1)
	v_exp_f32_e32 v1, v1
	v_nop
	v_ldexp_f32 v1, v1, v9
	s_delay_alu instid0(VALU_DEP_1) | instskip(SKIP_1) | instid1(VALU_DEP_2)
	v_dual_fma_f32 v3, v2, v8, -v3 :: v_dual_cndmask_b32 v1, 0, v1, vcc_lo
	v_cmp_nlt_f32_e64 vcc_lo, 0x42b17218, |v4|
	v_cndmask_b32_e32 v1, 0x7f800000, v1, vcc_lo
	s_delay_alu instid0(VALU_DEP_3) | instskip(NEXT) | instid1(VALU_DEP_1)
	v_add_f32_e32 v3, 0x26f736c5, v3
	v_fma_f32 v8, v2, v3, -v8
	s_delay_alu instid0(VALU_DEP_1) | instskip(NEXT) | instid1(VALU_DEP_1)
	v_add_f32_e32 v8, 0xa8528116, v8
	v_fma_f32 v3, v2, v8, -v3
	s_delay_alu instid0(VALU_DEP_1) | instskip(NEXT) | instid1(VALU_DEP_1)
	;; [unrolled: 3-line block ×26, first 2 shown]
	v_add_f32_e32 v2, 0x3f2d4275, v2
	v_sub_f32_e32 v2, v2, v3
	s_delay_alu instid0(VALU_DEP_1) | instskip(NEXT) | instid1(VALU_DEP_1)
	v_mul_f32_e32 v2, 0.5, v2
	v_mul_f32_e32 v8, v1, v2
                                        ; implicit-def: $vgpr1
.LBB11_13:
	s_and_not1_saveexec_b32 s1, s0
	s_cbranch_execz .LBB11_15
; %bb.14:
	v_and_b32_e32 v2, 0x7fffffff, v4
	v_fma_f32 v11, 0x3fb8aa3b, |v4|, -v1
	s_mov_b32 s0, 0xa3056dbb
	s_delay_alu instid0(VALU_DEP_2) | instskip(SKIP_1) | instid1(VALU_DEP_3)
	v_div_scale_f32 v3, null, v2, v2, 0x42000000
	v_div_scale_f32 v2, vcc_lo, 0x42000000, v2, 0x42000000
	v_fma_f32 v11, 0x32a5705f, |v4|, v11
	s_delay_alu instid0(VALU_DEP_3) | instskip(SKIP_1) | instid1(TRANS32_DEP_1)
	v_rcp_f32_e32 v8, v3
	v_nop
	v_fma_f32 v9, -v3, v8, 1.0
	s_delay_alu instid0(VALU_DEP_1) | instskip(NEXT) | instid1(VALU_DEP_1)
	v_fmac_f32_e32 v8, v9, v8
	v_mul_f32_e32 v9, v2, v8
	s_delay_alu instid0(VALU_DEP_1) | instskip(NEXT) | instid1(VALU_DEP_1)
	v_fma_f32 v10, -v3, v9, v2
	v_fmac_f32_e32 v9, v10, v8
	v_rndne_f32_e32 v10, v1
	s_delay_alu instid0(VALU_DEP_1) | instskip(SKIP_1) | instid1(VALU_DEP_2)
	v_dual_fma_f32 v2, -v3, v9, v2 :: v_dual_sub_f32 v1, v1, v10
	v_cvt_i32_f32_e32 v10, v10
	v_div_fmas_f32 v2, v2, v8, v9
	v_mul_f32_e64 v9, 0x4f800000, |v4|
	v_cmp_gt_f32_e64 vcc_lo, 0xf800000, |v4|
	v_add_f32_e32 v1, v1, v11
	s_delay_alu instid0(VALU_DEP_4) | instskip(NEXT) | instid1(VALU_DEP_3)
	v_div_fixup_f32 v2, v2, |v4|, 0x42000000
	v_cndmask_b32_e64 v9, |v4|, v9, vcc_lo
	s_delay_alu instid0(VALU_DEP_3) | instskip(NEXT) | instid1(VALU_DEP_2)
	v_exp_f32_e32 v1, v1
	v_add_f32_e32 v2, -2.0, v2
	s_delay_alu instid0(VALU_DEP_2) | instskip(NEXT) | instid1(VALU_DEP_1)
	v_sqrt_f32_e32 v12, v9
	v_fmaak_f32 v3, s0, v2, 0xa2b236d3
	s_delay_alu instid0(TRANS32_DEP_2)
	v_ldexp_f32 v1, v1, v10
	s_delay_alu instid0(TRANS32_DEP_1) | instid1(VALU_DEP_2)
	v_dual_fmaak_f32 v8, v2, v3, 0x23056dbb :: v_dual_add_nc_u32 v13, -1, v12
	s_delay_alu instid0(VALU_DEP_1) | instskip(NEXT) | instid1(VALU_DEP_2)
	v_dual_add_nc_u32 v11, 1, v12 :: v_dual_fma_f32 v14, -v13, v12, v9
	v_add_f32_e32 v8, 0x244df0c1, v8
	s_delay_alu instid0(VALU_DEP_2) | instskip(NEXT) | instid1(VALU_DEP_3)
	v_fma_f32 v15, -v11, v12, v9
	v_cmp_ge_f32_e64 s0, 0, v14
	s_delay_alu instid0(VALU_DEP_1) | instskip(NEXT) | instid1(VALU_DEP_1)
	v_dual_fma_f32 v3, v2, v8, -v3 :: v_dual_cndmask_b32 v12, v12, v13, s0
	v_add_f32_e32 v3, 0x241f9ee8, v3
	s_delay_alu instid0(VALU_DEP_4) | instskip(NEXT) | instid1(VALU_DEP_2)
	v_cmp_lt_f32_e64 s0, 0, v15
	v_fma_f32 v8, v2, v3, -v8
	s_delay_alu instid0(VALU_DEP_1) | instskip(NEXT) | instid1(VALU_DEP_1)
	v_add_f32_e32 v8, 0xa5a3005d, v8
	v_fma_f32 v3, v2, v8, -v3
	s_delay_alu instid0(VALU_DEP_1) | instskip(NEXT) | instid1(VALU_DEP_1)
	v_add_f32_e32 v3, 0xa5c5773f, v3
	;; [unrolled: 3-line block ×20, first 2 shown]
	v_fma_f32 v2, v2, v3, -v8
	v_cndmask_b32_e64 v3, v12, v11, s0
	v_cmp_ngt_f32_e64 s0, 0xc2ce8ed0, |v4|
	s_delay_alu instid0(VALU_DEP_3) | instskip(NEXT) | instid1(VALU_DEP_3)
	v_add_f32_e32 v2, 0x3f4df315, v2
	v_mul_f32_e32 v10, 0x37800000, v3
	s_delay_alu instid0(VALU_DEP_3) | instskip(SKIP_1) | instid1(VALU_DEP_3)
	v_cndmask_b32_e64 v1, 0, v1, s0
	v_cmp_nlt_f32_e64 s0, 0x42b17218, |v4|
	v_dual_sub_f32 v2, v2, v8 :: v_dual_cndmask_b32 v3, v3, v10
	v_cmp_class_f32_e64 vcc_lo, v9, 0x260
	s_delay_alu instid0(VALU_DEP_3) | instskip(NEXT) | instid1(VALU_DEP_3)
	v_cndmask_b32_e64 v1, 0x7f800000, v1, s0
	v_dual_mul_f32 v2, 0.5, v2 :: v_dual_cndmask_b32 v3, v3, v9
	s_delay_alu instid0(VALU_DEP_1) | instskip(NEXT) | instid1(VALU_DEP_1)
	v_mul_f32_e32 v1, v1, v2
	v_div_scale_f32 v2, null, v3, v3, v1
	s_delay_alu instid0(VALU_DEP_1) | instskip(SKIP_1) | instid1(TRANS32_DEP_1)
	v_rcp_f32_e32 v4, v2
	v_nop
	v_fma_f32 v8, -v2, v4, 1.0
	s_delay_alu instid0(VALU_DEP_1) | instskip(SKIP_1) | instid1(VALU_DEP_1)
	v_fmac_f32_e32 v4, v8, v4
	v_div_scale_f32 v8, vcc_lo, v1, v3, v1
	v_mul_f32_e32 v9, v8, v4
	s_delay_alu instid0(VALU_DEP_1) | instskip(NEXT) | instid1(VALU_DEP_1)
	v_fma_f32 v10, -v2, v9, v8
	v_fmac_f32_e32 v9, v10, v4
	s_delay_alu instid0(VALU_DEP_1) | instskip(NEXT) | instid1(VALU_DEP_1)
	v_fma_f32 v2, -v2, v9, v8
	v_div_fmas_f32 v2, v2, v4, v9
	s_delay_alu instid0(VALU_DEP_1)
	v_div_fixup_f32 v8, v2, v3, v1
.LBB11_15:
	s_or_b32 exec_lo, exec_lo, s1
	v_cmp_ge_f32_e64 s0, 0x41000000, |v5|
	v_mul_f32_e64 v1, 0x3fb8aa3b, |v5|
	s_and_saveexec_b32 s1, s0
	s_delay_alu instid0(SALU_CYCLE_1)
	s_xor_b32 s0, exec_lo, s1
	s_cbranch_execz .LBB11_17
; %bb.16:
	v_fma_f32 v2, |v5|, 0.5, -2.0
	s_mov_b32 s1, 0xa2a2e5b9
	v_rndne_f32_e32 v9, v1
	v_fma_f32 v10, 0x3fb8aa3b, |v5|, -v1
	v_cmp_ngt_f32_e64 vcc_lo, 0xc2ce8ed0, |v5|
	v_fmaak_f32 v3, s1, v2, 0x24199b15
	s_delay_alu instid0(VALU_DEP_4) | instskip(NEXT) | instid1(VALU_DEP_4)
	v_sub_f32_e32 v1, v1, v9
	v_fma_f32 v10, 0x32a5705f, |v5|, v10
	v_cvt_i32_f32_e32 v9, v9
	s_delay_alu instid0(VALU_DEP_2) | instskip(NEXT) | instid1(VALU_DEP_1)
	v_dual_fmaak_f32 v4, v2, v3, 0x22a2e5b9 :: v_dual_add_f32 v1, v1, v10
	v_add_f32_e32 v4, 0xa58c275c, v4
	s_delay_alu instid0(VALU_DEP_2) | instskip(SKIP_1) | instid1(TRANS32_DEP_1)
	v_exp_f32_e32 v1, v1
	v_nop
	v_ldexp_f32 v1, v1, v9
	s_delay_alu instid0(VALU_DEP_1) | instskip(NEXT) | instid1(VALU_DEP_1)
	v_dual_fma_f32 v3, v2, v4, -v3 :: v_dual_cndmask_b32 v1, 0, v1, vcc_lo
	v_add_f32_e32 v3, 0x26f736c5, v3
	v_cmp_nlt_f32_e64 vcc_lo, 0x42b17218, |v5|
	s_delay_alu instid0(VALU_DEP_2) | instskip(NEXT) | instid1(VALU_DEP_4)
	v_fma_f32 v4, v2, v3, -v4
	v_cndmask_b32_e32 v1, 0x7f800000, v1, vcc_lo
	s_delay_alu instid0(VALU_DEP_2) | instskip(NEXT) | instid1(VALU_DEP_1)
	v_add_f32_e32 v4, 0xa8528116, v4
	v_fma_f32 v3, v2, v4, -v3
	s_delay_alu instid0(VALU_DEP_1) | instskip(NEXT) | instid1(VALU_DEP_1)
	v_add_f32_e32 v3, 0x29acda32, v3
	v_fma_f32 v4, v2, v3, -v4
	s_delay_alu instid0(VALU_DEP_1) | instskip(NEXT) | instid1(VALU_DEP_1)
	;; [unrolled: 3-line block ×25, first 2 shown]
	v_add_f32_e32 v2, 0x3f2d4275, v2
	v_sub_f32_e32 v2, v2, v3
	s_delay_alu instid0(VALU_DEP_1) | instskip(NEXT) | instid1(VALU_DEP_1)
	v_mul_f32_e32 v2, 0.5, v2
	v_mul_f32_e32 v9, v1, v2
                                        ; implicit-def: $vgpr2_vgpr3_vgpr4_vgpr5
                                        ; implicit-def: $vgpr1
.LBB11_17:
	s_and_not1_saveexec_b32 s1, s0
	s_cbranch_execz .LBB11_19
; %bb.18:
	v_and_b32_e32 v2, 0x7fffffff, v5
	v_fma_f32 v11, 0x3fb8aa3b, |v5|, -v1
	s_mov_b32 s0, 0xa3056dbb
	s_delay_alu instid0(VALU_DEP_2) | instskip(SKIP_1) | instid1(VALU_DEP_3)
	v_div_scale_f32 v3, null, v2, v2, 0x42000000
	v_div_scale_f32 v2, vcc_lo, 0x42000000, v2, 0x42000000
	v_fma_f32 v11, 0x32a5705f, |v5|, v11
	s_delay_alu instid0(VALU_DEP_3) | instskip(SKIP_1) | instid1(TRANS32_DEP_1)
	v_rcp_f32_e32 v4, v3
	v_nop
	v_fma_f32 v9, -v3, v4, 1.0
	s_delay_alu instid0(VALU_DEP_1) | instskip(NEXT) | instid1(VALU_DEP_1)
	v_fmac_f32_e32 v4, v9, v4
	v_mul_f32_e32 v9, v2, v4
	s_delay_alu instid0(VALU_DEP_1) | instskip(NEXT) | instid1(VALU_DEP_1)
	v_fma_f32 v10, -v3, v9, v2
	v_fmac_f32_e32 v9, v10, v4
	v_rndne_f32_e32 v10, v1
	s_delay_alu instid0(VALU_DEP_1) | instskip(SKIP_1) | instid1(VALU_DEP_2)
	v_dual_fma_f32 v2, -v3, v9, v2 :: v_dual_sub_f32 v1, v1, v10
	v_cvt_i32_f32_e32 v10, v10
	v_div_fmas_f32 v2, v2, v4, v9
	v_mul_f32_e64 v9, 0x4f800000, |v5|
	v_cmp_gt_f32_e64 vcc_lo, 0xf800000, |v5|
	v_add_f32_e32 v1, v1, v11
	s_delay_alu instid0(VALU_DEP_4) | instskip(NEXT) | instid1(VALU_DEP_3)
	v_div_fixup_f32 v2, v2, |v5|, 0x42000000
	v_cndmask_b32_e64 v9, |v5|, v9, vcc_lo
	s_delay_alu instid0(VALU_DEP_3) | instskip(NEXT) | instid1(VALU_DEP_2)
	v_exp_f32_e32 v1, v1
	v_add_f32_e32 v2, -2.0, v2
	s_delay_alu instid0(VALU_DEP_2) | instskip(NEXT) | instid1(VALU_DEP_1)
	v_sqrt_f32_e32 v12, v9
	v_fmaak_f32 v3, s0, v2, 0xa2b236d3
	s_delay_alu instid0(TRANS32_DEP_2)
	v_ldexp_f32 v1, v1, v10
	s_delay_alu instid0(TRANS32_DEP_1) | instid1(VALU_DEP_2)
	v_dual_fmaak_f32 v4, v2, v3, 0x23056dbb :: v_dual_add_nc_u32 v13, -1, v12
	s_delay_alu instid0(VALU_DEP_1) | instskip(NEXT) | instid1(VALU_DEP_2)
	v_dual_add_nc_u32 v11, 1, v12 :: v_dual_fma_f32 v14, -v13, v12, v9
	v_add_f32_e32 v4, 0x244df0c1, v4
	s_delay_alu instid0(VALU_DEP_2) | instskip(NEXT) | instid1(VALU_DEP_3)
	v_fma_f32 v15, -v11, v12, v9
	v_cmp_ge_f32_e64 s0, 0, v14
	s_delay_alu instid0(VALU_DEP_1) | instskip(NEXT) | instid1(VALU_DEP_1)
	v_dual_fma_f32 v3, v2, v4, -v3 :: v_dual_cndmask_b32 v12, v12, v13, s0
	v_add_f32_e32 v3, 0x241f9ee8, v3
	s_delay_alu instid0(VALU_DEP_4) | instskip(NEXT) | instid1(VALU_DEP_2)
	v_cmp_lt_f32_e64 s0, 0, v15
	v_fma_f32 v4, v2, v3, -v4
	s_delay_alu instid0(VALU_DEP_1) | instskip(NEXT) | instid1(VALU_DEP_1)
	v_add_f32_e32 v4, 0xa5a3005d, v4
	v_fma_f32 v3, v2, v4, -v3
	s_delay_alu instid0(VALU_DEP_1) | instskip(NEXT) | instid1(VALU_DEP_1)
	v_add_f32_e32 v3, 0xa5c5773f, v3
	;; [unrolled: 3-line block ×20, first 2 shown]
	v_fma_f32 v2, v2, v3, -v4
	v_cndmask_b32_e64 v3, v12, v11, s0
	v_cmp_ngt_f32_e64 s0, 0xc2ce8ed0, |v5|
	s_delay_alu instid0(VALU_DEP_3) | instskip(NEXT) | instid1(VALU_DEP_3)
	v_add_f32_e32 v2, 0x3f4df315, v2
	v_mul_f32_e32 v10, 0x37800000, v3
	s_delay_alu instid0(VALU_DEP_3) | instskip(SKIP_1) | instid1(VALU_DEP_3)
	v_cndmask_b32_e64 v1, 0, v1, s0
	v_cmp_nlt_f32_e64 s0, 0x42b17218, |v5|
	v_dual_sub_f32 v2, v2, v4 :: v_dual_cndmask_b32 v3, v3, v10
	v_cmp_class_f32_e64 vcc_lo, v9, 0x260
	s_delay_alu instid0(VALU_DEP_3) | instskip(NEXT) | instid1(VALU_DEP_3)
	v_cndmask_b32_e64 v1, 0x7f800000, v1, s0
	v_dual_mul_f32 v2, 0.5, v2 :: v_dual_cndmask_b32 v3, v3, v9
	s_delay_alu instid0(VALU_DEP_1) | instskip(NEXT) | instid1(VALU_DEP_1)
	v_mul_f32_e32 v1, v1, v2
	v_div_scale_f32 v2, null, v3, v3, v1
	s_delay_alu instid0(VALU_DEP_1) | instskip(SKIP_1) | instid1(TRANS32_DEP_1)
	v_rcp_f32_e32 v4, v2
	v_nop
	v_fma_f32 v5, -v2, v4, 1.0
	s_delay_alu instid0(VALU_DEP_1) | instskip(SKIP_1) | instid1(VALU_DEP_1)
	v_fmac_f32_e32 v4, v5, v4
	v_div_scale_f32 v5, vcc_lo, v1, v3, v1
	v_mul_f32_e32 v9, v5, v4
	s_delay_alu instid0(VALU_DEP_1) | instskip(NEXT) | instid1(VALU_DEP_1)
	v_fma_f32 v10, -v2, v9, v5
	v_fmac_f32_e32 v9, v10, v4
	s_delay_alu instid0(VALU_DEP_1) | instskip(NEXT) | instid1(VALU_DEP_1)
	v_fma_f32 v2, -v2, v9, v5
	v_div_fmas_f32 v2, v2, v4, v9
	s_delay_alu instid0(VALU_DEP_1)
	v_div_fixup_f32 v9, v2, v3, v1
.LBB11_19:
	s_or_b32 exec_lo, exec_lo, s1
	s_add_nc_u64 s[2:3], s[4:5], s[2:3]
	global_store_b128 v0, v[6:9], s[2:3] scale_offset
	s_branch .LBB11_2
.LBB11_20:
	s_wait_xcnt 0x0
	v_dual_mov_b32 v31, v0 :: v_dual_mov_b32 v0, s4
	v_dual_mov_b32 v1, s5 :: v_dual_mov_b32 v2, s6
	;; [unrolled: 1-line block ×3, first 2 shown]
	s_get_pc_i64 s[0:1]
	s_add_nc_u64 s[0:1], s[0:1], _ZN2at6native25elementwise_kernel_helperILb0EZZZNS0_12_GLOBAL__N_130modified_bessel_i0_kernel_cudaERNS_18TensorIteratorBaseEENKUlvE_clEvENKUlvE0_clEvEUlfE_NS0_6memory8policies11unroll_baseILi256ESt5arrayIPcLm2EE23TrivialOffsetCalculatorILi1EjESF_NS8_15LoadWithoutCastENS8_16StoreWithoutCastELi4ELi1EEEEEvT0_T1_@rel64+4
	s_delay_alu instid0(SALU_CYCLE_1)
	s_swap_pc_i64 s[30:31], s[0:1]
	s_endpgm
	.section	.rodata,"a",@progbits
	.p2align	6, 0x0
	.amdhsa_kernel _ZN2at6native29vectorized_elementwise_kernelILi16EZZZNS0_12_GLOBAL__N_130modified_bessel_i0_kernel_cudaERNS_18TensorIteratorBaseEENKUlvE_clEvENKUlvE0_clEvEUlfE_St5arrayIPcLm2EEEEviT0_T1_
		.amdhsa_group_segment_fixed_size 0
		.amdhsa_private_segment_fixed_size 0
		.amdhsa_kernarg_size 24
		.amdhsa_user_sgpr_count 2
		.amdhsa_user_sgpr_dispatch_ptr 0
		.amdhsa_user_sgpr_queue_ptr 0
		.amdhsa_user_sgpr_kernarg_segment_ptr 1
		.amdhsa_user_sgpr_dispatch_id 0
		.amdhsa_user_sgpr_kernarg_preload_length 0
		.amdhsa_user_sgpr_kernarg_preload_offset 0
		.amdhsa_user_sgpr_private_segment_size 0
		.amdhsa_wavefront_size32 1
		.amdhsa_uses_dynamic_stack 0
		.amdhsa_enable_private_segment 0
		.amdhsa_system_sgpr_workgroup_id_x 1
		.amdhsa_system_sgpr_workgroup_id_y 0
		.amdhsa_system_sgpr_workgroup_id_z 0
		.amdhsa_system_sgpr_workgroup_info 0
		.amdhsa_system_vgpr_workitem_id 0
		.amdhsa_next_free_vgpr 32
		.amdhsa_next_free_sgpr 33
		.amdhsa_named_barrier_count 0
		.amdhsa_reserve_vcc 1
		.amdhsa_float_round_mode_32 0
		.amdhsa_float_round_mode_16_64 0
		.amdhsa_float_denorm_mode_32 3
		.amdhsa_float_denorm_mode_16_64 3
		.amdhsa_fp16_overflow 0
		.amdhsa_memory_ordered 1
		.amdhsa_forward_progress 1
		.amdhsa_inst_pref_size 56
		.amdhsa_round_robin_scheduling 0
		.amdhsa_exception_fp_ieee_invalid_op 0
		.amdhsa_exception_fp_denorm_src 0
		.amdhsa_exception_fp_ieee_div_zero 0
		.amdhsa_exception_fp_ieee_overflow 0
		.amdhsa_exception_fp_ieee_underflow 0
		.amdhsa_exception_fp_ieee_inexact 0
		.amdhsa_exception_int_div_zero 0
	.end_amdhsa_kernel
	.section	.text._ZN2at6native29vectorized_elementwise_kernelILi16EZZZNS0_12_GLOBAL__N_130modified_bessel_i0_kernel_cudaERNS_18TensorIteratorBaseEENKUlvE_clEvENKUlvE0_clEvEUlfE_St5arrayIPcLm2EEEEviT0_T1_,"axG",@progbits,_ZN2at6native29vectorized_elementwise_kernelILi16EZZZNS0_12_GLOBAL__N_130modified_bessel_i0_kernel_cudaERNS_18TensorIteratorBaseEENKUlvE_clEvENKUlvE0_clEvEUlfE_St5arrayIPcLm2EEEEviT0_T1_,comdat
.Lfunc_end11:
	.size	_ZN2at6native29vectorized_elementwise_kernelILi16EZZZNS0_12_GLOBAL__N_130modified_bessel_i0_kernel_cudaERNS_18TensorIteratorBaseEENKUlvE_clEvENKUlvE0_clEvEUlfE_St5arrayIPcLm2EEEEviT0_T1_, .Lfunc_end11-_ZN2at6native29vectorized_elementwise_kernelILi16EZZZNS0_12_GLOBAL__N_130modified_bessel_i0_kernel_cudaERNS_18TensorIteratorBaseEENKUlvE_clEvENKUlvE0_clEvEUlfE_St5arrayIPcLm2EEEEviT0_T1_
                                        ; -- End function
	.set _ZN2at6native29vectorized_elementwise_kernelILi16EZZZNS0_12_GLOBAL__N_130modified_bessel_i0_kernel_cudaERNS_18TensorIteratorBaseEENKUlvE_clEvENKUlvE0_clEvEUlfE_St5arrayIPcLm2EEEEviT0_T1_.num_vgpr, max(32, .L_ZN2at6native25elementwise_kernel_helperILb0EZZZNS0_12_GLOBAL__N_130modified_bessel_i0_kernel_cudaERNS_18TensorIteratorBaseEENKUlvE_clEvENKUlvE0_clEvEUlfE_NS0_6memory8policies11unroll_baseILi256ESt5arrayIPcLm2EE23TrivialOffsetCalculatorILi1EjESF_NS8_15LoadWithoutCastENS8_16StoreWithoutCastELi4ELi1EEEEEvT0_T1_.num_vgpr)
	.set _ZN2at6native29vectorized_elementwise_kernelILi16EZZZNS0_12_GLOBAL__N_130modified_bessel_i0_kernel_cudaERNS_18TensorIteratorBaseEENKUlvE_clEvENKUlvE0_clEvEUlfE_St5arrayIPcLm2EEEEviT0_T1_.num_agpr, max(0, .L_ZN2at6native25elementwise_kernel_helperILb0EZZZNS0_12_GLOBAL__N_130modified_bessel_i0_kernel_cudaERNS_18TensorIteratorBaseEENKUlvE_clEvENKUlvE0_clEvEUlfE_NS0_6memory8policies11unroll_baseILi256ESt5arrayIPcLm2EE23TrivialOffsetCalculatorILi1EjESF_NS8_15LoadWithoutCastENS8_16StoreWithoutCastELi4ELi1EEEEEvT0_T1_.num_agpr)
	.set _ZN2at6native29vectorized_elementwise_kernelILi16EZZZNS0_12_GLOBAL__N_130modified_bessel_i0_kernel_cudaERNS_18TensorIteratorBaseEENKUlvE_clEvENKUlvE0_clEvEUlfE_St5arrayIPcLm2EEEEviT0_T1_.numbered_sgpr, max(33, .L_ZN2at6native25elementwise_kernel_helperILb0EZZZNS0_12_GLOBAL__N_130modified_bessel_i0_kernel_cudaERNS_18TensorIteratorBaseEENKUlvE_clEvENKUlvE0_clEvEUlfE_NS0_6memory8policies11unroll_baseILi256ESt5arrayIPcLm2EE23TrivialOffsetCalculatorILi1EjESF_NS8_15LoadWithoutCastENS8_16StoreWithoutCastELi4ELi1EEEEEvT0_T1_.numbered_sgpr)
	.set _ZN2at6native29vectorized_elementwise_kernelILi16EZZZNS0_12_GLOBAL__N_130modified_bessel_i0_kernel_cudaERNS_18TensorIteratorBaseEENKUlvE_clEvENKUlvE0_clEvEUlfE_St5arrayIPcLm2EEEEviT0_T1_.num_named_barrier, max(0, .L_ZN2at6native25elementwise_kernel_helperILb0EZZZNS0_12_GLOBAL__N_130modified_bessel_i0_kernel_cudaERNS_18TensorIteratorBaseEENKUlvE_clEvENKUlvE0_clEvEUlfE_NS0_6memory8policies11unroll_baseILi256ESt5arrayIPcLm2EE23TrivialOffsetCalculatorILi1EjESF_NS8_15LoadWithoutCastENS8_16StoreWithoutCastELi4ELi1EEEEEvT0_T1_.num_named_barrier)
	.set _ZN2at6native29vectorized_elementwise_kernelILi16EZZZNS0_12_GLOBAL__N_130modified_bessel_i0_kernel_cudaERNS_18TensorIteratorBaseEENKUlvE_clEvENKUlvE0_clEvEUlfE_St5arrayIPcLm2EEEEviT0_T1_.private_seg_size, 0+max(.L_ZN2at6native25elementwise_kernel_helperILb0EZZZNS0_12_GLOBAL__N_130modified_bessel_i0_kernel_cudaERNS_18TensorIteratorBaseEENKUlvE_clEvENKUlvE0_clEvEUlfE_NS0_6memory8policies11unroll_baseILi256ESt5arrayIPcLm2EE23TrivialOffsetCalculatorILi1EjESF_NS8_15LoadWithoutCastENS8_16StoreWithoutCastELi4ELi1EEEEEvT0_T1_.private_seg_size)
	.set _ZN2at6native29vectorized_elementwise_kernelILi16EZZZNS0_12_GLOBAL__N_130modified_bessel_i0_kernel_cudaERNS_18TensorIteratorBaseEENKUlvE_clEvENKUlvE0_clEvEUlfE_St5arrayIPcLm2EEEEviT0_T1_.uses_vcc, or(1, .L_ZN2at6native25elementwise_kernel_helperILb0EZZZNS0_12_GLOBAL__N_130modified_bessel_i0_kernel_cudaERNS_18TensorIteratorBaseEENKUlvE_clEvENKUlvE0_clEvEUlfE_NS0_6memory8policies11unroll_baseILi256ESt5arrayIPcLm2EE23TrivialOffsetCalculatorILi1EjESF_NS8_15LoadWithoutCastENS8_16StoreWithoutCastELi4ELi1EEEEEvT0_T1_.uses_vcc)
	.set _ZN2at6native29vectorized_elementwise_kernelILi16EZZZNS0_12_GLOBAL__N_130modified_bessel_i0_kernel_cudaERNS_18TensorIteratorBaseEENKUlvE_clEvENKUlvE0_clEvEUlfE_St5arrayIPcLm2EEEEviT0_T1_.uses_flat_scratch, or(0, .L_ZN2at6native25elementwise_kernel_helperILb0EZZZNS0_12_GLOBAL__N_130modified_bessel_i0_kernel_cudaERNS_18TensorIteratorBaseEENKUlvE_clEvENKUlvE0_clEvEUlfE_NS0_6memory8policies11unroll_baseILi256ESt5arrayIPcLm2EE23TrivialOffsetCalculatorILi1EjESF_NS8_15LoadWithoutCastENS8_16StoreWithoutCastELi4ELi1EEEEEvT0_T1_.uses_flat_scratch)
	.set _ZN2at6native29vectorized_elementwise_kernelILi16EZZZNS0_12_GLOBAL__N_130modified_bessel_i0_kernel_cudaERNS_18TensorIteratorBaseEENKUlvE_clEvENKUlvE0_clEvEUlfE_St5arrayIPcLm2EEEEviT0_T1_.has_dyn_sized_stack, or(0, .L_ZN2at6native25elementwise_kernel_helperILb0EZZZNS0_12_GLOBAL__N_130modified_bessel_i0_kernel_cudaERNS_18TensorIteratorBaseEENKUlvE_clEvENKUlvE0_clEvEUlfE_NS0_6memory8policies11unroll_baseILi256ESt5arrayIPcLm2EE23TrivialOffsetCalculatorILi1EjESF_NS8_15LoadWithoutCastENS8_16StoreWithoutCastELi4ELi1EEEEEvT0_T1_.has_dyn_sized_stack)
	.set _ZN2at6native29vectorized_elementwise_kernelILi16EZZZNS0_12_GLOBAL__N_130modified_bessel_i0_kernel_cudaERNS_18TensorIteratorBaseEENKUlvE_clEvENKUlvE0_clEvEUlfE_St5arrayIPcLm2EEEEviT0_T1_.has_recursion, or(0, .L_ZN2at6native25elementwise_kernel_helperILb0EZZZNS0_12_GLOBAL__N_130modified_bessel_i0_kernel_cudaERNS_18TensorIteratorBaseEENKUlvE_clEvENKUlvE0_clEvEUlfE_NS0_6memory8policies11unroll_baseILi256ESt5arrayIPcLm2EE23TrivialOffsetCalculatorILi1EjESF_NS8_15LoadWithoutCastENS8_16StoreWithoutCastELi4ELi1EEEEEvT0_T1_.has_recursion)
	.set _ZN2at6native29vectorized_elementwise_kernelILi16EZZZNS0_12_GLOBAL__N_130modified_bessel_i0_kernel_cudaERNS_18TensorIteratorBaseEENKUlvE_clEvENKUlvE0_clEvEUlfE_St5arrayIPcLm2EEEEviT0_T1_.has_indirect_call, or(0, .L_ZN2at6native25elementwise_kernel_helperILb0EZZZNS0_12_GLOBAL__N_130modified_bessel_i0_kernel_cudaERNS_18TensorIteratorBaseEENKUlvE_clEvENKUlvE0_clEvEUlfE_NS0_6memory8policies11unroll_baseILi256ESt5arrayIPcLm2EE23TrivialOffsetCalculatorILi1EjESF_NS8_15LoadWithoutCastENS8_16StoreWithoutCastELi4ELi1EEEEEvT0_T1_.has_indirect_call)
	.section	.AMDGPU.csdata,"",@progbits
; Kernel info:
; codeLenInByte = 7076
; TotalNumSgprs: 35
; NumVgprs: 32
; ScratchSize: 0
; MemoryBound: 0
; FloatMode: 240
; IeeeMode: 1
; LDSByteSize: 0 bytes/workgroup (compile time only)
; SGPRBlocks: 0
; VGPRBlocks: 1
; NumSGPRsForWavesPerEU: 35
; NumVGPRsForWavesPerEU: 32
; NamedBarCnt: 0
; Occupancy: 16
; WaveLimiterHint : 0
; COMPUTE_PGM_RSRC2:SCRATCH_EN: 0
; COMPUTE_PGM_RSRC2:USER_SGPR: 2
; COMPUTE_PGM_RSRC2:TRAP_HANDLER: 0
; COMPUTE_PGM_RSRC2:TGID_X_EN: 1
; COMPUTE_PGM_RSRC2:TGID_Y_EN: 0
; COMPUTE_PGM_RSRC2:TGID_Z_EN: 0
; COMPUTE_PGM_RSRC2:TIDIG_COMP_CNT: 0
	.section	.text._ZN2at6native29vectorized_elementwise_kernelILi8EZZZNS0_12_GLOBAL__N_130modified_bessel_i0_kernel_cudaERNS_18TensorIteratorBaseEENKUlvE_clEvENKUlvE0_clEvEUlfE_St5arrayIPcLm2EEEEviT0_T1_,"axG",@progbits,_ZN2at6native29vectorized_elementwise_kernelILi8EZZZNS0_12_GLOBAL__N_130modified_bessel_i0_kernel_cudaERNS_18TensorIteratorBaseEENKUlvE_clEvENKUlvE0_clEvEUlfE_St5arrayIPcLm2EEEEviT0_T1_,comdat
	.globl	_ZN2at6native29vectorized_elementwise_kernelILi8EZZZNS0_12_GLOBAL__N_130modified_bessel_i0_kernel_cudaERNS_18TensorIteratorBaseEENKUlvE_clEvENKUlvE0_clEvEUlfE_St5arrayIPcLm2EEEEviT0_T1_ ; -- Begin function _ZN2at6native29vectorized_elementwise_kernelILi8EZZZNS0_12_GLOBAL__N_130modified_bessel_i0_kernel_cudaERNS_18TensorIteratorBaseEENKUlvE_clEvENKUlvE0_clEvEUlfE_St5arrayIPcLm2EEEEviT0_T1_
	.p2align	8
	.type	_ZN2at6native29vectorized_elementwise_kernelILi8EZZZNS0_12_GLOBAL__N_130modified_bessel_i0_kernel_cudaERNS_18TensorIteratorBaseEENKUlvE_clEvENKUlvE0_clEvEUlfE_St5arrayIPcLm2EEEEviT0_T1_,@function
_ZN2at6native29vectorized_elementwise_kernelILi8EZZZNS0_12_GLOBAL__N_130modified_bessel_i0_kernel_cudaERNS_18TensorIteratorBaseEENKUlvE_clEvENKUlvE0_clEvEUlfE_St5arrayIPcLm2EEEEviT0_T1_: ; @_ZN2at6native29vectorized_elementwise_kernelILi8EZZZNS0_12_GLOBAL__N_130modified_bessel_i0_kernel_cudaERNS_18TensorIteratorBaseEENKUlvE_clEvENKUlvE0_clEvEUlfE_St5arrayIPcLm2EEEEviT0_T1_
; %bb.0:
	s_clause 0x1
	s_load_b32 s2, s[0:1], 0x0
	s_load_b128 s[4:7], s[0:1], 0x8
	s_wait_xcnt 0x0
	s_bfe_u32 s0, ttmp6, 0x4000c
	s_and_b32 s1, ttmp6, 15
	s_add_co_i32 s0, s0, 1
	s_getreg_b32 s3, hwreg(HW_REG_IB_STS2, 6, 4)
	s_mul_i32 s0, ttmp9, s0
	s_mov_b32 s32, 0
	s_add_co_i32 s1, s1, s0
	s_cmp_eq_u32 s3, 0
	s_cselect_b32 s0, ttmp9, s1
	s_mov_b32 s1, -1
	s_lshl_b32 s0, s0, 10
	s_wait_kmcnt 0x0
	s_sub_co_i32 s8, s2, s0
	s_delay_alu instid0(SALU_CYCLE_1)
	s_cmp_gt_i32 s8, 0x3ff
	s_cbranch_scc1 .LBB12_3
; %bb.1:
	s_and_b32 vcc_lo, exec_lo, s1
	s_cbranch_vccnz .LBB12_20
.LBB12_2:
	s_sendmsg sendmsg(MSG_DEALLOC_VGPRS)
	s_endpgm
.LBB12_3:
	s_ashr_i32 s1, s0, 31
                                        ; implicit-def: $vgpr6
	s_delay_alu instid0(SALU_CYCLE_1) | instskip(NEXT) | instid1(SALU_CYCLE_1)
	s_lshl_b64 s[2:3], s[0:1], 2
	s_add_nc_u64 s[0:1], s[6:7], s[2:3]
	global_load_b128 v[2:5], v0, s[0:1] scale_offset
	s_wait_loadcnt 0x0
	v_cmp_ge_f32_e64 s0, 0x41000000, |v2|
	v_mul_f32_e64 v1, 0x3fb8aa3b, |v2|
	s_and_saveexec_b32 s1, s0
	s_delay_alu instid0(SALU_CYCLE_1)
	s_xor_b32 s0, exec_lo, s1
	s_cbranch_execz .LBB12_5
; %bb.4:
	v_fma_f32 v6, |v2|, 0.5, -2.0
	s_mov_b32 s1, 0xa2a2e5b9
	v_rndne_f32_e32 v9, v1
	v_fma_f32 v10, 0x3fb8aa3b, |v2|, -v1
	v_cmp_ngt_f32_e64 vcc_lo, 0xc2ce8ed0, |v2|
	v_fmaak_f32 v7, s1, v6, 0x24199b15
	s_delay_alu instid0(VALU_DEP_4) | instskip(NEXT) | instid1(VALU_DEP_4)
	v_sub_f32_e32 v1, v1, v9
	v_fma_f32 v10, 0x32a5705f, |v2|, v10
	v_cvt_i32_f32_e32 v9, v9
	s_delay_alu instid0(VALU_DEP_2) | instskip(NEXT) | instid1(VALU_DEP_1)
	v_dual_fmaak_f32 v8, v6, v7, 0x22a2e5b9 :: v_dual_add_f32 v1, v1, v10
	v_add_f32_e32 v8, 0xa58c275c, v8
	s_delay_alu instid0(VALU_DEP_2) | instskip(SKIP_1) | instid1(TRANS32_DEP_1)
	v_exp_f32_e32 v1, v1
	v_nop
	v_ldexp_f32 v1, v1, v9
	s_delay_alu instid0(VALU_DEP_1) | instskip(SKIP_1) | instid1(VALU_DEP_2)
	v_dual_fma_f32 v7, v6, v8, -v7 :: v_dual_cndmask_b32 v1, 0, v1, vcc_lo
	v_cmp_nlt_f32_e64 vcc_lo, 0x42b17218, |v2|
	v_cndmask_b32_e32 v1, 0x7f800000, v1, vcc_lo
	s_delay_alu instid0(VALU_DEP_3) | instskip(NEXT) | instid1(VALU_DEP_1)
	v_add_f32_e32 v7, 0x26f736c5, v7
	v_fma_f32 v8, v6, v7, -v8
	s_delay_alu instid0(VALU_DEP_1) | instskip(NEXT) | instid1(VALU_DEP_1)
	v_add_f32_e32 v8, 0xa8528116, v8
	v_fma_f32 v7, v6, v8, -v7
	s_delay_alu instid0(VALU_DEP_1) | instskip(NEXT) | instid1(VALU_DEP_1)
	;; [unrolled: 3-line block ×26, first 2 shown]
	v_add_f32_e32 v6, 0x3f2d4275, v6
	v_sub_f32_e32 v6, v6, v7
	s_delay_alu instid0(VALU_DEP_1) | instskip(NEXT) | instid1(VALU_DEP_1)
	v_mul_f32_e32 v6, 0.5, v6
	v_mul_f32_e32 v6, v1, v6
                                        ; implicit-def: $vgpr1
.LBB12_5:
	s_and_not1_saveexec_b32 s1, s0
	s_cbranch_execz .LBB12_7
; %bb.6:
	v_and_b32_e32 v6, 0x7fffffff, v2
	v_fma_f32 v11, 0x3fb8aa3b, |v2|, -v1
	s_mov_b32 s0, 0xa3056dbb
	s_delay_alu instid0(VALU_DEP_2) | instskip(SKIP_1) | instid1(VALU_DEP_3)
	v_div_scale_f32 v7, null, v6, v6, 0x42000000
	v_div_scale_f32 v6, vcc_lo, 0x42000000, v6, 0x42000000
	v_fma_f32 v11, 0x32a5705f, |v2|, v11
	s_delay_alu instid0(VALU_DEP_3) | instskip(SKIP_1) | instid1(TRANS32_DEP_1)
	v_rcp_f32_e32 v8, v7
	v_nop
	v_fma_f32 v9, -v7, v8, 1.0
	s_delay_alu instid0(VALU_DEP_1) | instskip(NEXT) | instid1(VALU_DEP_1)
	v_fmac_f32_e32 v8, v9, v8
	v_mul_f32_e32 v9, v6, v8
	s_delay_alu instid0(VALU_DEP_1) | instskip(NEXT) | instid1(VALU_DEP_1)
	v_fma_f32 v10, -v7, v9, v6
	v_fmac_f32_e32 v9, v10, v8
	v_rndne_f32_e32 v10, v1
	s_delay_alu instid0(VALU_DEP_1) | instskip(SKIP_1) | instid1(VALU_DEP_2)
	v_dual_fma_f32 v6, -v7, v9, v6 :: v_dual_sub_f32 v1, v1, v10
	v_cvt_i32_f32_e32 v10, v10
	v_div_fmas_f32 v6, v6, v8, v9
	v_mul_f32_e64 v9, 0x4f800000, |v2|
	v_cmp_gt_f32_e64 vcc_lo, 0xf800000, |v2|
	v_add_f32_e32 v1, v1, v11
	s_delay_alu instid0(VALU_DEP_4) | instskip(NEXT) | instid1(VALU_DEP_3)
	v_div_fixup_f32 v6, v6, |v2|, 0x42000000
	v_cndmask_b32_e64 v9, |v2|, v9, vcc_lo
	s_delay_alu instid0(VALU_DEP_3) | instskip(NEXT) | instid1(VALU_DEP_2)
	v_exp_f32_e32 v1, v1
	v_add_f32_e32 v6, -2.0, v6
	s_delay_alu instid0(VALU_DEP_2) | instskip(NEXT) | instid1(VALU_DEP_1)
	v_sqrt_f32_e32 v12, v9
	v_fmaak_f32 v7, s0, v6, 0xa2b236d3
	s_delay_alu instid0(TRANS32_DEP_2)
	v_ldexp_f32 v1, v1, v10
	s_delay_alu instid0(TRANS32_DEP_1) | instid1(VALU_DEP_2)
	v_dual_fmaak_f32 v8, v6, v7, 0x23056dbb :: v_dual_add_nc_u32 v13, -1, v12
	s_delay_alu instid0(VALU_DEP_1) | instskip(NEXT) | instid1(VALU_DEP_2)
	v_dual_add_nc_u32 v11, 1, v12 :: v_dual_fma_f32 v14, -v13, v12, v9
	v_add_f32_e32 v8, 0x244df0c1, v8
	s_delay_alu instid0(VALU_DEP_2) | instskip(NEXT) | instid1(VALU_DEP_3)
	v_fma_f32 v15, -v11, v12, v9
	v_cmp_ge_f32_e64 s0, 0, v14
	s_delay_alu instid0(VALU_DEP_1) | instskip(NEXT) | instid1(VALU_DEP_1)
	v_dual_fma_f32 v7, v6, v8, -v7 :: v_dual_cndmask_b32 v12, v12, v13, s0
	v_add_f32_e32 v7, 0x241f9ee8, v7
	s_delay_alu instid0(VALU_DEP_4) | instskip(NEXT) | instid1(VALU_DEP_2)
	v_cmp_lt_f32_e64 s0, 0, v15
	v_fma_f32 v8, v6, v7, -v8
	s_delay_alu instid0(VALU_DEP_1) | instskip(NEXT) | instid1(VALU_DEP_1)
	v_add_f32_e32 v8, 0xa5a3005d, v8
	v_fma_f32 v7, v6, v8, -v7
	s_delay_alu instid0(VALU_DEP_1) | instskip(NEXT) | instid1(VALU_DEP_1)
	v_add_f32_e32 v7, 0xa5c5773f, v7
	;; [unrolled: 3-line block ×20, first 2 shown]
	v_fma_f32 v6, v6, v7, -v8
	v_cndmask_b32_e64 v7, v12, v11, s0
	v_cmp_ngt_f32_e64 s0, 0xc2ce8ed0, |v2|
	s_delay_alu instid0(VALU_DEP_3) | instskip(NEXT) | instid1(VALU_DEP_3)
	v_add_f32_e32 v6, 0x3f4df315, v6
	v_mul_f32_e32 v10, 0x37800000, v7
	s_delay_alu instid0(VALU_DEP_3) | instskip(SKIP_1) | instid1(VALU_DEP_3)
	v_cndmask_b32_e64 v1, 0, v1, s0
	v_cmp_nlt_f32_e64 s0, 0x42b17218, |v2|
	v_dual_sub_f32 v6, v6, v8 :: v_dual_cndmask_b32 v2, v7, v10, vcc_lo
	v_cmp_class_f32_e64 vcc_lo, v9, 0x260
	s_delay_alu instid0(VALU_DEP_3) | instskip(NEXT) | instid1(VALU_DEP_2)
	v_cndmask_b32_e64 v1, 0x7f800000, v1, s0
	v_dual_mul_f32 v6, 0.5, v6 :: v_dual_cndmask_b32 v2, v2, v9, vcc_lo
	s_delay_alu instid0(VALU_DEP_1) | instskip(NEXT) | instid1(VALU_DEP_1)
	v_mul_f32_e32 v1, v1, v6
	v_div_scale_f32 v6, null, v2, v2, v1
	s_delay_alu instid0(VALU_DEP_1) | instskip(SKIP_1) | instid1(TRANS32_DEP_1)
	v_rcp_f32_e32 v7, v6
	v_nop
	v_fma_f32 v8, -v6, v7, 1.0
	s_delay_alu instid0(VALU_DEP_1) | instskip(SKIP_1) | instid1(VALU_DEP_1)
	v_fmac_f32_e32 v7, v8, v7
	v_div_scale_f32 v8, vcc_lo, v1, v2, v1
	v_mul_f32_e32 v9, v8, v7
	s_delay_alu instid0(VALU_DEP_1) | instskip(NEXT) | instid1(VALU_DEP_1)
	v_fma_f32 v10, -v6, v9, v8
	v_fmac_f32_e32 v9, v10, v7
	s_delay_alu instid0(VALU_DEP_1) | instskip(NEXT) | instid1(VALU_DEP_1)
	v_fma_f32 v6, -v6, v9, v8
	v_div_fmas_f32 v6, v6, v7, v9
	s_delay_alu instid0(VALU_DEP_1)
	v_div_fixup_f32 v6, v6, v2, v1
.LBB12_7:
	s_or_b32 exec_lo, exec_lo, s1
	v_cmp_ge_f32_e64 s0, 0x41000000, |v3|
	v_mul_f32_e64 v1, 0x3fb8aa3b, |v3|
	s_and_saveexec_b32 s1, s0
	s_delay_alu instid0(SALU_CYCLE_1)
	s_xor_b32 s0, exec_lo, s1
	s_cbranch_execz .LBB12_9
; %bb.8:
	v_fma_f32 v2, |v3|, 0.5, -2.0
	s_mov_b32 s1, 0xa2a2e5b9
	v_rndne_f32_e32 v9, v1
	v_fma_f32 v10, 0x3fb8aa3b, |v3|, -v1
	v_cmp_ngt_f32_e64 vcc_lo, 0xc2ce8ed0, |v3|
	v_fmaak_f32 v7, s1, v2, 0x24199b15
	s_delay_alu instid0(VALU_DEP_4) | instskip(NEXT) | instid1(VALU_DEP_4)
	v_sub_f32_e32 v1, v1, v9
	v_fma_f32 v10, 0x32a5705f, |v3|, v10
	v_cvt_i32_f32_e32 v9, v9
	s_delay_alu instid0(VALU_DEP_2) | instskip(NEXT) | instid1(VALU_DEP_1)
	v_dual_fmaak_f32 v8, v2, v7, 0x22a2e5b9 :: v_dual_add_f32 v1, v1, v10
	v_add_f32_e32 v8, 0xa58c275c, v8
	s_delay_alu instid0(VALU_DEP_2) | instskip(SKIP_1) | instid1(TRANS32_DEP_1)
	v_exp_f32_e32 v1, v1
	v_nop
	v_ldexp_f32 v1, v1, v9
	s_delay_alu instid0(VALU_DEP_1) | instskip(NEXT) | instid1(VALU_DEP_1)
	v_dual_fma_f32 v7, v2, v8, -v7 :: v_dual_cndmask_b32 v1, 0, v1, vcc_lo
	v_add_f32_e32 v7, 0x26f736c5, v7
	v_cmp_nlt_f32_e64 vcc_lo, 0x42b17218, |v3|
	s_delay_alu instid0(VALU_DEP_2) | instskip(NEXT) | instid1(VALU_DEP_4)
	v_fma_f32 v8, v2, v7, -v8
	v_cndmask_b32_e32 v1, 0x7f800000, v1, vcc_lo
	s_delay_alu instid0(VALU_DEP_2) | instskip(NEXT) | instid1(VALU_DEP_1)
	v_add_f32_e32 v8, 0xa8528116, v8
	v_fma_f32 v7, v2, v8, -v7
	s_delay_alu instid0(VALU_DEP_1) | instskip(NEXT) | instid1(VALU_DEP_1)
	v_add_f32_e32 v7, 0x29acda32, v7
	v_fma_f32 v8, v2, v7, -v8
	s_delay_alu instid0(VALU_DEP_1) | instskip(NEXT) | instid1(VALU_DEP_1)
	;; [unrolled: 3-line block ×25, first 2 shown]
	v_add_f32_e32 v2, 0x3f2d4275, v2
	v_sub_f32_e32 v2, v2, v7
	s_delay_alu instid0(VALU_DEP_1) | instskip(NEXT) | instid1(VALU_DEP_1)
	v_mul_f32_e32 v2, 0.5, v2
	v_mul_f32_e32 v7, v1, v2
                                        ; implicit-def: $vgpr1
.LBB12_9:
	s_and_not1_saveexec_b32 s1, s0
	s_cbranch_execz .LBB12_11
; %bb.10:
	v_and_b32_e32 v2, 0x7fffffff, v3
	v_fma_f32 v11, 0x3fb8aa3b, |v3|, -v1
	s_mov_b32 s0, 0xa3056dbb
	s_delay_alu instid0(VALU_DEP_2) | instskip(SKIP_1) | instid1(VALU_DEP_3)
	v_div_scale_f32 v7, null, v2, v2, 0x42000000
	v_div_scale_f32 v2, vcc_lo, 0x42000000, v2, 0x42000000
	v_fma_f32 v11, 0x32a5705f, |v3|, v11
	s_delay_alu instid0(VALU_DEP_3) | instskip(SKIP_1) | instid1(TRANS32_DEP_1)
	v_rcp_f32_e32 v8, v7
	v_nop
	v_fma_f32 v9, -v7, v8, 1.0
	s_delay_alu instid0(VALU_DEP_1) | instskip(NEXT) | instid1(VALU_DEP_1)
	v_fmac_f32_e32 v8, v9, v8
	v_mul_f32_e32 v9, v2, v8
	s_delay_alu instid0(VALU_DEP_1) | instskip(NEXT) | instid1(VALU_DEP_1)
	v_fma_f32 v10, -v7, v9, v2
	v_fmac_f32_e32 v9, v10, v8
	v_rndne_f32_e32 v10, v1
	s_delay_alu instid0(VALU_DEP_1) | instskip(SKIP_1) | instid1(VALU_DEP_2)
	v_dual_fma_f32 v2, -v7, v9, v2 :: v_dual_sub_f32 v1, v1, v10
	v_cvt_i32_f32_e32 v10, v10
	v_div_fmas_f32 v2, v2, v8, v9
	v_mul_f32_e64 v9, 0x4f800000, |v3|
	v_cmp_gt_f32_e64 vcc_lo, 0xf800000, |v3|
	v_add_f32_e32 v1, v1, v11
	s_delay_alu instid0(VALU_DEP_4) | instskip(NEXT) | instid1(VALU_DEP_3)
	v_div_fixup_f32 v2, v2, |v3|, 0x42000000
	v_cndmask_b32_e64 v9, |v3|, v9, vcc_lo
	s_delay_alu instid0(VALU_DEP_3) | instskip(NEXT) | instid1(VALU_DEP_2)
	v_exp_f32_e32 v1, v1
	v_add_f32_e32 v2, -2.0, v2
	s_delay_alu instid0(VALU_DEP_2) | instskip(NEXT) | instid1(VALU_DEP_1)
	v_sqrt_f32_e32 v12, v9
	v_fmaak_f32 v7, s0, v2, 0xa2b236d3
	s_delay_alu instid0(TRANS32_DEP_2)
	v_ldexp_f32 v1, v1, v10
	s_delay_alu instid0(TRANS32_DEP_1) | instid1(VALU_DEP_2)
	v_dual_fmaak_f32 v8, v2, v7, 0x23056dbb :: v_dual_add_nc_u32 v13, -1, v12
	s_delay_alu instid0(VALU_DEP_1) | instskip(NEXT) | instid1(VALU_DEP_2)
	v_dual_add_nc_u32 v11, 1, v12 :: v_dual_fma_f32 v14, -v13, v12, v9
	v_add_f32_e32 v8, 0x244df0c1, v8
	s_delay_alu instid0(VALU_DEP_2) | instskip(NEXT) | instid1(VALU_DEP_3)
	v_fma_f32 v15, -v11, v12, v9
	v_cmp_ge_f32_e64 s0, 0, v14
	s_delay_alu instid0(VALU_DEP_1) | instskip(NEXT) | instid1(VALU_DEP_1)
	v_dual_fma_f32 v7, v2, v8, -v7 :: v_dual_cndmask_b32 v12, v12, v13, s0
	v_add_f32_e32 v7, 0x241f9ee8, v7
	s_delay_alu instid0(VALU_DEP_4) | instskip(NEXT) | instid1(VALU_DEP_2)
	v_cmp_lt_f32_e64 s0, 0, v15
	v_fma_f32 v8, v2, v7, -v8
	s_delay_alu instid0(VALU_DEP_1) | instskip(NEXT) | instid1(VALU_DEP_1)
	v_add_f32_e32 v8, 0xa5a3005d, v8
	v_fma_f32 v7, v2, v8, -v7
	s_delay_alu instid0(VALU_DEP_1) | instskip(NEXT) | instid1(VALU_DEP_1)
	v_add_f32_e32 v7, 0xa5c5773f, v7
	;; [unrolled: 3-line block ×20, first 2 shown]
	v_fma_f32 v2, v2, v7, -v8
	v_cndmask_b32_e64 v7, v12, v11, s0
	v_cmp_ngt_f32_e64 s0, 0xc2ce8ed0, |v3|
	s_delay_alu instid0(VALU_DEP_3) | instskip(NEXT) | instid1(VALU_DEP_3)
	v_add_f32_e32 v2, 0x3f4df315, v2
	v_mul_f32_e32 v10, 0x37800000, v7
	s_delay_alu instid0(VALU_DEP_3) | instskip(SKIP_1) | instid1(VALU_DEP_3)
	v_cndmask_b32_e64 v1, 0, v1, s0
	v_cmp_nlt_f32_e64 s0, 0x42b17218, |v3|
	v_dual_sub_f32 v2, v2, v8 :: v_dual_cndmask_b32 v3, v7, v10
	v_cmp_class_f32_e64 vcc_lo, v9, 0x260
	s_delay_alu instid0(VALU_DEP_3) | instskip(NEXT) | instid1(VALU_DEP_3)
	v_cndmask_b32_e64 v1, 0x7f800000, v1, s0
	v_dual_mul_f32 v2, 0.5, v2 :: v_dual_cndmask_b32 v3, v3, v9
	s_delay_alu instid0(VALU_DEP_1) | instskip(NEXT) | instid1(VALU_DEP_1)
	v_mul_f32_e32 v1, v1, v2
	v_div_scale_f32 v2, null, v3, v3, v1
	s_delay_alu instid0(VALU_DEP_1) | instskip(SKIP_1) | instid1(TRANS32_DEP_1)
	v_rcp_f32_e32 v7, v2
	v_nop
	v_fma_f32 v8, -v2, v7, 1.0
	s_delay_alu instid0(VALU_DEP_1) | instskip(SKIP_1) | instid1(VALU_DEP_1)
	v_fmac_f32_e32 v7, v8, v7
	v_div_scale_f32 v8, vcc_lo, v1, v3, v1
	v_mul_f32_e32 v9, v8, v7
	s_delay_alu instid0(VALU_DEP_1) | instskip(NEXT) | instid1(VALU_DEP_1)
	v_fma_f32 v10, -v2, v9, v8
	v_fmac_f32_e32 v9, v10, v7
	s_delay_alu instid0(VALU_DEP_1) | instskip(NEXT) | instid1(VALU_DEP_1)
	v_fma_f32 v2, -v2, v9, v8
	v_div_fmas_f32 v2, v2, v7, v9
	s_delay_alu instid0(VALU_DEP_1)
	v_div_fixup_f32 v7, v2, v3, v1
.LBB12_11:
	s_or_b32 exec_lo, exec_lo, s1
	v_cmp_ge_f32_e64 s0, 0x41000000, |v4|
	v_mul_f32_e64 v1, 0x3fb8aa3b, |v4|
	s_and_saveexec_b32 s1, s0
	s_delay_alu instid0(SALU_CYCLE_1)
	s_xor_b32 s0, exec_lo, s1
	s_cbranch_execz .LBB12_13
; %bb.12:
	v_fma_f32 v2, |v4|, 0.5, -2.0
	s_mov_b32 s1, 0xa2a2e5b9
	v_rndne_f32_e32 v9, v1
	v_fma_f32 v10, 0x3fb8aa3b, |v4|, -v1
	v_cmp_ngt_f32_e64 vcc_lo, 0xc2ce8ed0, |v4|
	v_fmaak_f32 v3, s1, v2, 0x24199b15
	s_delay_alu instid0(VALU_DEP_4) | instskip(NEXT) | instid1(VALU_DEP_4)
	v_sub_f32_e32 v1, v1, v9
	v_fma_f32 v10, 0x32a5705f, |v4|, v10
	v_cvt_i32_f32_e32 v9, v9
	s_delay_alu instid0(VALU_DEP_2) | instskip(NEXT) | instid1(VALU_DEP_1)
	v_dual_fmaak_f32 v8, v2, v3, 0x22a2e5b9 :: v_dual_add_f32 v1, v1, v10
	v_add_f32_e32 v8, 0xa58c275c, v8
	s_delay_alu instid0(VALU_DEP_2) | instskip(SKIP_1) | instid1(TRANS32_DEP_1)
	v_exp_f32_e32 v1, v1
	v_nop
	v_ldexp_f32 v1, v1, v9
	s_delay_alu instid0(VALU_DEP_1) | instskip(SKIP_1) | instid1(VALU_DEP_2)
	v_dual_fma_f32 v3, v2, v8, -v3 :: v_dual_cndmask_b32 v1, 0, v1, vcc_lo
	v_cmp_nlt_f32_e64 vcc_lo, 0x42b17218, |v4|
	v_cndmask_b32_e32 v1, 0x7f800000, v1, vcc_lo
	s_delay_alu instid0(VALU_DEP_3) | instskip(NEXT) | instid1(VALU_DEP_1)
	v_add_f32_e32 v3, 0x26f736c5, v3
	v_fma_f32 v8, v2, v3, -v8
	s_delay_alu instid0(VALU_DEP_1) | instskip(NEXT) | instid1(VALU_DEP_1)
	v_add_f32_e32 v8, 0xa8528116, v8
	v_fma_f32 v3, v2, v8, -v3
	s_delay_alu instid0(VALU_DEP_1) | instskip(NEXT) | instid1(VALU_DEP_1)
	;; [unrolled: 3-line block ×26, first 2 shown]
	v_add_f32_e32 v2, 0x3f2d4275, v2
	v_sub_f32_e32 v2, v2, v3
	s_delay_alu instid0(VALU_DEP_1) | instskip(NEXT) | instid1(VALU_DEP_1)
	v_mul_f32_e32 v2, 0.5, v2
	v_mul_f32_e32 v8, v1, v2
                                        ; implicit-def: $vgpr1
.LBB12_13:
	s_and_not1_saveexec_b32 s1, s0
	s_cbranch_execz .LBB12_15
; %bb.14:
	v_and_b32_e32 v2, 0x7fffffff, v4
	v_fma_f32 v11, 0x3fb8aa3b, |v4|, -v1
	s_mov_b32 s0, 0xa3056dbb
	s_delay_alu instid0(VALU_DEP_2) | instskip(SKIP_1) | instid1(VALU_DEP_3)
	v_div_scale_f32 v3, null, v2, v2, 0x42000000
	v_div_scale_f32 v2, vcc_lo, 0x42000000, v2, 0x42000000
	v_fma_f32 v11, 0x32a5705f, |v4|, v11
	s_delay_alu instid0(VALU_DEP_3) | instskip(SKIP_1) | instid1(TRANS32_DEP_1)
	v_rcp_f32_e32 v8, v3
	v_nop
	v_fma_f32 v9, -v3, v8, 1.0
	s_delay_alu instid0(VALU_DEP_1) | instskip(NEXT) | instid1(VALU_DEP_1)
	v_fmac_f32_e32 v8, v9, v8
	v_mul_f32_e32 v9, v2, v8
	s_delay_alu instid0(VALU_DEP_1) | instskip(NEXT) | instid1(VALU_DEP_1)
	v_fma_f32 v10, -v3, v9, v2
	v_fmac_f32_e32 v9, v10, v8
	v_rndne_f32_e32 v10, v1
	s_delay_alu instid0(VALU_DEP_1) | instskip(SKIP_1) | instid1(VALU_DEP_2)
	v_dual_fma_f32 v2, -v3, v9, v2 :: v_dual_sub_f32 v1, v1, v10
	v_cvt_i32_f32_e32 v10, v10
	v_div_fmas_f32 v2, v2, v8, v9
	v_mul_f32_e64 v9, 0x4f800000, |v4|
	v_cmp_gt_f32_e64 vcc_lo, 0xf800000, |v4|
	v_add_f32_e32 v1, v1, v11
	s_delay_alu instid0(VALU_DEP_4) | instskip(NEXT) | instid1(VALU_DEP_3)
	v_div_fixup_f32 v2, v2, |v4|, 0x42000000
	v_cndmask_b32_e64 v9, |v4|, v9, vcc_lo
	s_delay_alu instid0(VALU_DEP_3) | instskip(NEXT) | instid1(VALU_DEP_2)
	v_exp_f32_e32 v1, v1
	v_add_f32_e32 v2, -2.0, v2
	s_delay_alu instid0(VALU_DEP_2) | instskip(NEXT) | instid1(VALU_DEP_1)
	v_sqrt_f32_e32 v12, v9
	v_fmaak_f32 v3, s0, v2, 0xa2b236d3
	s_delay_alu instid0(TRANS32_DEP_2)
	v_ldexp_f32 v1, v1, v10
	s_delay_alu instid0(TRANS32_DEP_1) | instid1(VALU_DEP_2)
	v_dual_fmaak_f32 v8, v2, v3, 0x23056dbb :: v_dual_add_nc_u32 v13, -1, v12
	s_delay_alu instid0(VALU_DEP_1) | instskip(NEXT) | instid1(VALU_DEP_2)
	v_dual_add_nc_u32 v11, 1, v12 :: v_dual_fma_f32 v14, -v13, v12, v9
	v_add_f32_e32 v8, 0x244df0c1, v8
	s_delay_alu instid0(VALU_DEP_2) | instskip(NEXT) | instid1(VALU_DEP_3)
	v_fma_f32 v15, -v11, v12, v9
	v_cmp_ge_f32_e64 s0, 0, v14
	s_delay_alu instid0(VALU_DEP_1) | instskip(NEXT) | instid1(VALU_DEP_1)
	v_dual_fma_f32 v3, v2, v8, -v3 :: v_dual_cndmask_b32 v12, v12, v13, s0
	v_add_f32_e32 v3, 0x241f9ee8, v3
	s_delay_alu instid0(VALU_DEP_4) | instskip(NEXT) | instid1(VALU_DEP_2)
	v_cmp_lt_f32_e64 s0, 0, v15
	v_fma_f32 v8, v2, v3, -v8
	s_delay_alu instid0(VALU_DEP_1) | instskip(NEXT) | instid1(VALU_DEP_1)
	v_add_f32_e32 v8, 0xa5a3005d, v8
	v_fma_f32 v3, v2, v8, -v3
	s_delay_alu instid0(VALU_DEP_1) | instskip(NEXT) | instid1(VALU_DEP_1)
	v_add_f32_e32 v3, 0xa5c5773f, v3
	;; [unrolled: 3-line block ×20, first 2 shown]
	v_fma_f32 v2, v2, v3, -v8
	v_cndmask_b32_e64 v3, v12, v11, s0
	v_cmp_ngt_f32_e64 s0, 0xc2ce8ed0, |v4|
	s_delay_alu instid0(VALU_DEP_3) | instskip(NEXT) | instid1(VALU_DEP_3)
	v_add_f32_e32 v2, 0x3f4df315, v2
	v_mul_f32_e32 v10, 0x37800000, v3
	s_delay_alu instid0(VALU_DEP_3) | instskip(SKIP_1) | instid1(VALU_DEP_3)
	v_cndmask_b32_e64 v1, 0, v1, s0
	v_cmp_nlt_f32_e64 s0, 0x42b17218, |v4|
	v_dual_sub_f32 v2, v2, v8 :: v_dual_cndmask_b32 v3, v3, v10
	v_cmp_class_f32_e64 vcc_lo, v9, 0x260
	s_delay_alu instid0(VALU_DEP_3) | instskip(NEXT) | instid1(VALU_DEP_3)
	v_cndmask_b32_e64 v1, 0x7f800000, v1, s0
	v_dual_mul_f32 v2, 0.5, v2 :: v_dual_cndmask_b32 v3, v3, v9
	s_delay_alu instid0(VALU_DEP_1) | instskip(NEXT) | instid1(VALU_DEP_1)
	v_mul_f32_e32 v1, v1, v2
	v_div_scale_f32 v2, null, v3, v3, v1
	s_delay_alu instid0(VALU_DEP_1) | instskip(SKIP_1) | instid1(TRANS32_DEP_1)
	v_rcp_f32_e32 v4, v2
	v_nop
	v_fma_f32 v8, -v2, v4, 1.0
	s_delay_alu instid0(VALU_DEP_1) | instskip(SKIP_1) | instid1(VALU_DEP_1)
	v_fmac_f32_e32 v4, v8, v4
	v_div_scale_f32 v8, vcc_lo, v1, v3, v1
	v_mul_f32_e32 v9, v8, v4
	s_delay_alu instid0(VALU_DEP_1) | instskip(NEXT) | instid1(VALU_DEP_1)
	v_fma_f32 v10, -v2, v9, v8
	v_fmac_f32_e32 v9, v10, v4
	s_delay_alu instid0(VALU_DEP_1) | instskip(NEXT) | instid1(VALU_DEP_1)
	v_fma_f32 v2, -v2, v9, v8
	v_div_fmas_f32 v2, v2, v4, v9
	s_delay_alu instid0(VALU_DEP_1)
	v_div_fixup_f32 v8, v2, v3, v1
.LBB12_15:
	s_or_b32 exec_lo, exec_lo, s1
	v_cmp_ge_f32_e64 s0, 0x41000000, |v5|
	v_mul_f32_e64 v1, 0x3fb8aa3b, |v5|
	s_and_saveexec_b32 s1, s0
	s_delay_alu instid0(SALU_CYCLE_1)
	s_xor_b32 s0, exec_lo, s1
	s_cbranch_execz .LBB12_17
; %bb.16:
	v_fma_f32 v2, |v5|, 0.5, -2.0
	s_mov_b32 s1, 0xa2a2e5b9
	v_rndne_f32_e32 v9, v1
	v_fma_f32 v10, 0x3fb8aa3b, |v5|, -v1
	v_cmp_ngt_f32_e64 vcc_lo, 0xc2ce8ed0, |v5|
	v_fmaak_f32 v3, s1, v2, 0x24199b15
	s_delay_alu instid0(VALU_DEP_4) | instskip(NEXT) | instid1(VALU_DEP_4)
	v_sub_f32_e32 v1, v1, v9
	v_fma_f32 v10, 0x32a5705f, |v5|, v10
	v_cvt_i32_f32_e32 v9, v9
	s_delay_alu instid0(VALU_DEP_2) | instskip(NEXT) | instid1(VALU_DEP_1)
	v_dual_fmaak_f32 v4, v2, v3, 0x22a2e5b9 :: v_dual_add_f32 v1, v1, v10
	v_add_f32_e32 v4, 0xa58c275c, v4
	s_delay_alu instid0(VALU_DEP_2) | instskip(SKIP_1) | instid1(TRANS32_DEP_1)
	v_exp_f32_e32 v1, v1
	v_nop
	v_ldexp_f32 v1, v1, v9
	s_delay_alu instid0(VALU_DEP_1) | instskip(NEXT) | instid1(VALU_DEP_1)
	v_dual_fma_f32 v3, v2, v4, -v3 :: v_dual_cndmask_b32 v1, 0, v1, vcc_lo
	v_add_f32_e32 v3, 0x26f736c5, v3
	v_cmp_nlt_f32_e64 vcc_lo, 0x42b17218, |v5|
	s_delay_alu instid0(VALU_DEP_2) | instskip(NEXT) | instid1(VALU_DEP_4)
	v_fma_f32 v4, v2, v3, -v4
	v_cndmask_b32_e32 v1, 0x7f800000, v1, vcc_lo
	s_delay_alu instid0(VALU_DEP_2) | instskip(NEXT) | instid1(VALU_DEP_1)
	v_add_f32_e32 v4, 0xa8528116, v4
	v_fma_f32 v3, v2, v4, -v3
	s_delay_alu instid0(VALU_DEP_1) | instskip(NEXT) | instid1(VALU_DEP_1)
	v_add_f32_e32 v3, 0x29acda32, v3
	v_fma_f32 v4, v2, v3, -v4
	s_delay_alu instid0(VALU_DEP_1) | instskip(NEXT) | instid1(VALU_DEP_1)
	;; [unrolled: 3-line block ×25, first 2 shown]
	v_add_f32_e32 v2, 0x3f2d4275, v2
	v_sub_f32_e32 v2, v2, v3
	s_delay_alu instid0(VALU_DEP_1) | instskip(NEXT) | instid1(VALU_DEP_1)
	v_mul_f32_e32 v2, 0.5, v2
	v_mul_f32_e32 v9, v1, v2
                                        ; implicit-def: $vgpr2_vgpr3_vgpr4_vgpr5
                                        ; implicit-def: $vgpr1
.LBB12_17:
	s_and_not1_saveexec_b32 s1, s0
	s_cbranch_execz .LBB12_19
; %bb.18:
	v_and_b32_e32 v2, 0x7fffffff, v5
	v_fma_f32 v11, 0x3fb8aa3b, |v5|, -v1
	s_mov_b32 s0, 0xa3056dbb
	s_delay_alu instid0(VALU_DEP_2) | instskip(SKIP_1) | instid1(VALU_DEP_3)
	v_div_scale_f32 v3, null, v2, v2, 0x42000000
	v_div_scale_f32 v2, vcc_lo, 0x42000000, v2, 0x42000000
	v_fma_f32 v11, 0x32a5705f, |v5|, v11
	s_delay_alu instid0(VALU_DEP_3) | instskip(SKIP_1) | instid1(TRANS32_DEP_1)
	v_rcp_f32_e32 v4, v3
	v_nop
	v_fma_f32 v9, -v3, v4, 1.0
	s_delay_alu instid0(VALU_DEP_1) | instskip(NEXT) | instid1(VALU_DEP_1)
	v_fmac_f32_e32 v4, v9, v4
	v_mul_f32_e32 v9, v2, v4
	s_delay_alu instid0(VALU_DEP_1) | instskip(NEXT) | instid1(VALU_DEP_1)
	v_fma_f32 v10, -v3, v9, v2
	v_fmac_f32_e32 v9, v10, v4
	v_rndne_f32_e32 v10, v1
	s_delay_alu instid0(VALU_DEP_1) | instskip(SKIP_1) | instid1(VALU_DEP_2)
	v_dual_fma_f32 v2, -v3, v9, v2 :: v_dual_sub_f32 v1, v1, v10
	v_cvt_i32_f32_e32 v10, v10
	v_div_fmas_f32 v2, v2, v4, v9
	v_mul_f32_e64 v9, 0x4f800000, |v5|
	v_cmp_gt_f32_e64 vcc_lo, 0xf800000, |v5|
	v_add_f32_e32 v1, v1, v11
	s_delay_alu instid0(VALU_DEP_4) | instskip(NEXT) | instid1(VALU_DEP_3)
	v_div_fixup_f32 v2, v2, |v5|, 0x42000000
	v_cndmask_b32_e64 v9, |v5|, v9, vcc_lo
	s_delay_alu instid0(VALU_DEP_3) | instskip(NEXT) | instid1(VALU_DEP_2)
	v_exp_f32_e32 v1, v1
	v_add_f32_e32 v2, -2.0, v2
	s_delay_alu instid0(VALU_DEP_2) | instskip(NEXT) | instid1(VALU_DEP_1)
	v_sqrt_f32_e32 v12, v9
	v_fmaak_f32 v3, s0, v2, 0xa2b236d3
	s_delay_alu instid0(TRANS32_DEP_2)
	v_ldexp_f32 v1, v1, v10
	s_delay_alu instid0(TRANS32_DEP_1) | instid1(VALU_DEP_2)
	v_dual_fmaak_f32 v4, v2, v3, 0x23056dbb :: v_dual_add_nc_u32 v13, -1, v12
	s_delay_alu instid0(VALU_DEP_1) | instskip(NEXT) | instid1(VALU_DEP_2)
	v_dual_add_nc_u32 v11, 1, v12 :: v_dual_fma_f32 v14, -v13, v12, v9
	v_add_f32_e32 v4, 0x244df0c1, v4
	s_delay_alu instid0(VALU_DEP_2) | instskip(NEXT) | instid1(VALU_DEP_3)
	v_fma_f32 v15, -v11, v12, v9
	v_cmp_ge_f32_e64 s0, 0, v14
	s_delay_alu instid0(VALU_DEP_1) | instskip(NEXT) | instid1(VALU_DEP_1)
	v_dual_fma_f32 v3, v2, v4, -v3 :: v_dual_cndmask_b32 v12, v12, v13, s0
	v_add_f32_e32 v3, 0x241f9ee8, v3
	s_delay_alu instid0(VALU_DEP_4) | instskip(NEXT) | instid1(VALU_DEP_2)
	v_cmp_lt_f32_e64 s0, 0, v15
	v_fma_f32 v4, v2, v3, -v4
	s_delay_alu instid0(VALU_DEP_1) | instskip(NEXT) | instid1(VALU_DEP_1)
	v_add_f32_e32 v4, 0xa5a3005d, v4
	v_fma_f32 v3, v2, v4, -v3
	s_delay_alu instid0(VALU_DEP_1) | instskip(NEXT) | instid1(VALU_DEP_1)
	v_add_f32_e32 v3, 0xa5c5773f, v3
	;; [unrolled: 3-line block ×20, first 2 shown]
	v_fma_f32 v2, v2, v3, -v4
	v_cndmask_b32_e64 v3, v12, v11, s0
	v_cmp_ngt_f32_e64 s0, 0xc2ce8ed0, |v5|
	s_delay_alu instid0(VALU_DEP_3) | instskip(NEXT) | instid1(VALU_DEP_3)
	v_add_f32_e32 v2, 0x3f4df315, v2
	v_mul_f32_e32 v10, 0x37800000, v3
	s_delay_alu instid0(VALU_DEP_3) | instskip(SKIP_1) | instid1(VALU_DEP_3)
	v_cndmask_b32_e64 v1, 0, v1, s0
	v_cmp_nlt_f32_e64 s0, 0x42b17218, |v5|
	v_dual_sub_f32 v2, v2, v4 :: v_dual_cndmask_b32 v3, v3, v10
	v_cmp_class_f32_e64 vcc_lo, v9, 0x260
	s_delay_alu instid0(VALU_DEP_3) | instskip(NEXT) | instid1(VALU_DEP_3)
	v_cndmask_b32_e64 v1, 0x7f800000, v1, s0
	v_dual_mul_f32 v2, 0.5, v2 :: v_dual_cndmask_b32 v3, v3, v9
	s_delay_alu instid0(VALU_DEP_1) | instskip(NEXT) | instid1(VALU_DEP_1)
	v_mul_f32_e32 v1, v1, v2
	v_div_scale_f32 v2, null, v3, v3, v1
	s_delay_alu instid0(VALU_DEP_1) | instskip(SKIP_1) | instid1(TRANS32_DEP_1)
	v_rcp_f32_e32 v4, v2
	v_nop
	v_fma_f32 v5, -v2, v4, 1.0
	s_delay_alu instid0(VALU_DEP_1) | instskip(SKIP_1) | instid1(VALU_DEP_1)
	v_fmac_f32_e32 v4, v5, v4
	v_div_scale_f32 v5, vcc_lo, v1, v3, v1
	v_mul_f32_e32 v9, v5, v4
	s_delay_alu instid0(VALU_DEP_1) | instskip(NEXT) | instid1(VALU_DEP_1)
	v_fma_f32 v10, -v2, v9, v5
	v_fmac_f32_e32 v9, v10, v4
	s_delay_alu instid0(VALU_DEP_1) | instskip(NEXT) | instid1(VALU_DEP_1)
	v_fma_f32 v2, -v2, v9, v5
	v_div_fmas_f32 v2, v2, v4, v9
	s_delay_alu instid0(VALU_DEP_1)
	v_div_fixup_f32 v9, v2, v3, v1
.LBB12_19:
	s_or_b32 exec_lo, exec_lo, s1
	s_add_nc_u64 s[2:3], s[4:5], s[2:3]
	global_store_b128 v0, v[6:9], s[2:3] scale_offset
	s_branch .LBB12_2
.LBB12_20:
	s_wait_xcnt 0x0
	v_dual_mov_b32 v31, v0 :: v_dual_mov_b32 v0, s4
	v_dual_mov_b32 v1, s5 :: v_dual_mov_b32 v2, s6
	;; [unrolled: 1-line block ×3, first 2 shown]
	s_get_pc_i64 s[0:1]
	s_add_nc_u64 s[0:1], s[0:1], _ZN2at6native25elementwise_kernel_helperILb0EZZZNS0_12_GLOBAL__N_130modified_bessel_i0_kernel_cudaERNS_18TensorIteratorBaseEENKUlvE_clEvENKUlvE0_clEvEUlfE_NS0_6memory8policies11unroll_baseILi256ESt5arrayIPcLm2EE23TrivialOffsetCalculatorILi1EjESF_NS8_15LoadWithoutCastENS8_16StoreWithoutCastELi4ELi1EEEEEvT0_T1_@rel64+4
	s_delay_alu instid0(SALU_CYCLE_1)
	s_swap_pc_i64 s[30:31], s[0:1]
	s_endpgm
	.section	.rodata,"a",@progbits
	.p2align	6, 0x0
	.amdhsa_kernel _ZN2at6native29vectorized_elementwise_kernelILi8EZZZNS0_12_GLOBAL__N_130modified_bessel_i0_kernel_cudaERNS_18TensorIteratorBaseEENKUlvE_clEvENKUlvE0_clEvEUlfE_St5arrayIPcLm2EEEEviT0_T1_
		.amdhsa_group_segment_fixed_size 0
		.amdhsa_private_segment_fixed_size 0
		.amdhsa_kernarg_size 24
		.amdhsa_user_sgpr_count 2
		.amdhsa_user_sgpr_dispatch_ptr 0
		.amdhsa_user_sgpr_queue_ptr 0
		.amdhsa_user_sgpr_kernarg_segment_ptr 1
		.amdhsa_user_sgpr_dispatch_id 0
		.amdhsa_user_sgpr_kernarg_preload_length 0
		.amdhsa_user_sgpr_kernarg_preload_offset 0
		.amdhsa_user_sgpr_private_segment_size 0
		.amdhsa_wavefront_size32 1
		.amdhsa_uses_dynamic_stack 0
		.amdhsa_enable_private_segment 0
		.amdhsa_system_sgpr_workgroup_id_x 1
		.amdhsa_system_sgpr_workgroup_id_y 0
		.amdhsa_system_sgpr_workgroup_id_z 0
		.amdhsa_system_sgpr_workgroup_info 0
		.amdhsa_system_vgpr_workitem_id 0
		.amdhsa_next_free_vgpr 32
		.amdhsa_next_free_sgpr 33
		.amdhsa_named_barrier_count 0
		.amdhsa_reserve_vcc 1
		.amdhsa_float_round_mode_32 0
		.amdhsa_float_round_mode_16_64 0
		.amdhsa_float_denorm_mode_32 3
		.amdhsa_float_denorm_mode_16_64 3
		.amdhsa_fp16_overflow 0
		.amdhsa_memory_ordered 1
		.amdhsa_forward_progress 1
		.amdhsa_inst_pref_size 56
		.amdhsa_round_robin_scheduling 0
		.amdhsa_exception_fp_ieee_invalid_op 0
		.amdhsa_exception_fp_denorm_src 0
		.amdhsa_exception_fp_ieee_div_zero 0
		.amdhsa_exception_fp_ieee_overflow 0
		.amdhsa_exception_fp_ieee_underflow 0
		.amdhsa_exception_fp_ieee_inexact 0
		.amdhsa_exception_int_div_zero 0
	.end_amdhsa_kernel
	.section	.text._ZN2at6native29vectorized_elementwise_kernelILi8EZZZNS0_12_GLOBAL__N_130modified_bessel_i0_kernel_cudaERNS_18TensorIteratorBaseEENKUlvE_clEvENKUlvE0_clEvEUlfE_St5arrayIPcLm2EEEEviT0_T1_,"axG",@progbits,_ZN2at6native29vectorized_elementwise_kernelILi8EZZZNS0_12_GLOBAL__N_130modified_bessel_i0_kernel_cudaERNS_18TensorIteratorBaseEENKUlvE_clEvENKUlvE0_clEvEUlfE_St5arrayIPcLm2EEEEviT0_T1_,comdat
.Lfunc_end12:
	.size	_ZN2at6native29vectorized_elementwise_kernelILi8EZZZNS0_12_GLOBAL__N_130modified_bessel_i0_kernel_cudaERNS_18TensorIteratorBaseEENKUlvE_clEvENKUlvE0_clEvEUlfE_St5arrayIPcLm2EEEEviT0_T1_, .Lfunc_end12-_ZN2at6native29vectorized_elementwise_kernelILi8EZZZNS0_12_GLOBAL__N_130modified_bessel_i0_kernel_cudaERNS_18TensorIteratorBaseEENKUlvE_clEvENKUlvE0_clEvEUlfE_St5arrayIPcLm2EEEEviT0_T1_
                                        ; -- End function
	.set _ZN2at6native29vectorized_elementwise_kernelILi8EZZZNS0_12_GLOBAL__N_130modified_bessel_i0_kernel_cudaERNS_18TensorIteratorBaseEENKUlvE_clEvENKUlvE0_clEvEUlfE_St5arrayIPcLm2EEEEviT0_T1_.num_vgpr, max(32, .L_ZN2at6native25elementwise_kernel_helperILb0EZZZNS0_12_GLOBAL__N_130modified_bessel_i0_kernel_cudaERNS_18TensorIteratorBaseEENKUlvE_clEvENKUlvE0_clEvEUlfE_NS0_6memory8policies11unroll_baseILi256ESt5arrayIPcLm2EE23TrivialOffsetCalculatorILi1EjESF_NS8_15LoadWithoutCastENS8_16StoreWithoutCastELi4ELi1EEEEEvT0_T1_.num_vgpr)
	.set _ZN2at6native29vectorized_elementwise_kernelILi8EZZZNS0_12_GLOBAL__N_130modified_bessel_i0_kernel_cudaERNS_18TensorIteratorBaseEENKUlvE_clEvENKUlvE0_clEvEUlfE_St5arrayIPcLm2EEEEviT0_T1_.num_agpr, max(0, .L_ZN2at6native25elementwise_kernel_helperILb0EZZZNS0_12_GLOBAL__N_130modified_bessel_i0_kernel_cudaERNS_18TensorIteratorBaseEENKUlvE_clEvENKUlvE0_clEvEUlfE_NS0_6memory8policies11unroll_baseILi256ESt5arrayIPcLm2EE23TrivialOffsetCalculatorILi1EjESF_NS8_15LoadWithoutCastENS8_16StoreWithoutCastELi4ELi1EEEEEvT0_T1_.num_agpr)
	.set _ZN2at6native29vectorized_elementwise_kernelILi8EZZZNS0_12_GLOBAL__N_130modified_bessel_i0_kernel_cudaERNS_18TensorIteratorBaseEENKUlvE_clEvENKUlvE0_clEvEUlfE_St5arrayIPcLm2EEEEviT0_T1_.numbered_sgpr, max(33, .L_ZN2at6native25elementwise_kernel_helperILb0EZZZNS0_12_GLOBAL__N_130modified_bessel_i0_kernel_cudaERNS_18TensorIteratorBaseEENKUlvE_clEvENKUlvE0_clEvEUlfE_NS0_6memory8policies11unroll_baseILi256ESt5arrayIPcLm2EE23TrivialOffsetCalculatorILi1EjESF_NS8_15LoadWithoutCastENS8_16StoreWithoutCastELi4ELi1EEEEEvT0_T1_.numbered_sgpr)
	.set _ZN2at6native29vectorized_elementwise_kernelILi8EZZZNS0_12_GLOBAL__N_130modified_bessel_i0_kernel_cudaERNS_18TensorIteratorBaseEENKUlvE_clEvENKUlvE0_clEvEUlfE_St5arrayIPcLm2EEEEviT0_T1_.num_named_barrier, max(0, .L_ZN2at6native25elementwise_kernel_helperILb0EZZZNS0_12_GLOBAL__N_130modified_bessel_i0_kernel_cudaERNS_18TensorIteratorBaseEENKUlvE_clEvENKUlvE0_clEvEUlfE_NS0_6memory8policies11unroll_baseILi256ESt5arrayIPcLm2EE23TrivialOffsetCalculatorILi1EjESF_NS8_15LoadWithoutCastENS8_16StoreWithoutCastELi4ELi1EEEEEvT0_T1_.num_named_barrier)
	.set _ZN2at6native29vectorized_elementwise_kernelILi8EZZZNS0_12_GLOBAL__N_130modified_bessel_i0_kernel_cudaERNS_18TensorIteratorBaseEENKUlvE_clEvENKUlvE0_clEvEUlfE_St5arrayIPcLm2EEEEviT0_T1_.private_seg_size, 0+max(.L_ZN2at6native25elementwise_kernel_helperILb0EZZZNS0_12_GLOBAL__N_130modified_bessel_i0_kernel_cudaERNS_18TensorIteratorBaseEENKUlvE_clEvENKUlvE0_clEvEUlfE_NS0_6memory8policies11unroll_baseILi256ESt5arrayIPcLm2EE23TrivialOffsetCalculatorILi1EjESF_NS8_15LoadWithoutCastENS8_16StoreWithoutCastELi4ELi1EEEEEvT0_T1_.private_seg_size)
	.set _ZN2at6native29vectorized_elementwise_kernelILi8EZZZNS0_12_GLOBAL__N_130modified_bessel_i0_kernel_cudaERNS_18TensorIteratorBaseEENKUlvE_clEvENKUlvE0_clEvEUlfE_St5arrayIPcLm2EEEEviT0_T1_.uses_vcc, or(1, .L_ZN2at6native25elementwise_kernel_helperILb0EZZZNS0_12_GLOBAL__N_130modified_bessel_i0_kernel_cudaERNS_18TensorIteratorBaseEENKUlvE_clEvENKUlvE0_clEvEUlfE_NS0_6memory8policies11unroll_baseILi256ESt5arrayIPcLm2EE23TrivialOffsetCalculatorILi1EjESF_NS8_15LoadWithoutCastENS8_16StoreWithoutCastELi4ELi1EEEEEvT0_T1_.uses_vcc)
	.set _ZN2at6native29vectorized_elementwise_kernelILi8EZZZNS0_12_GLOBAL__N_130modified_bessel_i0_kernel_cudaERNS_18TensorIteratorBaseEENKUlvE_clEvENKUlvE0_clEvEUlfE_St5arrayIPcLm2EEEEviT0_T1_.uses_flat_scratch, or(0, .L_ZN2at6native25elementwise_kernel_helperILb0EZZZNS0_12_GLOBAL__N_130modified_bessel_i0_kernel_cudaERNS_18TensorIteratorBaseEENKUlvE_clEvENKUlvE0_clEvEUlfE_NS0_6memory8policies11unroll_baseILi256ESt5arrayIPcLm2EE23TrivialOffsetCalculatorILi1EjESF_NS8_15LoadWithoutCastENS8_16StoreWithoutCastELi4ELi1EEEEEvT0_T1_.uses_flat_scratch)
	.set _ZN2at6native29vectorized_elementwise_kernelILi8EZZZNS0_12_GLOBAL__N_130modified_bessel_i0_kernel_cudaERNS_18TensorIteratorBaseEENKUlvE_clEvENKUlvE0_clEvEUlfE_St5arrayIPcLm2EEEEviT0_T1_.has_dyn_sized_stack, or(0, .L_ZN2at6native25elementwise_kernel_helperILb0EZZZNS0_12_GLOBAL__N_130modified_bessel_i0_kernel_cudaERNS_18TensorIteratorBaseEENKUlvE_clEvENKUlvE0_clEvEUlfE_NS0_6memory8policies11unroll_baseILi256ESt5arrayIPcLm2EE23TrivialOffsetCalculatorILi1EjESF_NS8_15LoadWithoutCastENS8_16StoreWithoutCastELi4ELi1EEEEEvT0_T1_.has_dyn_sized_stack)
	.set _ZN2at6native29vectorized_elementwise_kernelILi8EZZZNS0_12_GLOBAL__N_130modified_bessel_i0_kernel_cudaERNS_18TensorIteratorBaseEENKUlvE_clEvENKUlvE0_clEvEUlfE_St5arrayIPcLm2EEEEviT0_T1_.has_recursion, or(0, .L_ZN2at6native25elementwise_kernel_helperILb0EZZZNS0_12_GLOBAL__N_130modified_bessel_i0_kernel_cudaERNS_18TensorIteratorBaseEENKUlvE_clEvENKUlvE0_clEvEUlfE_NS0_6memory8policies11unroll_baseILi256ESt5arrayIPcLm2EE23TrivialOffsetCalculatorILi1EjESF_NS8_15LoadWithoutCastENS8_16StoreWithoutCastELi4ELi1EEEEEvT0_T1_.has_recursion)
	.set _ZN2at6native29vectorized_elementwise_kernelILi8EZZZNS0_12_GLOBAL__N_130modified_bessel_i0_kernel_cudaERNS_18TensorIteratorBaseEENKUlvE_clEvENKUlvE0_clEvEUlfE_St5arrayIPcLm2EEEEviT0_T1_.has_indirect_call, or(0, .L_ZN2at6native25elementwise_kernel_helperILb0EZZZNS0_12_GLOBAL__N_130modified_bessel_i0_kernel_cudaERNS_18TensorIteratorBaseEENKUlvE_clEvENKUlvE0_clEvEUlfE_NS0_6memory8policies11unroll_baseILi256ESt5arrayIPcLm2EE23TrivialOffsetCalculatorILi1EjESF_NS8_15LoadWithoutCastENS8_16StoreWithoutCastELi4ELi1EEEEEvT0_T1_.has_indirect_call)
	.section	.AMDGPU.csdata,"",@progbits
; Kernel info:
; codeLenInByte = 7076
; TotalNumSgprs: 35
; NumVgprs: 32
; ScratchSize: 0
; MemoryBound: 0
; FloatMode: 240
; IeeeMode: 1
; LDSByteSize: 0 bytes/workgroup (compile time only)
; SGPRBlocks: 0
; VGPRBlocks: 1
; NumSGPRsForWavesPerEU: 35
; NumVGPRsForWavesPerEU: 32
; NamedBarCnt: 0
; Occupancy: 16
; WaveLimiterHint : 0
; COMPUTE_PGM_RSRC2:SCRATCH_EN: 0
; COMPUTE_PGM_RSRC2:USER_SGPR: 2
; COMPUTE_PGM_RSRC2:TRAP_HANDLER: 0
; COMPUTE_PGM_RSRC2:TGID_X_EN: 1
; COMPUTE_PGM_RSRC2:TGID_Y_EN: 0
; COMPUTE_PGM_RSRC2:TGID_Z_EN: 0
; COMPUTE_PGM_RSRC2:TIDIG_COMP_CNT: 0
	.section	.text._ZN2at6native29vectorized_elementwise_kernelILi4EZZZNS0_12_GLOBAL__N_130modified_bessel_i0_kernel_cudaERNS_18TensorIteratorBaseEENKUlvE_clEvENKUlvE0_clEvEUlfE_St5arrayIPcLm2EEEEviT0_T1_,"axG",@progbits,_ZN2at6native29vectorized_elementwise_kernelILi4EZZZNS0_12_GLOBAL__N_130modified_bessel_i0_kernel_cudaERNS_18TensorIteratorBaseEENKUlvE_clEvENKUlvE0_clEvEUlfE_St5arrayIPcLm2EEEEviT0_T1_,comdat
	.globl	_ZN2at6native29vectorized_elementwise_kernelILi4EZZZNS0_12_GLOBAL__N_130modified_bessel_i0_kernel_cudaERNS_18TensorIteratorBaseEENKUlvE_clEvENKUlvE0_clEvEUlfE_St5arrayIPcLm2EEEEviT0_T1_ ; -- Begin function _ZN2at6native29vectorized_elementwise_kernelILi4EZZZNS0_12_GLOBAL__N_130modified_bessel_i0_kernel_cudaERNS_18TensorIteratorBaseEENKUlvE_clEvENKUlvE0_clEvEUlfE_St5arrayIPcLm2EEEEviT0_T1_
	.p2align	8
	.type	_ZN2at6native29vectorized_elementwise_kernelILi4EZZZNS0_12_GLOBAL__N_130modified_bessel_i0_kernel_cudaERNS_18TensorIteratorBaseEENKUlvE_clEvENKUlvE0_clEvEUlfE_St5arrayIPcLm2EEEEviT0_T1_,@function
_ZN2at6native29vectorized_elementwise_kernelILi4EZZZNS0_12_GLOBAL__N_130modified_bessel_i0_kernel_cudaERNS_18TensorIteratorBaseEENKUlvE_clEvENKUlvE0_clEvEUlfE_St5arrayIPcLm2EEEEviT0_T1_: ; @_ZN2at6native29vectorized_elementwise_kernelILi4EZZZNS0_12_GLOBAL__N_130modified_bessel_i0_kernel_cudaERNS_18TensorIteratorBaseEENKUlvE_clEvENKUlvE0_clEvEUlfE_St5arrayIPcLm2EEEEviT0_T1_
; %bb.0:
	s_clause 0x1
	s_load_b32 s2, s[0:1], 0x0
	s_load_b128 s[4:7], s[0:1], 0x8
	s_wait_xcnt 0x0
	s_bfe_u32 s0, ttmp6, 0x4000c
	s_and_b32 s1, ttmp6, 15
	s_add_co_i32 s0, s0, 1
	s_getreg_b32 s3, hwreg(HW_REG_IB_STS2, 6, 4)
	s_mul_i32 s0, ttmp9, s0
	s_mov_b32 s32, 0
	s_add_co_i32 s1, s1, s0
	s_cmp_eq_u32 s3, 0
	s_cselect_b32 s0, ttmp9, s1
	s_mov_b32 s1, -1
	s_lshl_b32 s0, s0, 10
	s_wait_kmcnt 0x0
	s_sub_co_i32 s8, s2, s0
	s_delay_alu instid0(SALU_CYCLE_1)
	s_cmp_gt_i32 s8, 0x3ff
	s_cbranch_scc1 .LBB13_3
; %bb.1:
	s_and_b32 vcc_lo, exec_lo, s1
	s_cbranch_vccnz .LBB13_20
.LBB13_2:
	s_sendmsg sendmsg(MSG_DEALLOC_VGPRS)
	s_endpgm
.LBB13_3:
	s_ashr_i32 s1, s0, 31
                                        ; implicit-def: $vgpr6
	s_delay_alu instid0(SALU_CYCLE_1) | instskip(NEXT) | instid1(SALU_CYCLE_1)
	s_lshl_b64 s[2:3], s[0:1], 2
	s_add_nc_u64 s[0:1], s[6:7], s[2:3]
	global_load_b128 v[2:5], v0, s[0:1] scale_offset
	s_wait_loadcnt 0x0
	v_cmp_ge_f32_e64 s0, 0x41000000, |v2|
	v_mul_f32_e64 v1, 0x3fb8aa3b, |v2|
	s_and_saveexec_b32 s1, s0
	s_delay_alu instid0(SALU_CYCLE_1)
	s_xor_b32 s0, exec_lo, s1
	s_cbranch_execz .LBB13_5
; %bb.4:
	v_fma_f32 v6, |v2|, 0.5, -2.0
	s_mov_b32 s1, 0xa2a2e5b9
	v_rndne_f32_e32 v9, v1
	v_fma_f32 v10, 0x3fb8aa3b, |v2|, -v1
	v_cmp_ngt_f32_e64 vcc_lo, 0xc2ce8ed0, |v2|
	v_fmaak_f32 v7, s1, v6, 0x24199b15
	s_delay_alu instid0(VALU_DEP_4) | instskip(NEXT) | instid1(VALU_DEP_4)
	v_sub_f32_e32 v1, v1, v9
	v_fma_f32 v10, 0x32a5705f, |v2|, v10
	v_cvt_i32_f32_e32 v9, v9
	s_delay_alu instid0(VALU_DEP_2) | instskip(NEXT) | instid1(VALU_DEP_1)
	v_dual_fmaak_f32 v8, v6, v7, 0x22a2e5b9 :: v_dual_add_f32 v1, v1, v10
	v_add_f32_e32 v8, 0xa58c275c, v8
	s_delay_alu instid0(VALU_DEP_2) | instskip(SKIP_1) | instid1(TRANS32_DEP_1)
	v_exp_f32_e32 v1, v1
	v_nop
	v_ldexp_f32 v1, v1, v9
	s_delay_alu instid0(VALU_DEP_1) | instskip(SKIP_1) | instid1(VALU_DEP_2)
	v_dual_fma_f32 v7, v6, v8, -v7 :: v_dual_cndmask_b32 v1, 0, v1, vcc_lo
	v_cmp_nlt_f32_e64 vcc_lo, 0x42b17218, |v2|
	v_cndmask_b32_e32 v1, 0x7f800000, v1, vcc_lo
	s_delay_alu instid0(VALU_DEP_3) | instskip(NEXT) | instid1(VALU_DEP_1)
	v_add_f32_e32 v7, 0x26f736c5, v7
	v_fma_f32 v8, v6, v7, -v8
	s_delay_alu instid0(VALU_DEP_1) | instskip(NEXT) | instid1(VALU_DEP_1)
	v_add_f32_e32 v8, 0xa8528116, v8
	v_fma_f32 v7, v6, v8, -v7
	s_delay_alu instid0(VALU_DEP_1) | instskip(NEXT) | instid1(VALU_DEP_1)
	;; [unrolled: 3-line block ×26, first 2 shown]
	v_add_f32_e32 v6, 0x3f2d4275, v6
	v_sub_f32_e32 v6, v6, v7
	s_delay_alu instid0(VALU_DEP_1) | instskip(NEXT) | instid1(VALU_DEP_1)
	v_mul_f32_e32 v6, 0.5, v6
	v_mul_f32_e32 v6, v1, v6
                                        ; implicit-def: $vgpr1
.LBB13_5:
	s_and_not1_saveexec_b32 s1, s0
	s_cbranch_execz .LBB13_7
; %bb.6:
	v_and_b32_e32 v6, 0x7fffffff, v2
	v_fma_f32 v11, 0x3fb8aa3b, |v2|, -v1
	s_mov_b32 s0, 0xa3056dbb
	s_delay_alu instid0(VALU_DEP_2) | instskip(SKIP_1) | instid1(VALU_DEP_3)
	v_div_scale_f32 v7, null, v6, v6, 0x42000000
	v_div_scale_f32 v6, vcc_lo, 0x42000000, v6, 0x42000000
	v_fma_f32 v11, 0x32a5705f, |v2|, v11
	s_delay_alu instid0(VALU_DEP_3) | instskip(SKIP_1) | instid1(TRANS32_DEP_1)
	v_rcp_f32_e32 v8, v7
	v_nop
	v_fma_f32 v9, -v7, v8, 1.0
	s_delay_alu instid0(VALU_DEP_1) | instskip(NEXT) | instid1(VALU_DEP_1)
	v_fmac_f32_e32 v8, v9, v8
	v_mul_f32_e32 v9, v6, v8
	s_delay_alu instid0(VALU_DEP_1) | instskip(NEXT) | instid1(VALU_DEP_1)
	v_fma_f32 v10, -v7, v9, v6
	v_fmac_f32_e32 v9, v10, v8
	v_rndne_f32_e32 v10, v1
	s_delay_alu instid0(VALU_DEP_1) | instskip(SKIP_1) | instid1(VALU_DEP_2)
	v_dual_fma_f32 v6, -v7, v9, v6 :: v_dual_sub_f32 v1, v1, v10
	v_cvt_i32_f32_e32 v10, v10
	v_div_fmas_f32 v6, v6, v8, v9
	v_mul_f32_e64 v9, 0x4f800000, |v2|
	v_cmp_gt_f32_e64 vcc_lo, 0xf800000, |v2|
	v_add_f32_e32 v1, v1, v11
	s_delay_alu instid0(VALU_DEP_4) | instskip(NEXT) | instid1(VALU_DEP_3)
	v_div_fixup_f32 v6, v6, |v2|, 0x42000000
	v_cndmask_b32_e64 v9, |v2|, v9, vcc_lo
	s_delay_alu instid0(VALU_DEP_3) | instskip(NEXT) | instid1(VALU_DEP_2)
	v_exp_f32_e32 v1, v1
	v_add_f32_e32 v6, -2.0, v6
	s_delay_alu instid0(VALU_DEP_2) | instskip(NEXT) | instid1(VALU_DEP_1)
	v_sqrt_f32_e32 v12, v9
	v_fmaak_f32 v7, s0, v6, 0xa2b236d3
	s_delay_alu instid0(TRANS32_DEP_2)
	v_ldexp_f32 v1, v1, v10
	s_delay_alu instid0(TRANS32_DEP_1) | instid1(VALU_DEP_2)
	v_dual_fmaak_f32 v8, v6, v7, 0x23056dbb :: v_dual_add_nc_u32 v13, -1, v12
	s_delay_alu instid0(VALU_DEP_1) | instskip(NEXT) | instid1(VALU_DEP_2)
	v_dual_add_nc_u32 v11, 1, v12 :: v_dual_fma_f32 v14, -v13, v12, v9
	v_add_f32_e32 v8, 0x244df0c1, v8
	s_delay_alu instid0(VALU_DEP_2) | instskip(NEXT) | instid1(VALU_DEP_3)
	v_fma_f32 v15, -v11, v12, v9
	v_cmp_ge_f32_e64 s0, 0, v14
	s_delay_alu instid0(VALU_DEP_1) | instskip(NEXT) | instid1(VALU_DEP_1)
	v_dual_fma_f32 v7, v6, v8, -v7 :: v_dual_cndmask_b32 v12, v12, v13, s0
	v_add_f32_e32 v7, 0x241f9ee8, v7
	s_delay_alu instid0(VALU_DEP_4) | instskip(NEXT) | instid1(VALU_DEP_2)
	v_cmp_lt_f32_e64 s0, 0, v15
	v_fma_f32 v8, v6, v7, -v8
	s_delay_alu instid0(VALU_DEP_1) | instskip(NEXT) | instid1(VALU_DEP_1)
	v_add_f32_e32 v8, 0xa5a3005d, v8
	v_fma_f32 v7, v6, v8, -v7
	s_delay_alu instid0(VALU_DEP_1) | instskip(NEXT) | instid1(VALU_DEP_1)
	v_add_f32_e32 v7, 0xa5c5773f, v7
	;; [unrolled: 3-line block ×20, first 2 shown]
	v_fma_f32 v6, v6, v7, -v8
	v_cndmask_b32_e64 v7, v12, v11, s0
	v_cmp_ngt_f32_e64 s0, 0xc2ce8ed0, |v2|
	s_delay_alu instid0(VALU_DEP_3) | instskip(NEXT) | instid1(VALU_DEP_3)
	v_add_f32_e32 v6, 0x3f4df315, v6
	v_mul_f32_e32 v10, 0x37800000, v7
	s_delay_alu instid0(VALU_DEP_3) | instskip(SKIP_1) | instid1(VALU_DEP_3)
	v_cndmask_b32_e64 v1, 0, v1, s0
	v_cmp_nlt_f32_e64 s0, 0x42b17218, |v2|
	v_dual_sub_f32 v6, v6, v8 :: v_dual_cndmask_b32 v2, v7, v10, vcc_lo
	v_cmp_class_f32_e64 vcc_lo, v9, 0x260
	s_delay_alu instid0(VALU_DEP_3) | instskip(NEXT) | instid1(VALU_DEP_2)
	v_cndmask_b32_e64 v1, 0x7f800000, v1, s0
	v_dual_mul_f32 v6, 0.5, v6 :: v_dual_cndmask_b32 v2, v2, v9, vcc_lo
	s_delay_alu instid0(VALU_DEP_1) | instskip(NEXT) | instid1(VALU_DEP_1)
	v_mul_f32_e32 v1, v1, v6
	v_div_scale_f32 v6, null, v2, v2, v1
	s_delay_alu instid0(VALU_DEP_1) | instskip(SKIP_1) | instid1(TRANS32_DEP_1)
	v_rcp_f32_e32 v7, v6
	v_nop
	v_fma_f32 v8, -v6, v7, 1.0
	s_delay_alu instid0(VALU_DEP_1) | instskip(SKIP_1) | instid1(VALU_DEP_1)
	v_fmac_f32_e32 v7, v8, v7
	v_div_scale_f32 v8, vcc_lo, v1, v2, v1
	v_mul_f32_e32 v9, v8, v7
	s_delay_alu instid0(VALU_DEP_1) | instskip(NEXT) | instid1(VALU_DEP_1)
	v_fma_f32 v10, -v6, v9, v8
	v_fmac_f32_e32 v9, v10, v7
	s_delay_alu instid0(VALU_DEP_1) | instskip(NEXT) | instid1(VALU_DEP_1)
	v_fma_f32 v6, -v6, v9, v8
	v_div_fmas_f32 v6, v6, v7, v9
	s_delay_alu instid0(VALU_DEP_1)
	v_div_fixup_f32 v6, v6, v2, v1
.LBB13_7:
	s_or_b32 exec_lo, exec_lo, s1
	v_cmp_ge_f32_e64 s0, 0x41000000, |v3|
	v_mul_f32_e64 v1, 0x3fb8aa3b, |v3|
	s_and_saveexec_b32 s1, s0
	s_delay_alu instid0(SALU_CYCLE_1)
	s_xor_b32 s0, exec_lo, s1
	s_cbranch_execz .LBB13_9
; %bb.8:
	v_fma_f32 v2, |v3|, 0.5, -2.0
	s_mov_b32 s1, 0xa2a2e5b9
	v_rndne_f32_e32 v9, v1
	v_fma_f32 v10, 0x3fb8aa3b, |v3|, -v1
	v_cmp_ngt_f32_e64 vcc_lo, 0xc2ce8ed0, |v3|
	v_fmaak_f32 v7, s1, v2, 0x24199b15
	s_delay_alu instid0(VALU_DEP_4) | instskip(NEXT) | instid1(VALU_DEP_4)
	v_sub_f32_e32 v1, v1, v9
	v_fma_f32 v10, 0x32a5705f, |v3|, v10
	v_cvt_i32_f32_e32 v9, v9
	s_delay_alu instid0(VALU_DEP_2) | instskip(NEXT) | instid1(VALU_DEP_1)
	v_dual_fmaak_f32 v8, v2, v7, 0x22a2e5b9 :: v_dual_add_f32 v1, v1, v10
	v_add_f32_e32 v8, 0xa58c275c, v8
	s_delay_alu instid0(VALU_DEP_2) | instskip(SKIP_1) | instid1(TRANS32_DEP_1)
	v_exp_f32_e32 v1, v1
	v_nop
	v_ldexp_f32 v1, v1, v9
	s_delay_alu instid0(VALU_DEP_1) | instskip(NEXT) | instid1(VALU_DEP_1)
	v_dual_fma_f32 v7, v2, v8, -v7 :: v_dual_cndmask_b32 v1, 0, v1, vcc_lo
	v_add_f32_e32 v7, 0x26f736c5, v7
	v_cmp_nlt_f32_e64 vcc_lo, 0x42b17218, |v3|
	s_delay_alu instid0(VALU_DEP_2) | instskip(NEXT) | instid1(VALU_DEP_4)
	v_fma_f32 v8, v2, v7, -v8
	v_cndmask_b32_e32 v1, 0x7f800000, v1, vcc_lo
	s_delay_alu instid0(VALU_DEP_2) | instskip(NEXT) | instid1(VALU_DEP_1)
	v_add_f32_e32 v8, 0xa8528116, v8
	v_fma_f32 v7, v2, v8, -v7
	s_delay_alu instid0(VALU_DEP_1) | instskip(NEXT) | instid1(VALU_DEP_1)
	v_add_f32_e32 v7, 0x29acda32, v7
	v_fma_f32 v8, v2, v7, -v8
	s_delay_alu instid0(VALU_DEP_1) | instskip(NEXT) | instid1(VALU_DEP_1)
	;; [unrolled: 3-line block ×25, first 2 shown]
	v_add_f32_e32 v2, 0x3f2d4275, v2
	v_sub_f32_e32 v2, v2, v7
	s_delay_alu instid0(VALU_DEP_1) | instskip(NEXT) | instid1(VALU_DEP_1)
	v_mul_f32_e32 v2, 0.5, v2
	v_mul_f32_e32 v7, v1, v2
                                        ; implicit-def: $vgpr1
.LBB13_9:
	s_and_not1_saveexec_b32 s1, s0
	s_cbranch_execz .LBB13_11
; %bb.10:
	v_and_b32_e32 v2, 0x7fffffff, v3
	v_fma_f32 v11, 0x3fb8aa3b, |v3|, -v1
	s_mov_b32 s0, 0xa3056dbb
	s_delay_alu instid0(VALU_DEP_2) | instskip(SKIP_1) | instid1(VALU_DEP_3)
	v_div_scale_f32 v7, null, v2, v2, 0x42000000
	v_div_scale_f32 v2, vcc_lo, 0x42000000, v2, 0x42000000
	v_fma_f32 v11, 0x32a5705f, |v3|, v11
	s_delay_alu instid0(VALU_DEP_3) | instskip(SKIP_1) | instid1(TRANS32_DEP_1)
	v_rcp_f32_e32 v8, v7
	v_nop
	v_fma_f32 v9, -v7, v8, 1.0
	s_delay_alu instid0(VALU_DEP_1) | instskip(NEXT) | instid1(VALU_DEP_1)
	v_fmac_f32_e32 v8, v9, v8
	v_mul_f32_e32 v9, v2, v8
	s_delay_alu instid0(VALU_DEP_1) | instskip(NEXT) | instid1(VALU_DEP_1)
	v_fma_f32 v10, -v7, v9, v2
	v_fmac_f32_e32 v9, v10, v8
	v_rndne_f32_e32 v10, v1
	s_delay_alu instid0(VALU_DEP_1) | instskip(SKIP_1) | instid1(VALU_DEP_2)
	v_dual_fma_f32 v2, -v7, v9, v2 :: v_dual_sub_f32 v1, v1, v10
	v_cvt_i32_f32_e32 v10, v10
	v_div_fmas_f32 v2, v2, v8, v9
	v_mul_f32_e64 v9, 0x4f800000, |v3|
	v_cmp_gt_f32_e64 vcc_lo, 0xf800000, |v3|
	v_add_f32_e32 v1, v1, v11
	s_delay_alu instid0(VALU_DEP_4) | instskip(NEXT) | instid1(VALU_DEP_3)
	v_div_fixup_f32 v2, v2, |v3|, 0x42000000
	v_cndmask_b32_e64 v9, |v3|, v9, vcc_lo
	s_delay_alu instid0(VALU_DEP_3) | instskip(NEXT) | instid1(VALU_DEP_2)
	v_exp_f32_e32 v1, v1
	v_add_f32_e32 v2, -2.0, v2
	s_delay_alu instid0(VALU_DEP_2) | instskip(NEXT) | instid1(VALU_DEP_1)
	v_sqrt_f32_e32 v12, v9
	v_fmaak_f32 v7, s0, v2, 0xa2b236d3
	s_delay_alu instid0(TRANS32_DEP_2)
	v_ldexp_f32 v1, v1, v10
	s_delay_alu instid0(TRANS32_DEP_1) | instid1(VALU_DEP_2)
	v_dual_fmaak_f32 v8, v2, v7, 0x23056dbb :: v_dual_add_nc_u32 v13, -1, v12
	s_delay_alu instid0(VALU_DEP_1) | instskip(NEXT) | instid1(VALU_DEP_2)
	v_dual_add_nc_u32 v11, 1, v12 :: v_dual_fma_f32 v14, -v13, v12, v9
	v_add_f32_e32 v8, 0x244df0c1, v8
	s_delay_alu instid0(VALU_DEP_2) | instskip(NEXT) | instid1(VALU_DEP_3)
	v_fma_f32 v15, -v11, v12, v9
	v_cmp_ge_f32_e64 s0, 0, v14
	s_delay_alu instid0(VALU_DEP_1) | instskip(NEXT) | instid1(VALU_DEP_1)
	v_dual_fma_f32 v7, v2, v8, -v7 :: v_dual_cndmask_b32 v12, v12, v13, s0
	v_add_f32_e32 v7, 0x241f9ee8, v7
	s_delay_alu instid0(VALU_DEP_4) | instskip(NEXT) | instid1(VALU_DEP_2)
	v_cmp_lt_f32_e64 s0, 0, v15
	v_fma_f32 v8, v2, v7, -v8
	s_delay_alu instid0(VALU_DEP_1) | instskip(NEXT) | instid1(VALU_DEP_1)
	v_add_f32_e32 v8, 0xa5a3005d, v8
	v_fma_f32 v7, v2, v8, -v7
	s_delay_alu instid0(VALU_DEP_1) | instskip(NEXT) | instid1(VALU_DEP_1)
	v_add_f32_e32 v7, 0xa5c5773f, v7
	;; [unrolled: 3-line block ×20, first 2 shown]
	v_fma_f32 v2, v2, v7, -v8
	v_cndmask_b32_e64 v7, v12, v11, s0
	v_cmp_ngt_f32_e64 s0, 0xc2ce8ed0, |v3|
	s_delay_alu instid0(VALU_DEP_3) | instskip(NEXT) | instid1(VALU_DEP_3)
	v_add_f32_e32 v2, 0x3f4df315, v2
	v_mul_f32_e32 v10, 0x37800000, v7
	s_delay_alu instid0(VALU_DEP_3) | instskip(SKIP_1) | instid1(VALU_DEP_3)
	v_cndmask_b32_e64 v1, 0, v1, s0
	v_cmp_nlt_f32_e64 s0, 0x42b17218, |v3|
	v_dual_sub_f32 v2, v2, v8 :: v_dual_cndmask_b32 v3, v7, v10
	v_cmp_class_f32_e64 vcc_lo, v9, 0x260
	s_delay_alu instid0(VALU_DEP_3) | instskip(NEXT) | instid1(VALU_DEP_3)
	v_cndmask_b32_e64 v1, 0x7f800000, v1, s0
	v_dual_mul_f32 v2, 0.5, v2 :: v_dual_cndmask_b32 v3, v3, v9
	s_delay_alu instid0(VALU_DEP_1) | instskip(NEXT) | instid1(VALU_DEP_1)
	v_mul_f32_e32 v1, v1, v2
	v_div_scale_f32 v2, null, v3, v3, v1
	s_delay_alu instid0(VALU_DEP_1) | instskip(SKIP_1) | instid1(TRANS32_DEP_1)
	v_rcp_f32_e32 v7, v2
	v_nop
	v_fma_f32 v8, -v2, v7, 1.0
	s_delay_alu instid0(VALU_DEP_1) | instskip(SKIP_1) | instid1(VALU_DEP_1)
	v_fmac_f32_e32 v7, v8, v7
	v_div_scale_f32 v8, vcc_lo, v1, v3, v1
	v_mul_f32_e32 v9, v8, v7
	s_delay_alu instid0(VALU_DEP_1) | instskip(NEXT) | instid1(VALU_DEP_1)
	v_fma_f32 v10, -v2, v9, v8
	v_fmac_f32_e32 v9, v10, v7
	s_delay_alu instid0(VALU_DEP_1) | instskip(NEXT) | instid1(VALU_DEP_1)
	v_fma_f32 v2, -v2, v9, v8
	v_div_fmas_f32 v2, v2, v7, v9
	s_delay_alu instid0(VALU_DEP_1)
	v_div_fixup_f32 v7, v2, v3, v1
.LBB13_11:
	s_or_b32 exec_lo, exec_lo, s1
	v_cmp_ge_f32_e64 s0, 0x41000000, |v4|
	v_mul_f32_e64 v1, 0x3fb8aa3b, |v4|
	s_and_saveexec_b32 s1, s0
	s_delay_alu instid0(SALU_CYCLE_1)
	s_xor_b32 s0, exec_lo, s1
	s_cbranch_execz .LBB13_13
; %bb.12:
	v_fma_f32 v2, |v4|, 0.5, -2.0
	s_mov_b32 s1, 0xa2a2e5b9
	v_rndne_f32_e32 v9, v1
	v_fma_f32 v10, 0x3fb8aa3b, |v4|, -v1
	v_cmp_ngt_f32_e64 vcc_lo, 0xc2ce8ed0, |v4|
	v_fmaak_f32 v3, s1, v2, 0x24199b15
	s_delay_alu instid0(VALU_DEP_4) | instskip(NEXT) | instid1(VALU_DEP_4)
	v_sub_f32_e32 v1, v1, v9
	v_fma_f32 v10, 0x32a5705f, |v4|, v10
	v_cvt_i32_f32_e32 v9, v9
	s_delay_alu instid0(VALU_DEP_2) | instskip(NEXT) | instid1(VALU_DEP_1)
	v_dual_fmaak_f32 v8, v2, v3, 0x22a2e5b9 :: v_dual_add_f32 v1, v1, v10
	v_add_f32_e32 v8, 0xa58c275c, v8
	s_delay_alu instid0(VALU_DEP_2) | instskip(SKIP_1) | instid1(TRANS32_DEP_1)
	v_exp_f32_e32 v1, v1
	v_nop
	v_ldexp_f32 v1, v1, v9
	s_delay_alu instid0(VALU_DEP_1) | instskip(SKIP_1) | instid1(VALU_DEP_2)
	v_dual_fma_f32 v3, v2, v8, -v3 :: v_dual_cndmask_b32 v1, 0, v1, vcc_lo
	v_cmp_nlt_f32_e64 vcc_lo, 0x42b17218, |v4|
	v_cndmask_b32_e32 v1, 0x7f800000, v1, vcc_lo
	s_delay_alu instid0(VALU_DEP_3) | instskip(NEXT) | instid1(VALU_DEP_1)
	v_add_f32_e32 v3, 0x26f736c5, v3
	v_fma_f32 v8, v2, v3, -v8
	s_delay_alu instid0(VALU_DEP_1) | instskip(NEXT) | instid1(VALU_DEP_1)
	v_add_f32_e32 v8, 0xa8528116, v8
	v_fma_f32 v3, v2, v8, -v3
	s_delay_alu instid0(VALU_DEP_1) | instskip(NEXT) | instid1(VALU_DEP_1)
	;; [unrolled: 3-line block ×26, first 2 shown]
	v_add_f32_e32 v2, 0x3f2d4275, v2
	v_sub_f32_e32 v2, v2, v3
	s_delay_alu instid0(VALU_DEP_1) | instskip(NEXT) | instid1(VALU_DEP_1)
	v_mul_f32_e32 v2, 0.5, v2
	v_mul_f32_e32 v8, v1, v2
                                        ; implicit-def: $vgpr1
.LBB13_13:
	s_and_not1_saveexec_b32 s1, s0
	s_cbranch_execz .LBB13_15
; %bb.14:
	v_and_b32_e32 v2, 0x7fffffff, v4
	v_fma_f32 v11, 0x3fb8aa3b, |v4|, -v1
	s_mov_b32 s0, 0xa3056dbb
	s_delay_alu instid0(VALU_DEP_2) | instskip(SKIP_1) | instid1(VALU_DEP_3)
	v_div_scale_f32 v3, null, v2, v2, 0x42000000
	v_div_scale_f32 v2, vcc_lo, 0x42000000, v2, 0x42000000
	v_fma_f32 v11, 0x32a5705f, |v4|, v11
	s_delay_alu instid0(VALU_DEP_3) | instskip(SKIP_1) | instid1(TRANS32_DEP_1)
	v_rcp_f32_e32 v8, v3
	v_nop
	v_fma_f32 v9, -v3, v8, 1.0
	s_delay_alu instid0(VALU_DEP_1) | instskip(NEXT) | instid1(VALU_DEP_1)
	v_fmac_f32_e32 v8, v9, v8
	v_mul_f32_e32 v9, v2, v8
	s_delay_alu instid0(VALU_DEP_1) | instskip(NEXT) | instid1(VALU_DEP_1)
	v_fma_f32 v10, -v3, v9, v2
	v_fmac_f32_e32 v9, v10, v8
	v_rndne_f32_e32 v10, v1
	s_delay_alu instid0(VALU_DEP_1) | instskip(SKIP_1) | instid1(VALU_DEP_2)
	v_dual_fma_f32 v2, -v3, v9, v2 :: v_dual_sub_f32 v1, v1, v10
	v_cvt_i32_f32_e32 v10, v10
	v_div_fmas_f32 v2, v2, v8, v9
	v_mul_f32_e64 v9, 0x4f800000, |v4|
	v_cmp_gt_f32_e64 vcc_lo, 0xf800000, |v4|
	v_add_f32_e32 v1, v1, v11
	s_delay_alu instid0(VALU_DEP_4) | instskip(NEXT) | instid1(VALU_DEP_3)
	v_div_fixup_f32 v2, v2, |v4|, 0x42000000
	v_cndmask_b32_e64 v9, |v4|, v9, vcc_lo
	s_delay_alu instid0(VALU_DEP_3) | instskip(NEXT) | instid1(VALU_DEP_2)
	v_exp_f32_e32 v1, v1
	v_add_f32_e32 v2, -2.0, v2
	s_delay_alu instid0(VALU_DEP_2) | instskip(NEXT) | instid1(VALU_DEP_1)
	v_sqrt_f32_e32 v12, v9
	v_fmaak_f32 v3, s0, v2, 0xa2b236d3
	s_delay_alu instid0(TRANS32_DEP_2)
	v_ldexp_f32 v1, v1, v10
	s_delay_alu instid0(TRANS32_DEP_1) | instid1(VALU_DEP_2)
	v_dual_fmaak_f32 v8, v2, v3, 0x23056dbb :: v_dual_add_nc_u32 v13, -1, v12
	s_delay_alu instid0(VALU_DEP_1) | instskip(NEXT) | instid1(VALU_DEP_2)
	v_dual_add_nc_u32 v11, 1, v12 :: v_dual_fma_f32 v14, -v13, v12, v9
	v_add_f32_e32 v8, 0x244df0c1, v8
	s_delay_alu instid0(VALU_DEP_2) | instskip(NEXT) | instid1(VALU_DEP_3)
	v_fma_f32 v15, -v11, v12, v9
	v_cmp_ge_f32_e64 s0, 0, v14
	s_delay_alu instid0(VALU_DEP_1) | instskip(NEXT) | instid1(VALU_DEP_1)
	v_dual_fma_f32 v3, v2, v8, -v3 :: v_dual_cndmask_b32 v12, v12, v13, s0
	v_add_f32_e32 v3, 0x241f9ee8, v3
	s_delay_alu instid0(VALU_DEP_4) | instskip(NEXT) | instid1(VALU_DEP_2)
	v_cmp_lt_f32_e64 s0, 0, v15
	v_fma_f32 v8, v2, v3, -v8
	s_delay_alu instid0(VALU_DEP_1) | instskip(NEXT) | instid1(VALU_DEP_1)
	v_add_f32_e32 v8, 0xa5a3005d, v8
	v_fma_f32 v3, v2, v8, -v3
	s_delay_alu instid0(VALU_DEP_1) | instskip(NEXT) | instid1(VALU_DEP_1)
	v_add_f32_e32 v3, 0xa5c5773f, v3
	;; [unrolled: 3-line block ×20, first 2 shown]
	v_fma_f32 v2, v2, v3, -v8
	v_cndmask_b32_e64 v3, v12, v11, s0
	v_cmp_ngt_f32_e64 s0, 0xc2ce8ed0, |v4|
	s_delay_alu instid0(VALU_DEP_3) | instskip(NEXT) | instid1(VALU_DEP_3)
	v_add_f32_e32 v2, 0x3f4df315, v2
	v_mul_f32_e32 v10, 0x37800000, v3
	s_delay_alu instid0(VALU_DEP_3) | instskip(SKIP_1) | instid1(VALU_DEP_3)
	v_cndmask_b32_e64 v1, 0, v1, s0
	v_cmp_nlt_f32_e64 s0, 0x42b17218, |v4|
	v_dual_sub_f32 v2, v2, v8 :: v_dual_cndmask_b32 v3, v3, v10
	v_cmp_class_f32_e64 vcc_lo, v9, 0x260
	s_delay_alu instid0(VALU_DEP_3) | instskip(NEXT) | instid1(VALU_DEP_3)
	v_cndmask_b32_e64 v1, 0x7f800000, v1, s0
	v_dual_mul_f32 v2, 0.5, v2 :: v_dual_cndmask_b32 v3, v3, v9
	s_delay_alu instid0(VALU_DEP_1) | instskip(NEXT) | instid1(VALU_DEP_1)
	v_mul_f32_e32 v1, v1, v2
	v_div_scale_f32 v2, null, v3, v3, v1
	s_delay_alu instid0(VALU_DEP_1) | instskip(SKIP_1) | instid1(TRANS32_DEP_1)
	v_rcp_f32_e32 v4, v2
	v_nop
	v_fma_f32 v8, -v2, v4, 1.0
	s_delay_alu instid0(VALU_DEP_1) | instskip(SKIP_1) | instid1(VALU_DEP_1)
	v_fmac_f32_e32 v4, v8, v4
	v_div_scale_f32 v8, vcc_lo, v1, v3, v1
	v_mul_f32_e32 v9, v8, v4
	s_delay_alu instid0(VALU_DEP_1) | instskip(NEXT) | instid1(VALU_DEP_1)
	v_fma_f32 v10, -v2, v9, v8
	v_fmac_f32_e32 v9, v10, v4
	s_delay_alu instid0(VALU_DEP_1) | instskip(NEXT) | instid1(VALU_DEP_1)
	v_fma_f32 v2, -v2, v9, v8
	v_div_fmas_f32 v2, v2, v4, v9
	s_delay_alu instid0(VALU_DEP_1)
	v_div_fixup_f32 v8, v2, v3, v1
.LBB13_15:
	s_or_b32 exec_lo, exec_lo, s1
	v_cmp_ge_f32_e64 s0, 0x41000000, |v5|
	v_mul_f32_e64 v1, 0x3fb8aa3b, |v5|
	s_and_saveexec_b32 s1, s0
	s_delay_alu instid0(SALU_CYCLE_1)
	s_xor_b32 s0, exec_lo, s1
	s_cbranch_execz .LBB13_17
; %bb.16:
	v_fma_f32 v2, |v5|, 0.5, -2.0
	s_mov_b32 s1, 0xa2a2e5b9
	v_rndne_f32_e32 v9, v1
	v_fma_f32 v10, 0x3fb8aa3b, |v5|, -v1
	v_cmp_ngt_f32_e64 vcc_lo, 0xc2ce8ed0, |v5|
	v_fmaak_f32 v3, s1, v2, 0x24199b15
	s_delay_alu instid0(VALU_DEP_4) | instskip(NEXT) | instid1(VALU_DEP_4)
	v_sub_f32_e32 v1, v1, v9
	v_fma_f32 v10, 0x32a5705f, |v5|, v10
	v_cvt_i32_f32_e32 v9, v9
	s_delay_alu instid0(VALU_DEP_2) | instskip(NEXT) | instid1(VALU_DEP_1)
	v_dual_fmaak_f32 v4, v2, v3, 0x22a2e5b9 :: v_dual_add_f32 v1, v1, v10
	v_add_f32_e32 v4, 0xa58c275c, v4
	s_delay_alu instid0(VALU_DEP_2) | instskip(SKIP_1) | instid1(TRANS32_DEP_1)
	v_exp_f32_e32 v1, v1
	v_nop
	v_ldexp_f32 v1, v1, v9
	s_delay_alu instid0(VALU_DEP_1) | instskip(NEXT) | instid1(VALU_DEP_1)
	v_dual_fma_f32 v3, v2, v4, -v3 :: v_dual_cndmask_b32 v1, 0, v1, vcc_lo
	v_add_f32_e32 v3, 0x26f736c5, v3
	v_cmp_nlt_f32_e64 vcc_lo, 0x42b17218, |v5|
	s_delay_alu instid0(VALU_DEP_2) | instskip(NEXT) | instid1(VALU_DEP_4)
	v_fma_f32 v4, v2, v3, -v4
	v_cndmask_b32_e32 v1, 0x7f800000, v1, vcc_lo
	s_delay_alu instid0(VALU_DEP_2) | instskip(NEXT) | instid1(VALU_DEP_1)
	v_add_f32_e32 v4, 0xa8528116, v4
	v_fma_f32 v3, v2, v4, -v3
	s_delay_alu instid0(VALU_DEP_1) | instskip(NEXT) | instid1(VALU_DEP_1)
	v_add_f32_e32 v3, 0x29acda32, v3
	v_fma_f32 v4, v2, v3, -v4
	s_delay_alu instid0(VALU_DEP_1) | instskip(NEXT) | instid1(VALU_DEP_1)
	;; [unrolled: 3-line block ×25, first 2 shown]
	v_add_f32_e32 v2, 0x3f2d4275, v2
	v_sub_f32_e32 v2, v2, v3
	s_delay_alu instid0(VALU_DEP_1) | instskip(NEXT) | instid1(VALU_DEP_1)
	v_mul_f32_e32 v2, 0.5, v2
	v_mul_f32_e32 v9, v1, v2
                                        ; implicit-def: $vgpr2_vgpr3_vgpr4_vgpr5
                                        ; implicit-def: $vgpr1
.LBB13_17:
	s_and_not1_saveexec_b32 s1, s0
	s_cbranch_execz .LBB13_19
; %bb.18:
	v_and_b32_e32 v2, 0x7fffffff, v5
	v_fma_f32 v11, 0x3fb8aa3b, |v5|, -v1
	s_mov_b32 s0, 0xa3056dbb
	s_delay_alu instid0(VALU_DEP_2) | instskip(SKIP_1) | instid1(VALU_DEP_3)
	v_div_scale_f32 v3, null, v2, v2, 0x42000000
	v_div_scale_f32 v2, vcc_lo, 0x42000000, v2, 0x42000000
	v_fma_f32 v11, 0x32a5705f, |v5|, v11
	s_delay_alu instid0(VALU_DEP_3) | instskip(SKIP_1) | instid1(TRANS32_DEP_1)
	v_rcp_f32_e32 v4, v3
	v_nop
	v_fma_f32 v9, -v3, v4, 1.0
	s_delay_alu instid0(VALU_DEP_1) | instskip(NEXT) | instid1(VALU_DEP_1)
	v_fmac_f32_e32 v4, v9, v4
	v_mul_f32_e32 v9, v2, v4
	s_delay_alu instid0(VALU_DEP_1) | instskip(NEXT) | instid1(VALU_DEP_1)
	v_fma_f32 v10, -v3, v9, v2
	v_fmac_f32_e32 v9, v10, v4
	v_rndne_f32_e32 v10, v1
	s_delay_alu instid0(VALU_DEP_1) | instskip(SKIP_1) | instid1(VALU_DEP_2)
	v_dual_fma_f32 v2, -v3, v9, v2 :: v_dual_sub_f32 v1, v1, v10
	v_cvt_i32_f32_e32 v10, v10
	v_div_fmas_f32 v2, v2, v4, v9
	v_mul_f32_e64 v9, 0x4f800000, |v5|
	v_cmp_gt_f32_e64 vcc_lo, 0xf800000, |v5|
	v_add_f32_e32 v1, v1, v11
	s_delay_alu instid0(VALU_DEP_4) | instskip(NEXT) | instid1(VALU_DEP_3)
	v_div_fixup_f32 v2, v2, |v5|, 0x42000000
	v_cndmask_b32_e64 v9, |v5|, v9, vcc_lo
	s_delay_alu instid0(VALU_DEP_3) | instskip(NEXT) | instid1(VALU_DEP_2)
	v_exp_f32_e32 v1, v1
	v_add_f32_e32 v2, -2.0, v2
	s_delay_alu instid0(VALU_DEP_2) | instskip(NEXT) | instid1(VALU_DEP_1)
	v_sqrt_f32_e32 v12, v9
	v_fmaak_f32 v3, s0, v2, 0xa2b236d3
	s_delay_alu instid0(TRANS32_DEP_2)
	v_ldexp_f32 v1, v1, v10
	s_delay_alu instid0(TRANS32_DEP_1) | instid1(VALU_DEP_2)
	v_dual_fmaak_f32 v4, v2, v3, 0x23056dbb :: v_dual_add_nc_u32 v13, -1, v12
	s_delay_alu instid0(VALU_DEP_1) | instskip(NEXT) | instid1(VALU_DEP_2)
	v_dual_add_nc_u32 v11, 1, v12 :: v_dual_fma_f32 v14, -v13, v12, v9
	v_add_f32_e32 v4, 0x244df0c1, v4
	s_delay_alu instid0(VALU_DEP_2) | instskip(NEXT) | instid1(VALU_DEP_3)
	v_fma_f32 v15, -v11, v12, v9
	v_cmp_ge_f32_e64 s0, 0, v14
	s_delay_alu instid0(VALU_DEP_1) | instskip(NEXT) | instid1(VALU_DEP_1)
	v_dual_fma_f32 v3, v2, v4, -v3 :: v_dual_cndmask_b32 v12, v12, v13, s0
	v_add_f32_e32 v3, 0x241f9ee8, v3
	s_delay_alu instid0(VALU_DEP_4) | instskip(NEXT) | instid1(VALU_DEP_2)
	v_cmp_lt_f32_e64 s0, 0, v15
	v_fma_f32 v4, v2, v3, -v4
	s_delay_alu instid0(VALU_DEP_1) | instskip(NEXT) | instid1(VALU_DEP_1)
	v_add_f32_e32 v4, 0xa5a3005d, v4
	v_fma_f32 v3, v2, v4, -v3
	s_delay_alu instid0(VALU_DEP_1) | instskip(NEXT) | instid1(VALU_DEP_1)
	v_add_f32_e32 v3, 0xa5c5773f, v3
	;; [unrolled: 3-line block ×20, first 2 shown]
	v_fma_f32 v2, v2, v3, -v4
	v_cndmask_b32_e64 v3, v12, v11, s0
	v_cmp_ngt_f32_e64 s0, 0xc2ce8ed0, |v5|
	s_delay_alu instid0(VALU_DEP_3) | instskip(NEXT) | instid1(VALU_DEP_3)
	v_add_f32_e32 v2, 0x3f4df315, v2
	v_mul_f32_e32 v10, 0x37800000, v3
	s_delay_alu instid0(VALU_DEP_3) | instskip(SKIP_1) | instid1(VALU_DEP_3)
	v_cndmask_b32_e64 v1, 0, v1, s0
	v_cmp_nlt_f32_e64 s0, 0x42b17218, |v5|
	v_dual_sub_f32 v2, v2, v4 :: v_dual_cndmask_b32 v3, v3, v10
	v_cmp_class_f32_e64 vcc_lo, v9, 0x260
	s_delay_alu instid0(VALU_DEP_3) | instskip(NEXT) | instid1(VALU_DEP_3)
	v_cndmask_b32_e64 v1, 0x7f800000, v1, s0
	v_dual_mul_f32 v2, 0.5, v2 :: v_dual_cndmask_b32 v3, v3, v9
	s_delay_alu instid0(VALU_DEP_1) | instskip(NEXT) | instid1(VALU_DEP_1)
	v_mul_f32_e32 v1, v1, v2
	v_div_scale_f32 v2, null, v3, v3, v1
	s_delay_alu instid0(VALU_DEP_1) | instskip(SKIP_1) | instid1(TRANS32_DEP_1)
	v_rcp_f32_e32 v4, v2
	v_nop
	v_fma_f32 v5, -v2, v4, 1.0
	s_delay_alu instid0(VALU_DEP_1) | instskip(SKIP_1) | instid1(VALU_DEP_1)
	v_fmac_f32_e32 v4, v5, v4
	v_div_scale_f32 v5, vcc_lo, v1, v3, v1
	v_mul_f32_e32 v9, v5, v4
	s_delay_alu instid0(VALU_DEP_1) | instskip(NEXT) | instid1(VALU_DEP_1)
	v_fma_f32 v10, -v2, v9, v5
	v_fmac_f32_e32 v9, v10, v4
	s_delay_alu instid0(VALU_DEP_1) | instskip(NEXT) | instid1(VALU_DEP_1)
	v_fma_f32 v2, -v2, v9, v5
	v_div_fmas_f32 v2, v2, v4, v9
	s_delay_alu instid0(VALU_DEP_1)
	v_div_fixup_f32 v9, v2, v3, v1
.LBB13_19:
	s_or_b32 exec_lo, exec_lo, s1
	s_add_nc_u64 s[2:3], s[4:5], s[2:3]
	global_store_b128 v0, v[6:9], s[2:3] scale_offset
	s_branch .LBB13_2
.LBB13_20:
	s_wait_xcnt 0x0
	v_dual_mov_b32 v31, v0 :: v_dual_mov_b32 v0, s4
	v_dual_mov_b32 v1, s5 :: v_dual_mov_b32 v2, s6
	;; [unrolled: 1-line block ×3, first 2 shown]
	s_get_pc_i64 s[0:1]
	s_add_nc_u64 s[0:1], s[0:1], _ZN2at6native25elementwise_kernel_helperILb0EZZZNS0_12_GLOBAL__N_130modified_bessel_i0_kernel_cudaERNS_18TensorIteratorBaseEENKUlvE_clEvENKUlvE0_clEvEUlfE_NS0_6memory8policies11unroll_baseILi256ESt5arrayIPcLm2EE23TrivialOffsetCalculatorILi1EjESF_NS8_15LoadWithoutCastENS8_16StoreWithoutCastELi4ELi1EEEEEvT0_T1_@rel64+4
	s_delay_alu instid0(SALU_CYCLE_1)
	s_swap_pc_i64 s[30:31], s[0:1]
	s_endpgm
	.section	.rodata,"a",@progbits
	.p2align	6, 0x0
	.amdhsa_kernel _ZN2at6native29vectorized_elementwise_kernelILi4EZZZNS0_12_GLOBAL__N_130modified_bessel_i0_kernel_cudaERNS_18TensorIteratorBaseEENKUlvE_clEvENKUlvE0_clEvEUlfE_St5arrayIPcLm2EEEEviT0_T1_
		.amdhsa_group_segment_fixed_size 0
		.amdhsa_private_segment_fixed_size 0
		.amdhsa_kernarg_size 24
		.amdhsa_user_sgpr_count 2
		.amdhsa_user_sgpr_dispatch_ptr 0
		.amdhsa_user_sgpr_queue_ptr 0
		.amdhsa_user_sgpr_kernarg_segment_ptr 1
		.amdhsa_user_sgpr_dispatch_id 0
		.amdhsa_user_sgpr_kernarg_preload_length 0
		.amdhsa_user_sgpr_kernarg_preload_offset 0
		.amdhsa_user_sgpr_private_segment_size 0
		.amdhsa_wavefront_size32 1
		.amdhsa_uses_dynamic_stack 0
		.amdhsa_enable_private_segment 0
		.amdhsa_system_sgpr_workgroup_id_x 1
		.amdhsa_system_sgpr_workgroup_id_y 0
		.amdhsa_system_sgpr_workgroup_id_z 0
		.amdhsa_system_sgpr_workgroup_info 0
		.amdhsa_system_vgpr_workitem_id 0
		.amdhsa_next_free_vgpr 32
		.amdhsa_next_free_sgpr 33
		.amdhsa_named_barrier_count 0
		.amdhsa_reserve_vcc 1
		.amdhsa_float_round_mode_32 0
		.amdhsa_float_round_mode_16_64 0
		.amdhsa_float_denorm_mode_32 3
		.amdhsa_float_denorm_mode_16_64 3
		.amdhsa_fp16_overflow 0
		.amdhsa_memory_ordered 1
		.amdhsa_forward_progress 1
		.amdhsa_inst_pref_size 56
		.amdhsa_round_robin_scheduling 0
		.amdhsa_exception_fp_ieee_invalid_op 0
		.amdhsa_exception_fp_denorm_src 0
		.amdhsa_exception_fp_ieee_div_zero 0
		.amdhsa_exception_fp_ieee_overflow 0
		.amdhsa_exception_fp_ieee_underflow 0
		.amdhsa_exception_fp_ieee_inexact 0
		.amdhsa_exception_int_div_zero 0
	.end_amdhsa_kernel
	.section	.text._ZN2at6native29vectorized_elementwise_kernelILi4EZZZNS0_12_GLOBAL__N_130modified_bessel_i0_kernel_cudaERNS_18TensorIteratorBaseEENKUlvE_clEvENKUlvE0_clEvEUlfE_St5arrayIPcLm2EEEEviT0_T1_,"axG",@progbits,_ZN2at6native29vectorized_elementwise_kernelILi4EZZZNS0_12_GLOBAL__N_130modified_bessel_i0_kernel_cudaERNS_18TensorIteratorBaseEENKUlvE_clEvENKUlvE0_clEvEUlfE_St5arrayIPcLm2EEEEviT0_T1_,comdat
.Lfunc_end13:
	.size	_ZN2at6native29vectorized_elementwise_kernelILi4EZZZNS0_12_GLOBAL__N_130modified_bessel_i0_kernel_cudaERNS_18TensorIteratorBaseEENKUlvE_clEvENKUlvE0_clEvEUlfE_St5arrayIPcLm2EEEEviT0_T1_, .Lfunc_end13-_ZN2at6native29vectorized_elementwise_kernelILi4EZZZNS0_12_GLOBAL__N_130modified_bessel_i0_kernel_cudaERNS_18TensorIteratorBaseEENKUlvE_clEvENKUlvE0_clEvEUlfE_St5arrayIPcLm2EEEEviT0_T1_
                                        ; -- End function
	.set _ZN2at6native29vectorized_elementwise_kernelILi4EZZZNS0_12_GLOBAL__N_130modified_bessel_i0_kernel_cudaERNS_18TensorIteratorBaseEENKUlvE_clEvENKUlvE0_clEvEUlfE_St5arrayIPcLm2EEEEviT0_T1_.num_vgpr, max(32, .L_ZN2at6native25elementwise_kernel_helperILb0EZZZNS0_12_GLOBAL__N_130modified_bessel_i0_kernel_cudaERNS_18TensorIteratorBaseEENKUlvE_clEvENKUlvE0_clEvEUlfE_NS0_6memory8policies11unroll_baseILi256ESt5arrayIPcLm2EE23TrivialOffsetCalculatorILi1EjESF_NS8_15LoadWithoutCastENS8_16StoreWithoutCastELi4ELi1EEEEEvT0_T1_.num_vgpr)
	.set _ZN2at6native29vectorized_elementwise_kernelILi4EZZZNS0_12_GLOBAL__N_130modified_bessel_i0_kernel_cudaERNS_18TensorIteratorBaseEENKUlvE_clEvENKUlvE0_clEvEUlfE_St5arrayIPcLm2EEEEviT0_T1_.num_agpr, max(0, .L_ZN2at6native25elementwise_kernel_helperILb0EZZZNS0_12_GLOBAL__N_130modified_bessel_i0_kernel_cudaERNS_18TensorIteratorBaseEENKUlvE_clEvENKUlvE0_clEvEUlfE_NS0_6memory8policies11unroll_baseILi256ESt5arrayIPcLm2EE23TrivialOffsetCalculatorILi1EjESF_NS8_15LoadWithoutCastENS8_16StoreWithoutCastELi4ELi1EEEEEvT0_T1_.num_agpr)
	.set _ZN2at6native29vectorized_elementwise_kernelILi4EZZZNS0_12_GLOBAL__N_130modified_bessel_i0_kernel_cudaERNS_18TensorIteratorBaseEENKUlvE_clEvENKUlvE0_clEvEUlfE_St5arrayIPcLm2EEEEviT0_T1_.numbered_sgpr, max(33, .L_ZN2at6native25elementwise_kernel_helperILb0EZZZNS0_12_GLOBAL__N_130modified_bessel_i0_kernel_cudaERNS_18TensorIteratorBaseEENKUlvE_clEvENKUlvE0_clEvEUlfE_NS0_6memory8policies11unroll_baseILi256ESt5arrayIPcLm2EE23TrivialOffsetCalculatorILi1EjESF_NS8_15LoadWithoutCastENS8_16StoreWithoutCastELi4ELi1EEEEEvT0_T1_.numbered_sgpr)
	.set _ZN2at6native29vectorized_elementwise_kernelILi4EZZZNS0_12_GLOBAL__N_130modified_bessel_i0_kernel_cudaERNS_18TensorIteratorBaseEENKUlvE_clEvENKUlvE0_clEvEUlfE_St5arrayIPcLm2EEEEviT0_T1_.num_named_barrier, max(0, .L_ZN2at6native25elementwise_kernel_helperILb0EZZZNS0_12_GLOBAL__N_130modified_bessel_i0_kernel_cudaERNS_18TensorIteratorBaseEENKUlvE_clEvENKUlvE0_clEvEUlfE_NS0_6memory8policies11unroll_baseILi256ESt5arrayIPcLm2EE23TrivialOffsetCalculatorILi1EjESF_NS8_15LoadWithoutCastENS8_16StoreWithoutCastELi4ELi1EEEEEvT0_T1_.num_named_barrier)
	.set _ZN2at6native29vectorized_elementwise_kernelILi4EZZZNS0_12_GLOBAL__N_130modified_bessel_i0_kernel_cudaERNS_18TensorIteratorBaseEENKUlvE_clEvENKUlvE0_clEvEUlfE_St5arrayIPcLm2EEEEviT0_T1_.private_seg_size, 0+max(.L_ZN2at6native25elementwise_kernel_helperILb0EZZZNS0_12_GLOBAL__N_130modified_bessel_i0_kernel_cudaERNS_18TensorIteratorBaseEENKUlvE_clEvENKUlvE0_clEvEUlfE_NS0_6memory8policies11unroll_baseILi256ESt5arrayIPcLm2EE23TrivialOffsetCalculatorILi1EjESF_NS8_15LoadWithoutCastENS8_16StoreWithoutCastELi4ELi1EEEEEvT0_T1_.private_seg_size)
	.set _ZN2at6native29vectorized_elementwise_kernelILi4EZZZNS0_12_GLOBAL__N_130modified_bessel_i0_kernel_cudaERNS_18TensorIteratorBaseEENKUlvE_clEvENKUlvE0_clEvEUlfE_St5arrayIPcLm2EEEEviT0_T1_.uses_vcc, or(1, .L_ZN2at6native25elementwise_kernel_helperILb0EZZZNS0_12_GLOBAL__N_130modified_bessel_i0_kernel_cudaERNS_18TensorIteratorBaseEENKUlvE_clEvENKUlvE0_clEvEUlfE_NS0_6memory8policies11unroll_baseILi256ESt5arrayIPcLm2EE23TrivialOffsetCalculatorILi1EjESF_NS8_15LoadWithoutCastENS8_16StoreWithoutCastELi4ELi1EEEEEvT0_T1_.uses_vcc)
	.set _ZN2at6native29vectorized_elementwise_kernelILi4EZZZNS0_12_GLOBAL__N_130modified_bessel_i0_kernel_cudaERNS_18TensorIteratorBaseEENKUlvE_clEvENKUlvE0_clEvEUlfE_St5arrayIPcLm2EEEEviT0_T1_.uses_flat_scratch, or(0, .L_ZN2at6native25elementwise_kernel_helperILb0EZZZNS0_12_GLOBAL__N_130modified_bessel_i0_kernel_cudaERNS_18TensorIteratorBaseEENKUlvE_clEvENKUlvE0_clEvEUlfE_NS0_6memory8policies11unroll_baseILi256ESt5arrayIPcLm2EE23TrivialOffsetCalculatorILi1EjESF_NS8_15LoadWithoutCastENS8_16StoreWithoutCastELi4ELi1EEEEEvT0_T1_.uses_flat_scratch)
	.set _ZN2at6native29vectorized_elementwise_kernelILi4EZZZNS0_12_GLOBAL__N_130modified_bessel_i0_kernel_cudaERNS_18TensorIteratorBaseEENKUlvE_clEvENKUlvE0_clEvEUlfE_St5arrayIPcLm2EEEEviT0_T1_.has_dyn_sized_stack, or(0, .L_ZN2at6native25elementwise_kernel_helperILb0EZZZNS0_12_GLOBAL__N_130modified_bessel_i0_kernel_cudaERNS_18TensorIteratorBaseEENKUlvE_clEvENKUlvE0_clEvEUlfE_NS0_6memory8policies11unroll_baseILi256ESt5arrayIPcLm2EE23TrivialOffsetCalculatorILi1EjESF_NS8_15LoadWithoutCastENS8_16StoreWithoutCastELi4ELi1EEEEEvT0_T1_.has_dyn_sized_stack)
	.set _ZN2at6native29vectorized_elementwise_kernelILi4EZZZNS0_12_GLOBAL__N_130modified_bessel_i0_kernel_cudaERNS_18TensorIteratorBaseEENKUlvE_clEvENKUlvE0_clEvEUlfE_St5arrayIPcLm2EEEEviT0_T1_.has_recursion, or(0, .L_ZN2at6native25elementwise_kernel_helperILb0EZZZNS0_12_GLOBAL__N_130modified_bessel_i0_kernel_cudaERNS_18TensorIteratorBaseEENKUlvE_clEvENKUlvE0_clEvEUlfE_NS0_6memory8policies11unroll_baseILi256ESt5arrayIPcLm2EE23TrivialOffsetCalculatorILi1EjESF_NS8_15LoadWithoutCastENS8_16StoreWithoutCastELi4ELi1EEEEEvT0_T1_.has_recursion)
	.set _ZN2at6native29vectorized_elementwise_kernelILi4EZZZNS0_12_GLOBAL__N_130modified_bessel_i0_kernel_cudaERNS_18TensorIteratorBaseEENKUlvE_clEvENKUlvE0_clEvEUlfE_St5arrayIPcLm2EEEEviT0_T1_.has_indirect_call, or(0, .L_ZN2at6native25elementwise_kernel_helperILb0EZZZNS0_12_GLOBAL__N_130modified_bessel_i0_kernel_cudaERNS_18TensorIteratorBaseEENKUlvE_clEvENKUlvE0_clEvEUlfE_NS0_6memory8policies11unroll_baseILi256ESt5arrayIPcLm2EE23TrivialOffsetCalculatorILi1EjESF_NS8_15LoadWithoutCastENS8_16StoreWithoutCastELi4ELi1EEEEEvT0_T1_.has_indirect_call)
	.section	.AMDGPU.csdata,"",@progbits
; Kernel info:
; codeLenInByte = 7076
; TotalNumSgprs: 35
; NumVgprs: 32
; ScratchSize: 0
; MemoryBound: 0
; FloatMode: 240
; IeeeMode: 1
; LDSByteSize: 0 bytes/workgroup (compile time only)
; SGPRBlocks: 0
; VGPRBlocks: 1
; NumSGPRsForWavesPerEU: 35
; NumVGPRsForWavesPerEU: 32
; NamedBarCnt: 0
; Occupancy: 16
; WaveLimiterHint : 0
; COMPUTE_PGM_RSRC2:SCRATCH_EN: 0
; COMPUTE_PGM_RSRC2:USER_SGPR: 2
; COMPUTE_PGM_RSRC2:TRAP_HANDLER: 0
; COMPUTE_PGM_RSRC2:TGID_X_EN: 1
; COMPUTE_PGM_RSRC2:TGID_Y_EN: 0
; COMPUTE_PGM_RSRC2:TGID_Z_EN: 0
; COMPUTE_PGM_RSRC2:TIDIG_COMP_CNT: 0
	.section	.text._ZN2at6native29vectorized_elementwise_kernelILi2EZZZNS0_12_GLOBAL__N_130modified_bessel_i0_kernel_cudaERNS_18TensorIteratorBaseEENKUlvE_clEvENKUlvE0_clEvEUlfE_St5arrayIPcLm2EEEEviT0_T1_,"axG",@progbits,_ZN2at6native29vectorized_elementwise_kernelILi2EZZZNS0_12_GLOBAL__N_130modified_bessel_i0_kernel_cudaERNS_18TensorIteratorBaseEENKUlvE_clEvENKUlvE0_clEvEUlfE_St5arrayIPcLm2EEEEviT0_T1_,comdat
	.globl	_ZN2at6native29vectorized_elementwise_kernelILi2EZZZNS0_12_GLOBAL__N_130modified_bessel_i0_kernel_cudaERNS_18TensorIteratorBaseEENKUlvE_clEvENKUlvE0_clEvEUlfE_St5arrayIPcLm2EEEEviT0_T1_ ; -- Begin function _ZN2at6native29vectorized_elementwise_kernelILi2EZZZNS0_12_GLOBAL__N_130modified_bessel_i0_kernel_cudaERNS_18TensorIteratorBaseEENKUlvE_clEvENKUlvE0_clEvEUlfE_St5arrayIPcLm2EEEEviT0_T1_
	.p2align	8
	.type	_ZN2at6native29vectorized_elementwise_kernelILi2EZZZNS0_12_GLOBAL__N_130modified_bessel_i0_kernel_cudaERNS_18TensorIteratorBaseEENKUlvE_clEvENKUlvE0_clEvEUlfE_St5arrayIPcLm2EEEEviT0_T1_,@function
_ZN2at6native29vectorized_elementwise_kernelILi2EZZZNS0_12_GLOBAL__N_130modified_bessel_i0_kernel_cudaERNS_18TensorIteratorBaseEENKUlvE_clEvENKUlvE0_clEvEUlfE_St5arrayIPcLm2EEEEviT0_T1_: ; @_ZN2at6native29vectorized_elementwise_kernelILi2EZZZNS0_12_GLOBAL__N_130modified_bessel_i0_kernel_cudaERNS_18TensorIteratorBaseEENKUlvE_clEvENKUlvE0_clEvEUlfE_St5arrayIPcLm2EEEEviT0_T1_
; %bb.0:
	s_clause 0x1
	s_load_b32 s2, s[0:1], 0x0
	s_load_b128 s[4:7], s[0:1], 0x8
	s_wait_xcnt 0x0
	s_bfe_u32 s0, ttmp6, 0x4000c
	s_and_b32 s1, ttmp6, 15
	s_add_co_i32 s0, s0, 1
	s_getreg_b32 s3, hwreg(HW_REG_IB_STS2, 6, 4)
	s_mul_i32 s0, ttmp9, s0
	s_mov_b32 s32, 0
	s_add_co_i32 s1, s1, s0
	s_cmp_eq_u32 s3, 0
	s_cselect_b32 s0, ttmp9, s1
	s_mov_b32 s1, -1
	s_lshl_b32 s0, s0, 10
	s_wait_kmcnt 0x0
	s_sub_co_i32 s8, s2, s0
	s_delay_alu instid0(SALU_CYCLE_1)
	s_cmp_gt_i32 s8, 0x3ff
	s_cbranch_scc1 .LBB14_3
; %bb.1:
	s_and_b32 vcc_lo, exec_lo, s1
	s_cbranch_vccnz .LBB14_20
.LBB14_2:
	s_sendmsg sendmsg(MSG_DEALLOC_VGPRS)
	s_endpgm
.LBB14_3:
	s_ashr_i32 s1, s0, 31
                                        ; implicit-def: $vgpr4
	s_delay_alu instid0(SALU_CYCLE_1) | instskip(NEXT) | instid1(SALU_CYCLE_1)
	s_lshl_b64 s[2:3], s[0:1], 2
	s_add_nc_u64 s[0:1], s[6:7], s[2:3]
	s_clause 0x1
	global_load_b64 v[6:7], v0, s[0:1] scale_offset
	global_load_b64 v[2:3], v0, s[0:1] offset:2048 scale_offset
	s_wait_loadcnt 0x1
	s_wait_xcnt 0x0
	v_cmp_ge_f32_e64 s0, 0x41000000, |v6|
	v_mul_f32_e64 v1, 0x3fb8aa3b, |v6|
	s_and_saveexec_b32 s1, s0
	s_delay_alu instid0(SALU_CYCLE_1)
	s_xor_b32 s0, exec_lo, s1
	s_cbranch_execz .LBB14_5
; %bb.4:
	v_fma_f32 v4, |v6|, 0.5, -2.0
	v_rndne_f32_e32 v9, v1
	v_fma_f32 v10, 0x3fb8aa3b, |v6|, -v1
	s_mov_b32 s1, 0xa2a2e5b9
	v_cmp_ngt_f32_e64 vcc_lo, 0xc2ce8ed0, |v6|
	v_fmaak_f32 v5, s1, v4, 0x24199b15
	v_sub_f32_e32 v1, v1, v9
	v_fma_f32 v10, 0x32a5705f, |v6|, v10
	v_cvt_i32_f32_e32 v9, v9
	s_delay_alu instid0(VALU_DEP_2) | instskip(NEXT) | instid1(VALU_DEP_1)
	v_dual_fmaak_f32 v8, v4, v5, 0x22a2e5b9 :: v_dual_add_f32 v1, v1, v10
	v_exp_f32_e32 v1, v1
	v_nop
	s_delay_alu instid0(TRANS32_DEP_1) | instskip(NEXT) | instid1(VALU_DEP_1)
	v_ldexp_f32 v1, v1, v9
	v_dual_add_f32 v8, 0xa58c275c, v8 :: v_dual_cndmask_b32 v1, 0, v1
	s_delay_alu instid0(VALU_DEP_1) | instskip(SKIP_1) | instid1(VALU_DEP_3)
	v_fma_f32 v5, v4, v8, -v5
	v_cmp_nlt_f32_e64 vcc_lo, 0x42b17218, |v6|
	v_cndmask_b32_e32 v1, 0x7f800000, v1, vcc_lo
	s_delay_alu instid0(VALU_DEP_3) | instskip(NEXT) | instid1(VALU_DEP_1)
	v_add_f32_e32 v5, 0x26f736c5, v5
	v_fma_f32 v8, v4, v5, -v8
	s_delay_alu instid0(VALU_DEP_1) | instskip(NEXT) | instid1(VALU_DEP_1)
	v_add_f32_e32 v8, 0xa8528116, v8
	v_fma_f32 v5, v4, v8, -v5
	s_delay_alu instid0(VALU_DEP_1) | instskip(NEXT) | instid1(VALU_DEP_1)
	;; [unrolled: 3-line block ×26, first 2 shown]
	v_add_f32_e32 v4, 0x3f2d4275, v4
	v_sub_f32_e32 v4, v4, v5
	s_delay_alu instid0(VALU_DEP_1) | instskip(NEXT) | instid1(VALU_DEP_1)
	v_mul_f32_e32 v4, 0.5, v4
	v_mul_f32_e32 v4, v1, v4
                                        ; implicit-def: $vgpr1
.LBB14_5:
	s_and_not1_saveexec_b32 s1, s0
	s_cbranch_execz .LBB14_7
; %bb.6:
	v_and_b32_e32 v4, 0x7fffffff, v6
	s_mov_b32 s0, 0xa3056dbb
	v_fma_f32 v11, 0x3fb8aa3b, |v6|, -v1
	s_delay_alu instid0(VALU_DEP_2) | instskip(SKIP_1) | instid1(VALU_DEP_3)
	v_div_scale_f32 v5, null, v4, v4, 0x42000000
	v_div_scale_f32 v4, vcc_lo, 0x42000000, v4, 0x42000000
	v_fma_f32 v11, 0x32a5705f, |v6|, v11
	s_delay_alu instid0(VALU_DEP_3) | instskip(SKIP_1) | instid1(TRANS32_DEP_1)
	v_rcp_f32_e32 v8, v5
	v_nop
	v_fma_f32 v9, -v5, v8, 1.0
	s_delay_alu instid0(VALU_DEP_1) | instskip(NEXT) | instid1(VALU_DEP_1)
	v_fmac_f32_e32 v8, v9, v8
	v_mul_f32_e32 v9, v4, v8
	s_delay_alu instid0(VALU_DEP_1) | instskip(NEXT) | instid1(VALU_DEP_1)
	v_fma_f32 v10, -v5, v9, v4
	v_fmac_f32_e32 v9, v10, v8
	v_rndne_f32_e32 v10, v1
	s_delay_alu instid0(VALU_DEP_2) | instskip(NEXT) | instid1(VALU_DEP_2)
	v_fma_f32 v4, -v5, v9, v4
	v_sub_f32_e32 v1, v1, v10
	v_cvt_i32_f32_e32 v10, v10
	s_delay_alu instid0(VALU_DEP_3) | instskip(SKIP_3) | instid1(VALU_DEP_4)
	v_div_fmas_f32 v4, v4, v8, v9
	v_mul_f32_e64 v9, 0x4f800000, |v6|
	v_cmp_gt_f32_e64 vcc_lo, 0xf800000, |v6|
	v_add_f32_e32 v1, v1, v11
	v_div_fixup_f32 v4, v4, |v6|, 0x42000000
	s_delay_alu instid0(VALU_DEP_3) | instskip(NEXT) | instid1(VALU_DEP_3)
	v_cndmask_b32_e64 v9, |v6|, v9, vcc_lo
	v_exp_f32_e32 v1, v1
	s_delay_alu instid0(VALU_DEP_2) | instskip(NEXT) | instid1(VALU_DEP_2)
	v_add_f32_e32 v4, -2.0, v4
	v_sqrt_f32_e32 v12, v9
	s_delay_alu instid0(VALU_DEP_1) | instskip(NEXT) | instid1(TRANS32_DEP_2)
	v_fmaak_f32 v5, s0, v4, 0xa2b236d3
	v_ldexp_f32 v1, v1, v10
	s_delay_alu instid0(TRANS32_DEP_1) | instid1(VALU_DEP_2)
	v_dual_fmaak_f32 v8, v4, v5, 0x23056dbb :: v_dual_add_nc_u32 v13, -1, v12
	s_delay_alu instid0(VALU_DEP_1) | instskip(NEXT) | instid1(VALU_DEP_2)
	v_dual_add_nc_u32 v11, 1, v12 :: v_dual_fma_f32 v14, -v13, v12, v9
	v_add_f32_e32 v8, 0x244df0c1, v8
	s_delay_alu instid0(VALU_DEP_2) | instskip(NEXT) | instid1(VALU_DEP_3)
	v_fma_f32 v15, -v11, v12, v9
	v_cmp_ge_f32_e64 s0, 0, v14
	s_delay_alu instid0(VALU_DEP_3) | instskip(NEXT) | instid1(VALU_DEP_2)
	v_fma_f32 v5, v4, v8, -v5
	v_cndmask_b32_e64 v12, v12, v13, s0
	s_delay_alu instid0(VALU_DEP_2) | instskip(SKIP_1) | instid1(VALU_DEP_2)
	v_add_f32_e32 v5, 0x241f9ee8, v5
	v_cmp_lt_f32_e64 s0, 0, v15
	v_fma_f32 v8, v4, v5, -v8
	s_delay_alu instid0(VALU_DEP_1) | instskip(NEXT) | instid1(VALU_DEP_1)
	v_add_f32_e32 v8, 0xa5a3005d, v8
	v_fma_f32 v5, v4, v8, -v5
	s_delay_alu instid0(VALU_DEP_1) | instskip(NEXT) | instid1(VALU_DEP_1)
	v_add_f32_e32 v5, 0xa5c5773f, v5
	;; [unrolled: 3-line block ×20, first 2 shown]
	v_fma_f32 v4, v4, v5, -v8
	v_cndmask_b32_e64 v5, v12, v11, s0
	v_cmp_ngt_f32_e64 s0, 0xc2ce8ed0, |v6|
	s_delay_alu instid0(VALU_DEP_3) | instskip(NEXT) | instid1(VALU_DEP_3)
	v_add_f32_e32 v4, 0x3f4df315, v4
	v_mul_f32_e32 v10, 0x37800000, v5
	s_delay_alu instid0(VALU_DEP_3) | instskip(SKIP_1) | instid1(VALU_DEP_3)
	v_cndmask_b32_e64 v1, 0, v1, s0
	v_cmp_nlt_f32_e64 s0, 0x42b17218, |v6|
	v_dual_sub_f32 v4, v4, v8 :: v_dual_cndmask_b32 v5, v5, v10
	v_cmp_class_f32_e64 vcc_lo, v9, 0x260
	s_delay_alu instid0(VALU_DEP_3) | instskip(NEXT) | instid1(VALU_DEP_3)
	v_cndmask_b32_e64 v1, 0x7f800000, v1, s0
	v_dual_mul_f32 v4, 0.5, v4 :: v_dual_cndmask_b32 v5, v5, v9
	s_delay_alu instid0(VALU_DEP_1) | instskip(NEXT) | instid1(VALU_DEP_1)
	v_mul_f32_e32 v1, v1, v4
	v_div_scale_f32 v4, null, v5, v5, v1
	s_delay_alu instid0(VALU_DEP_1) | instskip(SKIP_1) | instid1(TRANS32_DEP_1)
	v_rcp_f32_e32 v6, v4
	v_nop
	v_fma_f32 v8, -v4, v6, 1.0
	s_delay_alu instid0(VALU_DEP_1) | instskip(SKIP_1) | instid1(VALU_DEP_1)
	v_fmac_f32_e32 v6, v8, v6
	v_div_scale_f32 v8, vcc_lo, v1, v5, v1
	v_mul_f32_e32 v9, v8, v6
	s_delay_alu instid0(VALU_DEP_1) | instskip(NEXT) | instid1(VALU_DEP_1)
	v_fma_f32 v10, -v4, v9, v8
	v_fmac_f32_e32 v9, v10, v6
	s_delay_alu instid0(VALU_DEP_1) | instskip(NEXT) | instid1(VALU_DEP_1)
	v_fma_f32 v4, -v4, v9, v8
	v_div_fmas_f32 v4, v4, v6, v9
	s_delay_alu instid0(VALU_DEP_1)
	v_div_fixup_f32 v4, v4, v5, v1
.LBB14_7:
	s_or_b32 exec_lo, exec_lo, s1
	v_cmp_ge_f32_e64 s0, 0x41000000, |v7|
	v_mul_f32_e64 v1, 0x3fb8aa3b, |v7|
	s_and_saveexec_b32 s1, s0
	s_delay_alu instid0(SALU_CYCLE_1)
	s_xor_b32 s0, exec_lo, s1
	s_cbranch_execz .LBB14_9
; %bb.8:
	s_delay_alu instid0(VALU_DEP_1)
	v_rndne_f32_e32 v9, v1
	v_fma_f32 v10, 0x3fb8aa3b, |v7|, -v1
	v_fma_f32 v5, |v7|, 0.5, -2.0
	s_mov_b32 s1, 0xa2a2e5b9
	v_cmp_ngt_f32_e64 vcc_lo, 0xc2ce8ed0, |v7|
	v_sub_f32_e32 v1, v1, v9
	v_fma_f32 v10, 0x32a5705f, |v7|, v10
	v_fmaak_f32 v6, s1, v5, 0x24199b15
	v_cvt_i32_f32_e32 v9, v9
	s_delay_alu instid0(VALU_DEP_3) | instskip(NEXT) | instid1(VALU_DEP_1)
	v_add_f32_e32 v1, v1, v10
	v_exp_f32_e32 v1, v1
	v_nop
	s_delay_alu instid0(TRANS32_DEP_1) | instskip(NEXT) | instid1(VALU_DEP_1)
	v_ldexp_f32 v1, v1, v9
	v_dual_fmaak_f32 v8, v5, v6, 0x22a2e5b9 :: v_dual_cndmask_b32 v1, 0, v1
	s_delay_alu instid0(VALU_DEP_1) | instskip(SKIP_1) | instid1(VALU_DEP_2)
	v_add_f32_e32 v8, 0xa58c275c, v8
	v_cmp_nlt_f32_e64 vcc_lo, 0x42b17218, |v7|
	v_fma_f32 v6, v5, v8, -v6
	s_delay_alu instid0(VALU_DEP_4) | instskip(NEXT) | instid1(VALU_DEP_2)
	v_cndmask_b32_e32 v1, 0x7f800000, v1, vcc_lo
	v_add_f32_e32 v6, 0x26f736c5, v6
	s_delay_alu instid0(VALU_DEP_1) | instskip(NEXT) | instid1(VALU_DEP_1)
	v_fma_f32 v8, v5, v6, -v8
	v_add_f32_e32 v8, 0xa8528116, v8
	s_delay_alu instid0(VALU_DEP_1) | instskip(NEXT) | instid1(VALU_DEP_1)
	v_fma_f32 v6, v5, v8, -v6
	;; [unrolled: 3-line block ×26, first 2 shown]
	v_add_f32_e32 v5, 0x3f2d4275, v5
	s_delay_alu instid0(VALU_DEP_1) | instskip(NEXT) | instid1(VALU_DEP_1)
	v_sub_f32_e32 v5, v5, v6
                                        ; implicit-def: $vgpr6_vgpr7
	v_mul_f32_e32 v5, 0.5, v5
	s_delay_alu instid0(VALU_DEP_1)
	v_mul_f32_e32 v5, v1, v5
                                        ; implicit-def: $vgpr1
.LBB14_9:
	s_and_not1_saveexec_b32 s1, s0
	s_cbranch_execz .LBB14_11
; %bb.10:
	v_and_b32_e32 v5, 0x7fffffff, v7
	s_mov_b32 s0, 0xa3056dbb
	v_fma_f32 v11, 0x3fb8aa3b, |v7|, -v1
	s_delay_alu instid0(VALU_DEP_2) | instskip(SKIP_1) | instid1(VALU_DEP_3)
	v_div_scale_f32 v6, null, v5, v5, 0x42000000
	v_div_scale_f32 v5, vcc_lo, 0x42000000, v5, 0x42000000
	v_fma_f32 v11, 0x32a5705f, |v7|, v11
	s_delay_alu instid0(VALU_DEP_3) | instskip(SKIP_1) | instid1(TRANS32_DEP_1)
	v_rcp_f32_e32 v8, v6
	v_nop
	v_fma_f32 v9, -v6, v8, 1.0
	s_delay_alu instid0(VALU_DEP_1) | instskip(NEXT) | instid1(VALU_DEP_1)
	v_fmac_f32_e32 v8, v9, v8
	v_mul_f32_e32 v9, v5, v8
	s_delay_alu instid0(VALU_DEP_1) | instskip(NEXT) | instid1(VALU_DEP_1)
	v_fma_f32 v10, -v6, v9, v5
	v_fmac_f32_e32 v9, v10, v8
	v_rndne_f32_e32 v10, v1
	s_delay_alu instid0(VALU_DEP_1) | instskip(SKIP_1) | instid1(VALU_DEP_2)
	v_dual_fma_f32 v5, -v6, v9, v5 :: v_dual_sub_f32 v1, v1, v10
	v_cvt_i32_f32_e32 v10, v10
	v_div_fmas_f32 v5, v5, v8, v9
	v_mul_f32_e64 v9, 0x4f800000, |v7|
	v_cmp_gt_f32_e64 vcc_lo, 0xf800000, |v7|
	v_add_f32_e32 v1, v1, v11
	s_delay_alu instid0(VALU_DEP_4) | instskip(NEXT) | instid1(VALU_DEP_3)
	v_div_fixup_f32 v5, v5, |v7|, 0x42000000
	v_cndmask_b32_e64 v9, |v7|, v9, vcc_lo
	s_delay_alu instid0(VALU_DEP_3) | instskip(NEXT) | instid1(VALU_DEP_2)
	v_exp_f32_e32 v1, v1
	v_add_f32_e32 v5, -2.0, v5
	s_delay_alu instid0(VALU_DEP_2) | instskip(NEXT) | instid1(VALU_DEP_1)
	v_sqrt_f32_e32 v12, v9
	v_fmaak_f32 v6, s0, v5, 0xa2b236d3
	s_delay_alu instid0(TRANS32_DEP_2)
	v_ldexp_f32 v1, v1, v10
	s_delay_alu instid0(TRANS32_DEP_1) | instid1(VALU_DEP_2)
	v_dual_fmaak_f32 v8, v5, v6, 0x23056dbb :: v_dual_add_nc_u32 v13, -1, v12
	s_delay_alu instid0(VALU_DEP_1) | instskip(NEXT) | instid1(VALU_DEP_2)
	v_dual_add_nc_u32 v11, 1, v12 :: v_dual_fma_f32 v14, -v13, v12, v9
	v_add_f32_e32 v8, 0x244df0c1, v8
	s_delay_alu instid0(VALU_DEP_2) | instskip(NEXT) | instid1(VALU_DEP_3)
	v_fma_f32 v15, -v11, v12, v9
	v_cmp_ge_f32_e64 s0, 0, v14
	s_delay_alu instid0(VALU_DEP_1) | instskip(NEXT) | instid1(VALU_DEP_1)
	v_dual_fma_f32 v6, v5, v8, -v6 :: v_dual_cndmask_b32 v12, v12, v13, s0
	v_add_f32_e32 v6, 0x241f9ee8, v6
	s_delay_alu instid0(VALU_DEP_4) | instskip(NEXT) | instid1(VALU_DEP_2)
	v_cmp_lt_f32_e64 s0, 0, v15
	v_fma_f32 v8, v5, v6, -v8
	s_delay_alu instid0(VALU_DEP_1) | instskip(NEXT) | instid1(VALU_DEP_1)
	v_add_f32_e32 v8, 0xa5a3005d, v8
	v_fma_f32 v6, v5, v8, -v6
	s_delay_alu instid0(VALU_DEP_1) | instskip(NEXT) | instid1(VALU_DEP_1)
	v_add_f32_e32 v6, 0xa5c5773f, v6
	;; [unrolled: 3-line block ×20, first 2 shown]
	v_dual_fma_f32 v5, v5, v6, -v8 :: v_dual_cndmask_b32 v6, v12, v11, s0
	v_cmp_ngt_f32_e64 s0, 0xc2ce8ed0, |v7|
	s_delay_alu instid0(VALU_DEP_2) | instskip(NEXT) | instid1(VALU_DEP_3)
	v_mul_f32_e32 v10, 0x37800000, v6
	v_add_f32_e32 v5, 0x3f4df315, v5
	s_delay_alu instid0(VALU_DEP_3) | instskip(SKIP_1) | instid1(VALU_DEP_3)
	v_cndmask_b32_e64 v1, 0, v1, s0
	v_cmp_nlt_f32_e64 s0, 0x42b17218, |v7|
	v_dual_cndmask_b32 v6, v6, v10 :: v_dual_sub_f32 v5, v5, v8
	v_cmp_class_f32_e64 vcc_lo, v9, 0x260
	s_delay_alu instid0(VALU_DEP_3) | instskip(NEXT) | instid1(VALU_DEP_3)
	v_cndmask_b32_e64 v1, 0x7f800000, v1, s0
	v_mul_f32_e32 v5, 0.5, v5
	s_delay_alu instid0(VALU_DEP_4) | instskip(NEXT) | instid1(VALU_DEP_2)
	v_cndmask_b32_e32 v6, v6, v9, vcc_lo
	v_mul_f32_e32 v1, v1, v5
	s_delay_alu instid0(VALU_DEP_1) | instskip(NEXT) | instid1(VALU_DEP_1)
	v_div_scale_f32 v5, null, v6, v6, v1
	v_rcp_f32_e32 v7, v5
	v_nop
	s_delay_alu instid0(TRANS32_DEP_1) | instskip(NEXT) | instid1(VALU_DEP_1)
	v_fma_f32 v8, -v5, v7, 1.0
	v_fmac_f32_e32 v7, v8, v7
	v_div_scale_f32 v8, vcc_lo, v1, v6, v1
	s_delay_alu instid0(VALU_DEP_1) | instskip(NEXT) | instid1(VALU_DEP_1)
	v_mul_f32_e32 v9, v8, v7
	v_fma_f32 v10, -v5, v9, v8
	s_delay_alu instid0(VALU_DEP_1) | instskip(NEXT) | instid1(VALU_DEP_1)
	v_fmac_f32_e32 v9, v10, v7
	v_fma_f32 v5, -v5, v9, v8
	s_delay_alu instid0(VALU_DEP_1) | instskip(NEXT) | instid1(VALU_DEP_1)
	v_div_fmas_f32 v5, v5, v7, v9
	v_div_fixup_f32 v5, v5, v6, v1
.LBB14_11:
	s_or_b32 exec_lo, exec_lo, s1
	s_wait_loadcnt 0x0
	v_cmp_ge_f32_e64 s0, 0x41000000, |v2|
	v_mul_f32_e64 v1, 0x3fb8aa3b, |v2|
                                        ; implicit-def: $vgpr6
	s_and_saveexec_b32 s1, s0
	s_delay_alu instid0(SALU_CYCLE_1)
	s_xor_b32 s0, exec_lo, s1
	s_cbranch_execz .LBB14_13
; %bb.12:
	v_fma_f32 v6, |v2|, 0.5, -2.0
	s_mov_b32 s1, 0xa2a2e5b9
	v_rndne_f32_e32 v9, v1
	v_fma_f32 v10, 0x3fb8aa3b, |v2|, -v1
	v_cmp_ngt_f32_e64 vcc_lo, 0xc2ce8ed0, |v2|
	v_fmaak_f32 v7, s1, v6, 0x24199b15
	s_delay_alu instid0(VALU_DEP_4) | instskip(NEXT) | instid1(VALU_DEP_4)
	v_sub_f32_e32 v1, v1, v9
	v_fma_f32 v10, 0x32a5705f, |v2|, v10
	v_cvt_i32_f32_e32 v9, v9
	s_delay_alu instid0(VALU_DEP_2) | instskip(NEXT) | instid1(VALU_DEP_1)
	v_dual_fmaak_f32 v8, v6, v7, 0x22a2e5b9 :: v_dual_add_f32 v1, v1, v10
	v_add_f32_e32 v8, 0xa58c275c, v8
	s_delay_alu instid0(VALU_DEP_2) | instskip(SKIP_1) | instid1(TRANS32_DEP_1)
	v_exp_f32_e32 v1, v1
	v_nop
	v_ldexp_f32 v1, v1, v9
	s_delay_alu instid0(VALU_DEP_1) | instskip(SKIP_1) | instid1(VALU_DEP_2)
	v_dual_fma_f32 v7, v6, v8, -v7 :: v_dual_cndmask_b32 v1, 0, v1, vcc_lo
	v_cmp_nlt_f32_e64 vcc_lo, 0x42b17218, |v2|
	v_cndmask_b32_e32 v1, 0x7f800000, v1, vcc_lo
	s_delay_alu instid0(VALU_DEP_3) | instskip(NEXT) | instid1(VALU_DEP_1)
	v_add_f32_e32 v7, 0x26f736c5, v7
	v_fma_f32 v8, v6, v7, -v8
	s_delay_alu instid0(VALU_DEP_1) | instskip(NEXT) | instid1(VALU_DEP_1)
	v_add_f32_e32 v8, 0xa8528116, v8
	v_fma_f32 v7, v6, v8, -v7
	s_delay_alu instid0(VALU_DEP_1) | instskip(NEXT) | instid1(VALU_DEP_1)
	;; [unrolled: 3-line block ×26, first 2 shown]
	v_add_f32_e32 v6, 0x3f2d4275, v6
	v_sub_f32_e32 v6, v6, v7
	s_delay_alu instid0(VALU_DEP_1) | instskip(NEXT) | instid1(VALU_DEP_1)
	v_mul_f32_e32 v6, 0.5, v6
	v_mul_f32_e32 v6, v1, v6
                                        ; implicit-def: $vgpr1
.LBB14_13:
	s_and_not1_saveexec_b32 s1, s0
	s_cbranch_execz .LBB14_15
; %bb.14:
	v_and_b32_e32 v6, 0x7fffffff, v2
	v_fma_f32 v11, 0x3fb8aa3b, |v2|, -v1
	s_mov_b32 s0, 0xa3056dbb
	s_delay_alu instid0(VALU_DEP_2) | instskip(SKIP_1) | instid1(VALU_DEP_3)
	v_div_scale_f32 v7, null, v6, v6, 0x42000000
	v_div_scale_f32 v6, vcc_lo, 0x42000000, v6, 0x42000000
	v_fma_f32 v11, 0x32a5705f, |v2|, v11
	s_delay_alu instid0(VALU_DEP_3) | instskip(SKIP_1) | instid1(TRANS32_DEP_1)
	v_rcp_f32_e32 v8, v7
	v_nop
	v_fma_f32 v9, -v7, v8, 1.0
	s_delay_alu instid0(VALU_DEP_1) | instskip(NEXT) | instid1(VALU_DEP_1)
	v_fmac_f32_e32 v8, v9, v8
	v_mul_f32_e32 v9, v6, v8
	s_delay_alu instid0(VALU_DEP_1) | instskip(NEXT) | instid1(VALU_DEP_1)
	v_fma_f32 v10, -v7, v9, v6
	v_fmac_f32_e32 v9, v10, v8
	v_rndne_f32_e32 v10, v1
	s_delay_alu instid0(VALU_DEP_1) | instskip(SKIP_1) | instid1(VALU_DEP_2)
	v_dual_fma_f32 v6, -v7, v9, v6 :: v_dual_sub_f32 v1, v1, v10
	v_cvt_i32_f32_e32 v10, v10
	v_div_fmas_f32 v6, v6, v8, v9
	v_mul_f32_e64 v9, 0x4f800000, |v2|
	v_cmp_gt_f32_e64 vcc_lo, 0xf800000, |v2|
	v_add_f32_e32 v1, v1, v11
	s_delay_alu instid0(VALU_DEP_4) | instskip(NEXT) | instid1(VALU_DEP_3)
	v_div_fixup_f32 v6, v6, |v2|, 0x42000000
	v_cndmask_b32_e64 v9, |v2|, v9, vcc_lo
	s_delay_alu instid0(VALU_DEP_3) | instskip(NEXT) | instid1(VALU_DEP_2)
	v_exp_f32_e32 v1, v1
	v_add_f32_e32 v6, -2.0, v6
	s_delay_alu instid0(VALU_DEP_2) | instskip(NEXT) | instid1(VALU_DEP_1)
	v_sqrt_f32_e32 v12, v9
	v_fmaak_f32 v7, s0, v6, 0xa2b236d3
	s_delay_alu instid0(TRANS32_DEP_2)
	v_ldexp_f32 v1, v1, v10
	s_delay_alu instid0(TRANS32_DEP_1) | instid1(VALU_DEP_2)
	v_dual_fmaak_f32 v8, v6, v7, 0x23056dbb :: v_dual_add_nc_u32 v13, -1, v12
	s_delay_alu instid0(VALU_DEP_1) | instskip(NEXT) | instid1(VALU_DEP_2)
	v_dual_add_nc_u32 v11, 1, v12 :: v_dual_fma_f32 v14, -v13, v12, v9
	v_add_f32_e32 v8, 0x244df0c1, v8
	s_delay_alu instid0(VALU_DEP_2) | instskip(NEXT) | instid1(VALU_DEP_3)
	v_fma_f32 v15, -v11, v12, v9
	v_cmp_ge_f32_e64 s0, 0, v14
	s_delay_alu instid0(VALU_DEP_1) | instskip(NEXT) | instid1(VALU_DEP_1)
	v_dual_fma_f32 v7, v6, v8, -v7 :: v_dual_cndmask_b32 v12, v12, v13, s0
	v_add_f32_e32 v7, 0x241f9ee8, v7
	s_delay_alu instid0(VALU_DEP_4) | instskip(NEXT) | instid1(VALU_DEP_2)
	v_cmp_lt_f32_e64 s0, 0, v15
	v_fma_f32 v8, v6, v7, -v8
	s_delay_alu instid0(VALU_DEP_1) | instskip(NEXT) | instid1(VALU_DEP_1)
	v_add_f32_e32 v8, 0xa5a3005d, v8
	v_fma_f32 v7, v6, v8, -v7
	s_delay_alu instid0(VALU_DEP_1) | instskip(NEXT) | instid1(VALU_DEP_1)
	v_add_f32_e32 v7, 0xa5c5773f, v7
	;; [unrolled: 3-line block ×20, first 2 shown]
	v_fma_f32 v6, v6, v7, -v8
	v_cndmask_b32_e64 v7, v12, v11, s0
	v_cmp_ngt_f32_e64 s0, 0xc2ce8ed0, |v2|
	s_delay_alu instid0(VALU_DEP_3) | instskip(NEXT) | instid1(VALU_DEP_3)
	v_add_f32_e32 v6, 0x3f4df315, v6
	v_mul_f32_e32 v10, 0x37800000, v7
	s_delay_alu instid0(VALU_DEP_3) | instskip(SKIP_1) | instid1(VALU_DEP_3)
	v_cndmask_b32_e64 v1, 0, v1, s0
	v_cmp_nlt_f32_e64 s0, 0x42b17218, |v2|
	v_dual_sub_f32 v6, v6, v8 :: v_dual_cndmask_b32 v2, v7, v10, vcc_lo
	v_cmp_class_f32_e64 vcc_lo, v9, 0x260
	s_delay_alu instid0(VALU_DEP_3) | instskip(NEXT) | instid1(VALU_DEP_2)
	v_cndmask_b32_e64 v1, 0x7f800000, v1, s0
	v_dual_mul_f32 v6, 0.5, v6 :: v_dual_cndmask_b32 v2, v2, v9, vcc_lo
	s_delay_alu instid0(VALU_DEP_1) | instskip(NEXT) | instid1(VALU_DEP_1)
	v_mul_f32_e32 v1, v1, v6
	v_div_scale_f32 v6, null, v2, v2, v1
	s_delay_alu instid0(VALU_DEP_1) | instskip(SKIP_1) | instid1(TRANS32_DEP_1)
	v_rcp_f32_e32 v7, v6
	v_nop
	v_fma_f32 v8, -v6, v7, 1.0
	s_delay_alu instid0(VALU_DEP_1) | instskip(SKIP_1) | instid1(VALU_DEP_1)
	v_fmac_f32_e32 v7, v8, v7
	v_div_scale_f32 v8, vcc_lo, v1, v2, v1
	v_mul_f32_e32 v9, v8, v7
	s_delay_alu instid0(VALU_DEP_1) | instskip(NEXT) | instid1(VALU_DEP_1)
	v_fma_f32 v10, -v6, v9, v8
	v_fmac_f32_e32 v9, v10, v7
	s_delay_alu instid0(VALU_DEP_1) | instskip(NEXT) | instid1(VALU_DEP_1)
	v_fma_f32 v6, -v6, v9, v8
	v_div_fmas_f32 v6, v6, v7, v9
	s_delay_alu instid0(VALU_DEP_1)
	v_div_fixup_f32 v6, v6, v2, v1
.LBB14_15:
	s_or_b32 exec_lo, exec_lo, s1
	v_cmp_ge_f32_e64 s0, 0x41000000, |v3|
	v_mul_f32_e64 v1, 0x3fb8aa3b, |v3|
	s_and_saveexec_b32 s1, s0
	s_delay_alu instid0(SALU_CYCLE_1)
	s_xor_b32 s0, exec_lo, s1
	s_cbranch_execz .LBB14_17
; %bb.16:
	v_fma_f32 v2, |v3|, 0.5, -2.0
	s_mov_b32 s1, 0xa2a2e5b9
	v_rndne_f32_e32 v9, v1
	v_fma_f32 v10, 0x3fb8aa3b, |v3|, -v1
	v_cmp_ngt_f32_e64 vcc_lo, 0xc2ce8ed0, |v3|
	v_fmaak_f32 v7, s1, v2, 0x24199b15
	s_delay_alu instid0(VALU_DEP_4) | instskip(NEXT) | instid1(VALU_DEP_4)
	v_sub_f32_e32 v1, v1, v9
	v_fma_f32 v10, 0x32a5705f, |v3|, v10
	v_cvt_i32_f32_e32 v9, v9
	s_delay_alu instid0(VALU_DEP_2) | instskip(NEXT) | instid1(VALU_DEP_1)
	v_dual_fmaak_f32 v8, v2, v7, 0x22a2e5b9 :: v_dual_add_f32 v1, v1, v10
	v_add_f32_e32 v8, 0xa58c275c, v8
	s_delay_alu instid0(VALU_DEP_2) | instskip(SKIP_1) | instid1(TRANS32_DEP_1)
	v_exp_f32_e32 v1, v1
	v_nop
	v_ldexp_f32 v1, v1, v9
	s_delay_alu instid0(VALU_DEP_1) | instskip(NEXT) | instid1(VALU_DEP_1)
	v_dual_fma_f32 v7, v2, v8, -v7 :: v_dual_cndmask_b32 v1, 0, v1, vcc_lo
	v_add_f32_e32 v7, 0x26f736c5, v7
	v_cmp_nlt_f32_e64 vcc_lo, 0x42b17218, |v3|
	s_delay_alu instid0(VALU_DEP_2) | instskip(NEXT) | instid1(VALU_DEP_4)
	v_fma_f32 v8, v2, v7, -v8
	v_cndmask_b32_e32 v1, 0x7f800000, v1, vcc_lo
	s_delay_alu instid0(VALU_DEP_2) | instskip(NEXT) | instid1(VALU_DEP_1)
	v_add_f32_e32 v8, 0xa8528116, v8
	v_fma_f32 v7, v2, v8, -v7
	s_delay_alu instid0(VALU_DEP_1) | instskip(NEXT) | instid1(VALU_DEP_1)
	v_add_f32_e32 v7, 0x29acda32, v7
	v_fma_f32 v8, v2, v7, -v8
	s_delay_alu instid0(VALU_DEP_1) | instskip(NEXT) | instid1(VALU_DEP_1)
	;; [unrolled: 3-line block ×25, first 2 shown]
	v_add_f32_e32 v2, 0x3f2d4275, v2
	v_sub_f32_e32 v2, v2, v7
	s_delay_alu instid0(VALU_DEP_1) | instskip(NEXT) | instid1(VALU_DEP_1)
	v_mul_f32_e32 v2, 0.5, v2
	v_mul_f32_e32 v7, v1, v2
                                        ; implicit-def: $vgpr2_vgpr3
                                        ; implicit-def: $vgpr1
.LBB14_17:
	s_and_not1_saveexec_b32 s1, s0
	s_cbranch_execz .LBB14_19
; %bb.18:
	v_and_b32_e32 v2, 0x7fffffff, v3
	v_fma_f32 v11, 0x3fb8aa3b, |v3|, -v1
	s_mov_b32 s0, 0xa3056dbb
	s_delay_alu instid0(VALU_DEP_2) | instskip(SKIP_1) | instid1(VALU_DEP_3)
	v_div_scale_f32 v7, null, v2, v2, 0x42000000
	v_div_scale_f32 v2, vcc_lo, 0x42000000, v2, 0x42000000
	v_fma_f32 v11, 0x32a5705f, |v3|, v11
	s_delay_alu instid0(VALU_DEP_3) | instskip(SKIP_1) | instid1(TRANS32_DEP_1)
	v_rcp_f32_e32 v8, v7
	v_nop
	v_fma_f32 v9, -v7, v8, 1.0
	s_delay_alu instid0(VALU_DEP_1) | instskip(NEXT) | instid1(VALU_DEP_1)
	v_fmac_f32_e32 v8, v9, v8
	v_mul_f32_e32 v9, v2, v8
	s_delay_alu instid0(VALU_DEP_1) | instskip(NEXT) | instid1(VALU_DEP_1)
	v_fma_f32 v10, -v7, v9, v2
	v_fmac_f32_e32 v9, v10, v8
	v_rndne_f32_e32 v10, v1
	s_delay_alu instid0(VALU_DEP_1) | instskip(SKIP_1) | instid1(VALU_DEP_2)
	v_dual_fma_f32 v2, -v7, v9, v2 :: v_dual_sub_f32 v1, v1, v10
	v_cvt_i32_f32_e32 v10, v10
	v_div_fmas_f32 v2, v2, v8, v9
	v_mul_f32_e64 v9, 0x4f800000, |v3|
	v_cmp_gt_f32_e64 vcc_lo, 0xf800000, |v3|
	v_add_f32_e32 v1, v1, v11
	s_delay_alu instid0(VALU_DEP_4) | instskip(NEXT) | instid1(VALU_DEP_3)
	v_div_fixup_f32 v2, v2, |v3|, 0x42000000
	v_cndmask_b32_e64 v9, |v3|, v9, vcc_lo
	s_delay_alu instid0(VALU_DEP_3) | instskip(NEXT) | instid1(VALU_DEP_2)
	v_exp_f32_e32 v1, v1
	v_add_f32_e32 v2, -2.0, v2
	s_delay_alu instid0(VALU_DEP_2) | instskip(NEXT) | instid1(VALU_DEP_1)
	v_sqrt_f32_e32 v12, v9
	v_fmaak_f32 v7, s0, v2, 0xa2b236d3
	s_delay_alu instid0(TRANS32_DEP_2)
	v_ldexp_f32 v1, v1, v10
	s_delay_alu instid0(TRANS32_DEP_1) | instid1(VALU_DEP_2)
	v_dual_fmaak_f32 v8, v2, v7, 0x23056dbb :: v_dual_add_nc_u32 v13, -1, v12
	s_delay_alu instid0(VALU_DEP_1) | instskip(NEXT) | instid1(VALU_DEP_2)
	v_dual_add_nc_u32 v11, 1, v12 :: v_dual_fma_f32 v14, -v13, v12, v9
	v_add_f32_e32 v8, 0x244df0c1, v8
	s_delay_alu instid0(VALU_DEP_2) | instskip(NEXT) | instid1(VALU_DEP_3)
	v_fma_f32 v15, -v11, v12, v9
	v_cmp_ge_f32_e64 s0, 0, v14
	s_delay_alu instid0(VALU_DEP_1) | instskip(NEXT) | instid1(VALU_DEP_1)
	v_dual_fma_f32 v7, v2, v8, -v7 :: v_dual_cndmask_b32 v12, v12, v13, s0
	v_add_f32_e32 v7, 0x241f9ee8, v7
	s_delay_alu instid0(VALU_DEP_4) | instskip(NEXT) | instid1(VALU_DEP_2)
	v_cmp_lt_f32_e64 s0, 0, v15
	v_fma_f32 v8, v2, v7, -v8
	s_delay_alu instid0(VALU_DEP_1) | instskip(NEXT) | instid1(VALU_DEP_1)
	v_add_f32_e32 v8, 0xa5a3005d, v8
	v_fma_f32 v7, v2, v8, -v7
	s_delay_alu instid0(VALU_DEP_1) | instskip(NEXT) | instid1(VALU_DEP_1)
	v_add_f32_e32 v7, 0xa5c5773f, v7
	;; [unrolled: 3-line block ×20, first 2 shown]
	v_fma_f32 v2, v2, v7, -v8
	v_cndmask_b32_e64 v7, v12, v11, s0
	v_cmp_ngt_f32_e64 s0, 0xc2ce8ed0, |v3|
	s_delay_alu instid0(VALU_DEP_3) | instskip(NEXT) | instid1(VALU_DEP_3)
	v_add_f32_e32 v2, 0x3f4df315, v2
	v_mul_f32_e32 v10, 0x37800000, v7
	s_delay_alu instid0(VALU_DEP_3) | instskip(SKIP_1) | instid1(VALU_DEP_3)
	v_cndmask_b32_e64 v1, 0, v1, s0
	v_cmp_nlt_f32_e64 s0, 0x42b17218, |v3|
	v_dual_sub_f32 v2, v2, v8 :: v_dual_cndmask_b32 v3, v7, v10
	v_cmp_class_f32_e64 vcc_lo, v9, 0x260
	s_delay_alu instid0(VALU_DEP_3) | instskip(NEXT) | instid1(VALU_DEP_3)
	v_cndmask_b32_e64 v1, 0x7f800000, v1, s0
	v_dual_mul_f32 v2, 0.5, v2 :: v_dual_cndmask_b32 v3, v3, v9
	s_delay_alu instid0(VALU_DEP_1) | instskip(NEXT) | instid1(VALU_DEP_1)
	v_mul_f32_e32 v1, v1, v2
	v_div_scale_f32 v2, null, v3, v3, v1
	s_delay_alu instid0(VALU_DEP_1) | instskip(SKIP_1) | instid1(TRANS32_DEP_1)
	v_rcp_f32_e32 v7, v2
	v_nop
	v_fma_f32 v8, -v2, v7, 1.0
	s_delay_alu instid0(VALU_DEP_1) | instskip(SKIP_1) | instid1(VALU_DEP_1)
	v_fmac_f32_e32 v7, v8, v7
	v_div_scale_f32 v8, vcc_lo, v1, v3, v1
	v_mul_f32_e32 v9, v8, v7
	s_delay_alu instid0(VALU_DEP_1) | instskip(NEXT) | instid1(VALU_DEP_1)
	v_fma_f32 v10, -v2, v9, v8
	v_fmac_f32_e32 v9, v10, v7
	s_delay_alu instid0(VALU_DEP_1) | instskip(NEXT) | instid1(VALU_DEP_1)
	v_fma_f32 v2, -v2, v9, v8
	v_div_fmas_f32 v2, v2, v7, v9
	s_delay_alu instid0(VALU_DEP_1)
	v_div_fixup_f32 v7, v2, v3, v1
.LBB14_19:
	s_or_b32 exec_lo, exec_lo, s1
	s_add_nc_u64 s[2:3], s[4:5], s[2:3]
	s_clause 0x1
	global_store_b64 v0, v[4:5], s[2:3] scale_offset
	global_store_b64 v0, v[6:7], s[2:3] offset:2048 scale_offset
	s_branch .LBB14_2
.LBB14_20:
	s_wait_xcnt 0x0
	v_dual_mov_b32 v31, v0 :: v_dual_mov_b32 v0, s4
	v_dual_mov_b32 v1, s5 :: v_dual_mov_b32 v2, s6
	;; [unrolled: 1-line block ×3, first 2 shown]
	s_get_pc_i64 s[0:1]
	s_add_nc_u64 s[0:1], s[0:1], _ZN2at6native25elementwise_kernel_helperILb0EZZZNS0_12_GLOBAL__N_130modified_bessel_i0_kernel_cudaERNS_18TensorIteratorBaseEENKUlvE_clEvENKUlvE0_clEvEUlfE_NS0_6memory8policies11unroll_baseILi256ESt5arrayIPcLm2EE23TrivialOffsetCalculatorILi1EjESF_NS8_15LoadWithoutCastENS8_16StoreWithoutCastELi4ELi1EEEEEvT0_T1_@rel64+4
	s_delay_alu instid0(SALU_CYCLE_1)
	s_swap_pc_i64 s[30:31], s[0:1]
	s_endpgm
	.section	.rodata,"a",@progbits
	.p2align	6, 0x0
	.amdhsa_kernel _ZN2at6native29vectorized_elementwise_kernelILi2EZZZNS0_12_GLOBAL__N_130modified_bessel_i0_kernel_cudaERNS_18TensorIteratorBaseEENKUlvE_clEvENKUlvE0_clEvEUlfE_St5arrayIPcLm2EEEEviT0_T1_
		.amdhsa_group_segment_fixed_size 0
		.amdhsa_private_segment_fixed_size 0
		.amdhsa_kernarg_size 24
		.amdhsa_user_sgpr_count 2
		.amdhsa_user_sgpr_dispatch_ptr 0
		.amdhsa_user_sgpr_queue_ptr 0
		.amdhsa_user_sgpr_kernarg_segment_ptr 1
		.amdhsa_user_sgpr_dispatch_id 0
		.amdhsa_user_sgpr_kernarg_preload_length 0
		.amdhsa_user_sgpr_kernarg_preload_offset 0
		.amdhsa_user_sgpr_private_segment_size 0
		.amdhsa_wavefront_size32 1
		.amdhsa_uses_dynamic_stack 0
		.amdhsa_enable_private_segment 0
		.amdhsa_system_sgpr_workgroup_id_x 1
		.amdhsa_system_sgpr_workgroup_id_y 0
		.amdhsa_system_sgpr_workgroup_id_z 0
		.amdhsa_system_sgpr_workgroup_info 0
		.amdhsa_system_vgpr_workitem_id 0
		.amdhsa_next_free_vgpr 32
		.amdhsa_next_free_sgpr 33
		.amdhsa_named_barrier_count 0
		.amdhsa_reserve_vcc 1
		.amdhsa_float_round_mode_32 0
		.amdhsa_float_round_mode_16_64 0
		.amdhsa_float_denorm_mode_32 3
		.amdhsa_float_denorm_mode_16_64 3
		.amdhsa_fp16_overflow 0
		.amdhsa_memory_ordered 1
		.amdhsa_forward_progress 1
		.amdhsa_inst_pref_size 56
		.amdhsa_round_robin_scheduling 0
		.amdhsa_exception_fp_ieee_invalid_op 0
		.amdhsa_exception_fp_denorm_src 0
		.amdhsa_exception_fp_ieee_div_zero 0
		.amdhsa_exception_fp_ieee_overflow 0
		.amdhsa_exception_fp_ieee_underflow 0
		.amdhsa_exception_fp_ieee_inexact 0
		.amdhsa_exception_int_div_zero 0
	.end_amdhsa_kernel
	.section	.text._ZN2at6native29vectorized_elementwise_kernelILi2EZZZNS0_12_GLOBAL__N_130modified_bessel_i0_kernel_cudaERNS_18TensorIteratorBaseEENKUlvE_clEvENKUlvE0_clEvEUlfE_St5arrayIPcLm2EEEEviT0_T1_,"axG",@progbits,_ZN2at6native29vectorized_elementwise_kernelILi2EZZZNS0_12_GLOBAL__N_130modified_bessel_i0_kernel_cudaERNS_18TensorIteratorBaseEENKUlvE_clEvENKUlvE0_clEvEUlfE_St5arrayIPcLm2EEEEviT0_T1_,comdat
.Lfunc_end14:
	.size	_ZN2at6native29vectorized_elementwise_kernelILi2EZZZNS0_12_GLOBAL__N_130modified_bessel_i0_kernel_cudaERNS_18TensorIteratorBaseEENKUlvE_clEvENKUlvE0_clEvEUlfE_St5arrayIPcLm2EEEEviT0_T1_, .Lfunc_end14-_ZN2at6native29vectorized_elementwise_kernelILi2EZZZNS0_12_GLOBAL__N_130modified_bessel_i0_kernel_cudaERNS_18TensorIteratorBaseEENKUlvE_clEvENKUlvE0_clEvEUlfE_St5arrayIPcLm2EEEEviT0_T1_
                                        ; -- End function
	.set _ZN2at6native29vectorized_elementwise_kernelILi2EZZZNS0_12_GLOBAL__N_130modified_bessel_i0_kernel_cudaERNS_18TensorIteratorBaseEENKUlvE_clEvENKUlvE0_clEvEUlfE_St5arrayIPcLm2EEEEviT0_T1_.num_vgpr, max(32, .L_ZN2at6native25elementwise_kernel_helperILb0EZZZNS0_12_GLOBAL__N_130modified_bessel_i0_kernel_cudaERNS_18TensorIteratorBaseEENKUlvE_clEvENKUlvE0_clEvEUlfE_NS0_6memory8policies11unroll_baseILi256ESt5arrayIPcLm2EE23TrivialOffsetCalculatorILi1EjESF_NS8_15LoadWithoutCastENS8_16StoreWithoutCastELi4ELi1EEEEEvT0_T1_.num_vgpr)
	.set _ZN2at6native29vectorized_elementwise_kernelILi2EZZZNS0_12_GLOBAL__N_130modified_bessel_i0_kernel_cudaERNS_18TensorIteratorBaseEENKUlvE_clEvENKUlvE0_clEvEUlfE_St5arrayIPcLm2EEEEviT0_T1_.num_agpr, max(0, .L_ZN2at6native25elementwise_kernel_helperILb0EZZZNS0_12_GLOBAL__N_130modified_bessel_i0_kernel_cudaERNS_18TensorIteratorBaseEENKUlvE_clEvENKUlvE0_clEvEUlfE_NS0_6memory8policies11unroll_baseILi256ESt5arrayIPcLm2EE23TrivialOffsetCalculatorILi1EjESF_NS8_15LoadWithoutCastENS8_16StoreWithoutCastELi4ELi1EEEEEvT0_T1_.num_agpr)
	.set _ZN2at6native29vectorized_elementwise_kernelILi2EZZZNS0_12_GLOBAL__N_130modified_bessel_i0_kernel_cudaERNS_18TensorIteratorBaseEENKUlvE_clEvENKUlvE0_clEvEUlfE_St5arrayIPcLm2EEEEviT0_T1_.numbered_sgpr, max(33, .L_ZN2at6native25elementwise_kernel_helperILb0EZZZNS0_12_GLOBAL__N_130modified_bessel_i0_kernel_cudaERNS_18TensorIteratorBaseEENKUlvE_clEvENKUlvE0_clEvEUlfE_NS0_6memory8policies11unroll_baseILi256ESt5arrayIPcLm2EE23TrivialOffsetCalculatorILi1EjESF_NS8_15LoadWithoutCastENS8_16StoreWithoutCastELi4ELi1EEEEEvT0_T1_.numbered_sgpr)
	.set _ZN2at6native29vectorized_elementwise_kernelILi2EZZZNS0_12_GLOBAL__N_130modified_bessel_i0_kernel_cudaERNS_18TensorIteratorBaseEENKUlvE_clEvENKUlvE0_clEvEUlfE_St5arrayIPcLm2EEEEviT0_T1_.num_named_barrier, max(0, .L_ZN2at6native25elementwise_kernel_helperILb0EZZZNS0_12_GLOBAL__N_130modified_bessel_i0_kernel_cudaERNS_18TensorIteratorBaseEENKUlvE_clEvENKUlvE0_clEvEUlfE_NS0_6memory8policies11unroll_baseILi256ESt5arrayIPcLm2EE23TrivialOffsetCalculatorILi1EjESF_NS8_15LoadWithoutCastENS8_16StoreWithoutCastELi4ELi1EEEEEvT0_T1_.num_named_barrier)
	.set _ZN2at6native29vectorized_elementwise_kernelILi2EZZZNS0_12_GLOBAL__N_130modified_bessel_i0_kernel_cudaERNS_18TensorIteratorBaseEENKUlvE_clEvENKUlvE0_clEvEUlfE_St5arrayIPcLm2EEEEviT0_T1_.private_seg_size, 0+max(.L_ZN2at6native25elementwise_kernel_helperILb0EZZZNS0_12_GLOBAL__N_130modified_bessel_i0_kernel_cudaERNS_18TensorIteratorBaseEENKUlvE_clEvENKUlvE0_clEvEUlfE_NS0_6memory8policies11unroll_baseILi256ESt5arrayIPcLm2EE23TrivialOffsetCalculatorILi1EjESF_NS8_15LoadWithoutCastENS8_16StoreWithoutCastELi4ELi1EEEEEvT0_T1_.private_seg_size)
	.set _ZN2at6native29vectorized_elementwise_kernelILi2EZZZNS0_12_GLOBAL__N_130modified_bessel_i0_kernel_cudaERNS_18TensorIteratorBaseEENKUlvE_clEvENKUlvE0_clEvEUlfE_St5arrayIPcLm2EEEEviT0_T1_.uses_vcc, or(1, .L_ZN2at6native25elementwise_kernel_helperILb0EZZZNS0_12_GLOBAL__N_130modified_bessel_i0_kernel_cudaERNS_18TensorIteratorBaseEENKUlvE_clEvENKUlvE0_clEvEUlfE_NS0_6memory8policies11unroll_baseILi256ESt5arrayIPcLm2EE23TrivialOffsetCalculatorILi1EjESF_NS8_15LoadWithoutCastENS8_16StoreWithoutCastELi4ELi1EEEEEvT0_T1_.uses_vcc)
	.set _ZN2at6native29vectorized_elementwise_kernelILi2EZZZNS0_12_GLOBAL__N_130modified_bessel_i0_kernel_cudaERNS_18TensorIteratorBaseEENKUlvE_clEvENKUlvE0_clEvEUlfE_St5arrayIPcLm2EEEEviT0_T1_.uses_flat_scratch, or(0, .L_ZN2at6native25elementwise_kernel_helperILb0EZZZNS0_12_GLOBAL__N_130modified_bessel_i0_kernel_cudaERNS_18TensorIteratorBaseEENKUlvE_clEvENKUlvE0_clEvEUlfE_NS0_6memory8policies11unroll_baseILi256ESt5arrayIPcLm2EE23TrivialOffsetCalculatorILi1EjESF_NS8_15LoadWithoutCastENS8_16StoreWithoutCastELi4ELi1EEEEEvT0_T1_.uses_flat_scratch)
	.set _ZN2at6native29vectorized_elementwise_kernelILi2EZZZNS0_12_GLOBAL__N_130modified_bessel_i0_kernel_cudaERNS_18TensorIteratorBaseEENKUlvE_clEvENKUlvE0_clEvEUlfE_St5arrayIPcLm2EEEEviT0_T1_.has_dyn_sized_stack, or(0, .L_ZN2at6native25elementwise_kernel_helperILb0EZZZNS0_12_GLOBAL__N_130modified_bessel_i0_kernel_cudaERNS_18TensorIteratorBaseEENKUlvE_clEvENKUlvE0_clEvEUlfE_NS0_6memory8policies11unroll_baseILi256ESt5arrayIPcLm2EE23TrivialOffsetCalculatorILi1EjESF_NS8_15LoadWithoutCastENS8_16StoreWithoutCastELi4ELi1EEEEEvT0_T1_.has_dyn_sized_stack)
	.set _ZN2at6native29vectorized_elementwise_kernelILi2EZZZNS0_12_GLOBAL__N_130modified_bessel_i0_kernel_cudaERNS_18TensorIteratorBaseEENKUlvE_clEvENKUlvE0_clEvEUlfE_St5arrayIPcLm2EEEEviT0_T1_.has_recursion, or(0, .L_ZN2at6native25elementwise_kernel_helperILb0EZZZNS0_12_GLOBAL__N_130modified_bessel_i0_kernel_cudaERNS_18TensorIteratorBaseEENKUlvE_clEvENKUlvE0_clEvEUlfE_NS0_6memory8policies11unroll_baseILi256ESt5arrayIPcLm2EE23TrivialOffsetCalculatorILi1EjESF_NS8_15LoadWithoutCastENS8_16StoreWithoutCastELi4ELi1EEEEEvT0_T1_.has_recursion)
	.set _ZN2at6native29vectorized_elementwise_kernelILi2EZZZNS0_12_GLOBAL__N_130modified_bessel_i0_kernel_cudaERNS_18TensorIteratorBaseEENKUlvE_clEvENKUlvE0_clEvEUlfE_St5arrayIPcLm2EEEEviT0_T1_.has_indirect_call, or(0, .L_ZN2at6native25elementwise_kernel_helperILb0EZZZNS0_12_GLOBAL__N_130modified_bessel_i0_kernel_cudaERNS_18TensorIteratorBaseEENKUlvE_clEvENKUlvE0_clEvEUlfE_NS0_6memory8policies11unroll_baseILi256ESt5arrayIPcLm2EE23TrivialOffsetCalculatorILi1EjESF_NS8_15LoadWithoutCastENS8_16StoreWithoutCastELi4ELi1EEEEEvT0_T1_.has_indirect_call)
	.section	.AMDGPU.csdata,"",@progbits
; Kernel info:
; codeLenInByte = 7116
; TotalNumSgprs: 35
; NumVgprs: 32
; ScratchSize: 0
; MemoryBound: 0
; FloatMode: 240
; IeeeMode: 1
; LDSByteSize: 0 bytes/workgroup (compile time only)
; SGPRBlocks: 0
; VGPRBlocks: 1
; NumSGPRsForWavesPerEU: 35
; NumVGPRsForWavesPerEU: 32
; NamedBarCnt: 0
; Occupancy: 16
; WaveLimiterHint : 1
; COMPUTE_PGM_RSRC2:SCRATCH_EN: 0
; COMPUTE_PGM_RSRC2:USER_SGPR: 2
; COMPUTE_PGM_RSRC2:TRAP_HANDLER: 0
; COMPUTE_PGM_RSRC2:TGID_X_EN: 1
; COMPUTE_PGM_RSRC2:TGID_Y_EN: 0
; COMPUTE_PGM_RSRC2:TGID_Z_EN: 0
; COMPUTE_PGM_RSRC2:TIDIG_COMP_CNT: 0
	.section	.text._ZN2at6native27unrolled_elementwise_kernelIZZZNS0_12_GLOBAL__N_130modified_bessel_i0_kernel_cudaERNS_18TensorIteratorBaseEENKUlvE_clEvENKUlvE0_clEvEUlfE_St5arrayIPcLm2EELi4E23TrivialOffsetCalculatorILi1EjESC_NS0_6memory15LoadWithoutCastENSD_16StoreWithoutCastEEEviT_T0_T2_T3_T4_T5_,"axG",@progbits,_ZN2at6native27unrolled_elementwise_kernelIZZZNS0_12_GLOBAL__N_130modified_bessel_i0_kernel_cudaERNS_18TensorIteratorBaseEENKUlvE_clEvENKUlvE0_clEvEUlfE_St5arrayIPcLm2EELi4E23TrivialOffsetCalculatorILi1EjESC_NS0_6memory15LoadWithoutCastENSD_16StoreWithoutCastEEEviT_T0_T2_T3_T4_T5_,comdat
	.globl	_ZN2at6native27unrolled_elementwise_kernelIZZZNS0_12_GLOBAL__N_130modified_bessel_i0_kernel_cudaERNS_18TensorIteratorBaseEENKUlvE_clEvENKUlvE0_clEvEUlfE_St5arrayIPcLm2EELi4E23TrivialOffsetCalculatorILi1EjESC_NS0_6memory15LoadWithoutCastENSD_16StoreWithoutCastEEEviT_T0_T2_T3_T4_T5_ ; -- Begin function _ZN2at6native27unrolled_elementwise_kernelIZZZNS0_12_GLOBAL__N_130modified_bessel_i0_kernel_cudaERNS_18TensorIteratorBaseEENKUlvE_clEvENKUlvE0_clEvEUlfE_St5arrayIPcLm2EELi4E23TrivialOffsetCalculatorILi1EjESC_NS0_6memory15LoadWithoutCastENSD_16StoreWithoutCastEEEviT_T0_T2_T3_T4_T5_
	.p2align	8
	.type	_ZN2at6native27unrolled_elementwise_kernelIZZZNS0_12_GLOBAL__N_130modified_bessel_i0_kernel_cudaERNS_18TensorIteratorBaseEENKUlvE_clEvENKUlvE0_clEvEUlfE_St5arrayIPcLm2EELi4E23TrivialOffsetCalculatorILi1EjESC_NS0_6memory15LoadWithoutCastENSD_16StoreWithoutCastEEEviT_T0_T2_T3_T4_T5_,@function
_ZN2at6native27unrolled_elementwise_kernelIZZZNS0_12_GLOBAL__N_130modified_bessel_i0_kernel_cudaERNS_18TensorIteratorBaseEENKUlvE_clEvENKUlvE0_clEvEUlfE_St5arrayIPcLm2EELi4E23TrivialOffsetCalculatorILi1EjESC_NS0_6memory15LoadWithoutCastENSD_16StoreWithoutCastEEEviT_T0_T2_T3_T4_T5_: ; @_ZN2at6native27unrolled_elementwise_kernelIZZZNS0_12_GLOBAL__N_130modified_bessel_i0_kernel_cudaERNS_18TensorIteratorBaseEENKUlvE_clEvENKUlvE0_clEvEUlfE_St5arrayIPcLm2EELi4E23TrivialOffsetCalculatorILi1EjESC_NS0_6memory15LoadWithoutCastENSD_16StoreWithoutCastEEEviT_T0_T2_T3_T4_T5_
; %bb.0:
	s_clause 0x1
	s_load_b32 s2, s[0:1], 0x0
	s_load_b128 s[4:7], s[0:1], 0x8
	s_wait_xcnt 0x0
	s_bfe_u32 s0, ttmp6, 0x4000c
	s_and_b32 s1, ttmp6, 15
	s_add_co_i32 s0, s0, 1
	s_getreg_b32 s3, hwreg(HW_REG_IB_STS2, 6, 4)
	s_mul_i32 s0, ttmp9, s0
	v_mov_b32_e32 v31, v0
	s_add_co_i32 s1, s1, s0
	s_cmp_eq_u32 s3, 0
	s_mov_b32 s32, 0
	s_cselect_b32 s3, ttmp9, s1
	s_get_pc_i64 s[0:1]
	s_add_nc_u64 s[0:1], s[0:1], _ZN2at6native25elementwise_kernel_helperILb0EZZZNS0_12_GLOBAL__N_130modified_bessel_i0_kernel_cudaERNS_18TensorIteratorBaseEENKUlvE_clEvENKUlvE0_clEvEUlfE_NS0_6memory8policies11unroll_baseILi256ESt5arrayIPcLm2EE23TrivialOffsetCalculatorILi1EjESF_NS8_15LoadWithoutCastENS8_16StoreWithoutCastELi4ELi1EEEEEvT0_T1_@rel64+4
	s_lshl_b32 s3, s3, 10
	s_wait_kmcnt 0x0
	s_sub_co_i32 s2, s2, s3
	v_dual_mov_b32 v0, s4 :: v_dual_mov_b32 v1, s5
	v_dual_mov_b32 v2, s6 :: v_dual_mov_b32 v3, s7
	v_mov_b32_e32 v4, s2
	s_swap_pc_i64 s[30:31], s[0:1]
	s_endpgm
	.section	.rodata,"a",@progbits
	.p2align	6, 0x0
	.amdhsa_kernel _ZN2at6native27unrolled_elementwise_kernelIZZZNS0_12_GLOBAL__N_130modified_bessel_i0_kernel_cudaERNS_18TensorIteratorBaseEENKUlvE_clEvENKUlvE0_clEvEUlfE_St5arrayIPcLm2EELi4E23TrivialOffsetCalculatorILi1EjESC_NS0_6memory15LoadWithoutCastENSD_16StoreWithoutCastEEEviT_T0_T2_T3_T4_T5_
		.amdhsa_group_segment_fixed_size 0
		.amdhsa_private_segment_fixed_size 0
		.amdhsa_kernarg_size 28
		.amdhsa_user_sgpr_count 2
		.amdhsa_user_sgpr_dispatch_ptr 0
		.amdhsa_user_sgpr_queue_ptr 0
		.amdhsa_user_sgpr_kernarg_segment_ptr 1
		.amdhsa_user_sgpr_dispatch_id 0
		.amdhsa_user_sgpr_kernarg_preload_length 0
		.amdhsa_user_sgpr_kernarg_preload_offset 0
		.amdhsa_user_sgpr_private_segment_size 0
		.amdhsa_wavefront_size32 1
		.amdhsa_uses_dynamic_stack 0
		.amdhsa_enable_private_segment 0
		.amdhsa_system_sgpr_workgroup_id_x 1
		.amdhsa_system_sgpr_workgroup_id_y 0
		.amdhsa_system_sgpr_workgroup_id_z 0
		.amdhsa_system_sgpr_workgroup_info 0
		.amdhsa_system_vgpr_workitem_id 0
		.amdhsa_next_free_vgpr 32
		.amdhsa_next_free_sgpr 33
		.amdhsa_named_barrier_count 0
		.amdhsa_reserve_vcc 1
		.amdhsa_float_round_mode_32 0
		.amdhsa_float_round_mode_16_64 0
		.amdhsa_float_denorm_mode_32 3
		.amdhsa_float_denorm_mode_16_64 3
		.amdhsa_fp16_overflow 0
		.amdhsa_memory_ordered 1
		.amdhsa_forward_progress 1
		.amdhsa_inst_pref_size 1
		.amdhsa_round_robin_scheduling 0
		.amdhsa_exception_fp_ieee_invalid_op 0
		.amdhsa_exception_fp_denorm_src 0
		.amdhsa_exception_fp_ieee_div_zero 0
		.amdhsa_exception_fp_ieee_overflow 0
		.amdhsa_exception_fp_ieee_underflow 0
		.amdhsa_exception_fp_ieee_inexact 0
		.amdhsa_exception_int_div_zero 0
	.end_amdhsa_kernel
	.section	.text._ZN2at6native27unrolled_elementwise_kernelIZZZNS0_12_GLOBAL__N_130modified_bessel_i0_kernel_cudaERNS_18TensorIteratorBaseEENKUlvE_clEvENKUlvE0_clEvEUlfE_St5arrayIPcLm2EELi4E23TrivialOffsetCalculatorILi1EjESC_NS0_6memory15LoadWithoutCastENSD_16StoreWithoutCastEEEviT_T0_T2_T3_T4_T5_,"axG",@progbits,_ZN2at6native27unrolled_elementwise_kernelIZZZNS0_12_GLOBAL__N_130modified_bessel_i0_kernel_cudaERNS_18TensorIteratorBaseEENKUlvE_clEvENKUlvE0_clEvEUlfE_St5arrayIPcLm2EELi4E23TrivialOffsetCalculatorILi1EjESC_NS0_6memory15LoadWithoutCastENSD_16StoreWithoutCastEEEviT_T0_T2_T3_T4_T5_,comdat
.Lfunc_end15:
	.size	_ZN2at6native27unrolled_elementwise_kernelIZZZNS0_12_GLOBAL__N_130modified_bessel_i0_kernel_cudaERNS_18TensorIteratorBaseEENKUlvE_clEvENKUlvE0_clEvEUlfE_St5arrayIPcLm2EELi4E23TrivialOffsetCalculatorILi1EjESC_NS0_6memory15LoadWithoutCastENSD_16StoreWithoutCastEEEviT_T0_T2_T3_T4_T5_, .Lfunc_end15-_ZN2at6native27unrolled_elementwise_kernelIZZZNS0_12_GLOBAL__N_130modified_bessel_i0_kernel_cudaERNS_18TensorIteratorBaseEENKUlvE_clEvENKUlvE0_clEvEUlfE_St5arrayIPcLm2EELi4E23TrivialOffsetCalculatorILi1EjESC_NS0_6memory15LoadWithoutCastENSD_16StoreWithoutCastEEEviT_T0_T2_T3_T4_T5_
                                        ; -- End function
	.set _ZN2at6native27unrolled_elementwise_kernelIZZZNS0_12_GLOBAL__N_130modified_bessel_i0_kernel_cudaERNS_18TensorIteratorBaseEENKUlvE_clEvENKUlvE0_clEvEUlfE_St5arrayIPcLm2EELi4E23TrivialOffsetCalculatorILi1EjESC_NS0_6memory15LoadWithoutCastENSD_16StoreWithoutCastEEEviT_T0_T2_T3_T4_T5_.num_vgpr, max(32, .L_ZN2at6native25elementwise_kernel_helperILb0EZZZNS0_12_GLOBAL__N_130modified_bessel_i0_kernel_cudaERNS_18TensorIteratorBaseEENKUlvE_clEvENKUlvE0_clEvEUlfE_NS0_6memory8policies11unroll_baseILi256ESt5arrayIPcLm2EE23TrivialOffsetCalculatorILi1EjESF_NS8_15LoadWithoutCastENS8_16StoreWithoutCastELi4ELi1EEEEEvT0_T1_.num_vgpr)
	.set _ZN2at6native27unrolled_elementwise_kernelIZZZNS0_12_GLOBAL__N_130modified_bessel_i0_kernel_cudaERNS_18TensorIteratorBaseEENKUlvE_clEvENKUlvE0_clEvEUlfE_St5arrayIPcLm2EELi4E23TrivialOffsetCalculatorILi1EjESC_NS0_6memory15LoadWithoutCastENSD_16StoreWithoutCastEEEviT_T0_T2_T3_T4_T5_.num_agpr, max(0, .L_ZN2at6native25elementwise_kernel_helperILb0EZZZNS0_12_GLOBAL__N_130modified_bessel_i0_kernel_cudaERNS_18TensorIteratorBaseEENKUlvE_clEvENKUlvE0_clEvEUlfE_NS0_6memory8policies11unroll_baseILi256ESt5arrayIPcLm2EE23TrivialOffsetCalculatorILi1EjESF_NS8_15LoadWithoutCastENS8_16StoreWithoutCastELi4ELi1EEEEEvT0_T1_.num_agpr)
	.set _ZN2at6native27unrolled_elementwise_kernelIZZZNS0_12_GLOBAL__N_130modified_bessel_i0_kernel_cudaERNS_18TensorIteratorBaseEENKUlvE_clEvENKUlvE0_clEvEUlfE_St5arrayIPcLm2EELi4E23TrivialOffsetCalculatorILi1EjESC_NS0_6memory15LoadWithoutCastENSD_16StoreWithoutCastEEEviT_T0_T2_T3_T4_T5_.numbered_sgpr, max(33, .L_ZN2at6native25elementwise_kernel_helperILb0EZZZNS0_12_GLOBAL__N_130modified_bessel_i0_kernel_cudaERNS_18TensorIteratorBaseEENKUlvE_clEvENKUlvE0_clEvEUlfE_NS0_6memory8policies11unroll_baseILi256ESt5arrayIPcLm2EE23TrivialOffsetCalculatorILi1EjESF_NS8_15LoadWithoutCastENS8_16StoreWithoutCastELi4ELi1EEEEEvT0_T1_.numbered_sgpr)
	.set _ZN2at6native27unrolled_elementwise_kernelIZZZNS0_12_GLOBAL__N_130modified_bessel_i0_kernel_cudaERNS_18TensorIteratorBaseEENKUlvE_clEvENKUlvE0_clEvEUlfE_St5arrayIPcLm2EELi4E23TrivialOffsetCalculatorILi1EjESC_NS0_6memory15LoadWithoutCastENSD_16StoreWithoutCastEEEviT_T0_T2_T3_T4_T5_.num_named_barrier, max(0, .L_ZN2at6native25elementwise_kernel_helperILb0EZZZNS0_12_GLOBAL__N_130modified_bessel_i0_kernel_cudaERNS_18TensorIteratorBaseEENKUlvE_clEvENKUlvE0_clEvEUlfE_NS0_6memory8policies11unroll_baseILi256ESt5arrayIPcLm2EE23TrivialOffsetCalculatorILi1EjESF_NS8_15LoadWithoutCastENS8_16StoreWithoutCastELi4ELi1EEEEEvT0_T1_.num_named_barrier)
	.set _ZN2at6native27unrolled_elementwise_kernelIZZZNS0_12_GLOBAL__N_130modified_bessel_i0_kernel_cudaERNS_18TensorIteratorBaseEENKUlvE_clEvENKUlvE0_clEvEUlfE_St5arrayIPcLm2EELi4E23TrivialOffsetCalculatorILi1EjESC_NS0_6memory15LoadWithoutCastENSD_16StoreWithoutCastEEEviT_T0_T2_T3_T4_T5_.private_seg_size, 0+max(.L_ZN2at6native25elementwise_kernel_helperILb0EZZZNS0_12_GLOBAL__N_130modified_bessel_i0_kernel_cudaERNS_18TensorIteratorBaseEENKUlvE_clEvENKUlvE0_clEvEUlfE_NS0_6memory8policies11unroll_baseILi256ESt5arrayIPcLm2EE23TrivialOffsetCalculatorILi1EjESF_NS8_15LoadWithoutCastENS8_16StoreWithoutCastELi4ELi1EEEEEvT0_T1_.private_seg_size)
	.set _ZN2at6native27unrolled_elementwise_kernelIZZZNS0_12_GLOBAL__N_130modified_bessel_i0_kernel_cudaERNS_18TensorIteratorBaseEENKUlvE_clEvENKUlvE0_clEvEUlfE_St5arrayIPcLm2EELi4E23TrivialOffsetCalculatorILi1EjESC_NS0_6memory15LoadWithoutCastENSD_16StoreWithoutCastEEEviT_T0_T2_T3_T4_T5_.uses_vcc, or(1, .L_ZN2at6native25elementwise_kernel_helperILb0EZZZNS0_12_GLOBAL__N_130modified_bessel_i0_kernel_cudaERNS_18TensorIteratorBaseEENKUlvE_clEvENKUlvE0_clEvEUlfE_NS0_6memory8policies11unroll_baseILi256ESt5arrayIPcLm2EE23TrivialOffsetCalculatorILi1EjESF_NS8_15LoadWithoutCastENS8_16StoreWithoutCastELi4ELi1EEEEEvT0_T1_.uses_vcc)
	.set _ZN2at6native27unrolled_elementwise_kernelIZZZNS0_12_GLOBAL__N_130modified_bessel_i0_kernel_cudaERNS_18TensorIteratorBaseEENKUlvE_clEvENKUlvE0_clEvEUlfE_St5arrayIPcLm2EELi4E23TrivialOffsetCalculatorILi1EjESC_NS0_6memory15LoadWithoutCastENSD_16StoreWithoutCastEEEviT_T0_T2_T3_T4_T5_.uses_flat_scratch, or(0, .L_ZN2at6native25elementwise_kernel_helperILb0EZZZNS0_12_GLOBAL__N_130modified_bessel_i0_kernel_cudaERNS_18TensorIteratorBaseEENKUlvE_clEvENKUlvE0_clEvEUlfE_NS0_6memory8policies11unroll_baseILi256ESt5arrayIPcLm2EE23TrivialOffsetCalculatorILi1EjESF_NS8_15LoadWithoutCastENS8_16StoreWithoutCastELi4ELi1EEEEEvT0_T1_.uses_flat_scratch)
	.set _ZN2at6native27unrolled_elementwise_kernelIZZZNS0_12_GLOBAL__N_130modified_bessel_i0_kernel_cudaERNS_18TensorIteratorBaseEENKUlvE_clEvENKUlvE0_clEvEUlfE_St5arrayIPcLm2EELi4E23TrivialOffsetCalculatorILi1EjESC_NS0_6memory15LoadWithoutCastENSD_16StoreWithoutCastEEEviT_T0_T2_T3_T4_T5_.has_dyn_sized_stack, or(0, .L_ZN2at6native25elementwise_kernel_helperILb0EZZZNS0_12_GLOBAL__N_130modified_bessel_i0_kernel_cudaERNS_18TensorIteratorBaseEENKUlvE_clEvENKUlvE0_clEvEUlfE_NS0_6memory8policies11unroll_baseILi256ESt5arrayIPcLm2EE23TrivialOffsetCalculatorILi1EjESF_NS8_15LoadWithoutCastENS8_16StoreWithoutCastELi4ELi1EEEEEvT0_T1_.has_dyn_sized_stack)
	.set _ZN2at6native27unrolled_elementwise_kernelIZZZNS0_12_GLOBAL__N_130modified_bessel_i0_kernel_cudaERNS_18TensorIteratorBaseEENKUlvE_clEvENKUlvE0_clEvEUlfE_St5arrayIPcLm2EELi4E23TrivialOffsetCalculatorILi1EjESC_NS0_6memory15LoadWithoutCastENSD_16StoreWithoutCastEEEviT_T0_T2_T3_T4_T5_.has_recursion, or(0, .L_ZN2at6native25elementwise_kernel_helperILb0EZZZNS0_12_GLOBAL__N_130modified_bessel_i0_kernel_cudaERNS_18TensorIteratorBaseEENKUlvE_clEvENKUlvE0_clEvEUlfE_NS0_6memory8policies11unroll_baseILi256ESt5arrayIPcLm2EE23TrivialOffsetCalculatorILi1EjESF_NS8_15LoadWithoutCastENS8_16StoreWithoutCastELi4ELi1EEEEEvT0_T1_.has_recursion)
	.set _ZN2at6native27unrolled_elementwise_kernelIZZZNS0_12_GLOBAL__N_130modified_bessel_i0_kernel_cudaERNS_18TensorIteratorBaseEENKUlvE_clEvENKUlvE0_clEvEUlfE_St5arrayIPcLm2EELi4E23TrivialOffsetCalculatorILi1EjESC_NS0_6memory15LoadWithoutCastENSD_16StoreWithoutCastEEEviT_T0_T2_T3_T4_T5_.has_indirect_call, or(0, .L_ZN2at6native25elementwise_kernel_helperILb0EZZZNS0_12_GLOBAL__N_130modified_bessel_i0_kernel_cudaERNS_18TensorIteratorBaseEENKUlvE_clEvENKUlvE0_clEvEUlfE_NS0_6memory8policies11unroll_baseILi256ESt5arrayIPcLm2EE23TrivialOffsetCalculatorILi1EjESF_NS8_15LoadWithoutCastENS8_16StoreWithoutCastELi4ELi1EEEEEvT0_T1_.has_indirect_call)
	.section	.AMDGPU.csdata,"",@progbits
; Kernel info:
; codeLenInByte = 124
; TotalNumSgprs: 35
; NumVgprs: 32
; ScratchSize: 0
; MemoryBound: 0
; FloatMode: 240
; IeeeMode: 1
; LDSByteSize: 0 bytes/workgroup (compile time only)
; SGPRBlocks: 0
; VGPRBlocks: 1
; NumSGPRsForWavesPerEU: 35
; NumVGPRsForWavesPerEU: 32
; NamedBarCnt: 0
; Occupancy: 16
; WaveLimiterHint : 0
; COMPUTE_PGM_RSRC2:SCRATCH_EN: 0
; COMPUTE_PGM_RSRC2:USER_SGPR: 2
; COMPUTE_PGM_RSRC2:TRAP_HANDLER: 0
; COMPUTE_PGM_RSRC2:TGID_X_EN: 1
; COMPUTE_PGM_RSRC2:TGID_Y_EN: 0
; COMPUTE_PGM_RSRC2:TGID_Z_EN: 0
; COMPUTE_PGM_RSRC2:TIDIG_COMP_CNT: 0
	.section	.text._ZN2at6native32elementwise_kernel_manual_unrollILi128ELi4EZNS0_22gpu_kernel_impl_nocastIZZZNS0_12_GLOBAL__N_130modified_bessel_i0_kernel_cudaERNS_18TensorIteratorBaseEENKUlvE_clEvENKUlvE0_clEvEUlfE_EEvS5_RKT_EUlibE_EEviT1_,"axG",@progbits,_ZN2at6native32elementwise_kernel_manual_unrollILi128ELi4EZNS0_22gpu_kernel_impl_nocastIZZZNS0_12_GLOBAL__N_130modified_bessel_i0_kernel_cudaERNS_18TensorIteratorBaseEENKUlvE_clEvENKUlvE0_clEvEUlfE_EEvS5_RKT_EUlibE_EEviT1_,comdat
	.globl	_ZN2at6native32elementwise_kernel_manual_unrollILi128ELi4EZNS0_22gpu_kernel_impl_nocastIZZZNS0_12_GLOBAL__N_130modified_bessel_i0_kernel_cudaERNS_18TensorIteratorBaseEENKUlvE_clEvENKUlvE0_clEvEUlfE_EEvS5_RKT_EUlibE_EEviT1_ ; -- Begin function _ZN2at6native32elementwise_kernel_manual_unrollILi128ELi4EZNS0_22gpu_kernel_impl_nocastIZZZNS0_12_GLOBAL__N_130modified_bessel_i0_kernel_cudaERNS_18TensorIteratorBaseEENKUlvE_clEvENKUlvE0_clEvEUlfE_EEvS5_RKT_EUlibE_EEviT1_
	.p2align	8
	.type	_ZN2at6native32elementwise_kernel_manual_unrollILi128ELi4EZNS0_22gpu_kernel_impl_nocastIZZZNS0_12_GLOBAL__N_130modified_bessel_i0_kernel_cudaERNS_18TensorIteratorBaseEENKUlvE_clEvENKUlvE0_clEvEUlfE_EEvS5_RKT_EUlibE_EEviT1_,@function
_ZN2at6native32elementwise_kernel_manual_unrollILi128ELi4EZNS0_22gpu_kernel_impl_nocastIZZZNS0_12_GLOBAL__N_130modified_bessel_i0_kernel_cudaERNS_18TensorIteratorBaseEENKUlvE_clEvENKUlvE0_clEvEUlfE_EEvS5_RKT_EUlibE_EEviT1_: ; @_ZN2at6native32elementwise_kernel_manual_unrollILi128ELi4EZNS0_22gpu_kernel_impl_nocastIZZZNS0_12_GLOBAL__N_130modified_bessel_i0_kernel_cudaERNS_18TensorIteratorBaseEENKUlvE_clEvENKUlvE0_clEvEUlfE_EEvS5_RKT_EUlibE_EEviT1_
; %bb.0:
	s_clause 0x1
	s_load_b32 s28, s[0:1], 0x8
	s_load_b32 s34, s[0:1], 0x0
	s_bfe_u32 s2, ttmp6, 0x4000c
	s_and_b32 s3, ttmp6, 15
	s_add_co_i32 s2, s2, 1
	s_getreg_b32 s4, hwreg(HW_REG_IB_STS2, 6, 4)
	s_mul_i32 s2, ttmp9, s2
	s_mov_b32 s17, 0
	s_add_co_i32 s3, s3, s2
	s_cmp_eq_u32 s4, 0
	s_cselect_b32 s2, ttmp9, s3
	s_delay_alu instid0(SALU_CYCLE_1) | instskip(SKIP_3) | instid1(VALU_DEP_1)
	v_lshl_or_b32 v0, s2, 9, v0
	s_add_nc_u64 s[2:3], s[0:1], 8
	s_wait_xcnt 0x0
	s_mov_b32 s0, exec_lo
	v_or_b32_e32 v8, 0x180, v0
	s_wait_kmcnt 0x0
	s_add_co_i32 s29, s28, -1
	s_delay_alu instid0(SALU_CYCLE_1)
	s_cmp_gt_u32 s29, 1
	s_cselect_b32 s30, -1, 0
	v_cmpx_le_i32_e64 s34, v8
	s_xor_b32 s31, exec_lo, s0
	s_cbranch_execz .LBB16_7
; %bb.1:
	s_clause 0x3
	s_load_b128 s[8:11], s[2:3], 0x4
	s_load_b64 s[0:1], s[2:3], 0x14
	s_load_b128 s[12:15], s[2:3], 0xc4
	s_load_b128 s[4:7], s[2:3], 0x148
	s_cmp_lg_u32 s28, 0
	s_add_nc_u64 s[20:21], s[2:3], 0xc4
	s_cselect_b32 s36, -1, 0
	s_min_u32 s35, s29, 15
	s_cmp_gt_u32 s28, 1
	s_mov_b32 s19, s17
	s_cselect_b32 s33, -1, 0
	s_wait_kmcnt 0x0
	s_mov_b32 s16, s9
	s_mov_b32 s18, s0
	s_mov_b32 s9, exec_lo
	v_cmpx_gt_i32_e64 s34, v0
	s_cbranch_execz .LBB16_14
; %bb.2:
	s_and_not1_b32 vcc_lo, exec_lo, s30
	s_cbranch_vccnz .LBB16_21
; %bb.3:
	s_and_not1_b32 vcc_lo, exec_lo, s36
	s_cbranch_vccnz .LBB16_89
; %bb.4:
	s_add_co_i32 s0, s35, 1
	s_cmp_eq_u32 s29, 2
	s_cbranch_scc1 .LBB16_91
; %bb.5:
	v_dual_mov_b32 v2, 0 :: v_dual_mov_b32 v3, 0
	v_mov_b32_e32 v1, v0
	s_and_b32 s22, s0, 28
	s_mov_b32 s23, 0
	s_mov_b64 s[24:25], s[2:3]
	s_mov_b64 s[26:27], s[20:21]
.LBB16_6:                               ; =>This Inner Loop Header: Depth=1
	s_clause 0x1
	s_load_b256 s[40:47], s[24:25], 0x4
	s_load_b128 s[56:59], s[24:25], 0x24
	s_load_b256 s[48:55], s[26:27], 0x0
	s_add_co_i32 s23, s23, 4
	s_wait_xcnt 0x0
	s_add_nc_u64 s[24:25], s[24:25], 48
	s_cmp_lg_u32 s22, s23
	s_add_nc_u64 s[26:27], s[26:27], 32
	s_wait_kmcnt 0x0
	v_mul_hi_u32 v4, s41, v1
	s_delay_alu instid0(VALU_DEP_1) | instskip(NEXT) | instid1(VALU_DEP_1)
	v_add_nc_u32_e32 v4, v1, v4
	v_lshrrev_b32_e32 v4, s42, v4
	s_delay_alu instid0(VALU_DEP_1) | instskip(NEXT) | instid1(VALU_DEP_1)
	v_mul_hi_u32 v5, s44, v4
	v_add_nc_u32_e32 v5, v4, v5
	s_delay_alu instid0(VALU_DEP_1) | instskip(NEXT) | instid1(VALU_DEP_1)
	v_lshrrev_b32_e32 v5, s45, v5
	v_mul_hi_u32 v6, s47, v5
	s_delay_alu instid0(VALU_DEP_1) | instskip(SKIP_1) | instid1(VALU_DEP_1)
	v_add_nc_u32_e32 v6, v5, v6
	v_mul_lo_u32 v7, v4, s40
	v_sub_nc_u32_e32 v1, v1, v7
	v_mul_lo_u32 v7, v5, s43
	s_delay_alu instid0(VALU_DEP_4) | instskip(NEXT) | instid1(VALU_DEP_3)
	v_lshrrev_b32_e32 v6, s56, v6
	v_mad_u32 v3, v1, s49, v3
	v_mad_u32 v1, v1, s48, v2
	s_delay_alu instid0(VALU_DEP_4) | instskip(NEXT) | instid1(VALU_DEP_4)
	v_sub_nc_u32_e32 v2, v4, v7
	v_mul_hi_u32 v8, s58, v6
	v_mul_lo_u32 v4, v6, s46
	s_delay_alu instid0(VALU_DEP_3) | instskip(SKIP_1) | instid1(VALU_DEP_4)
	v_mad_u32 v3, v2, s51, v3
	v_mad_u32 v2, v2, s50, v1
	v_add_nc_u32_e32 v7, v6, v8
	s_delay_alu instid0(VALU_DEP_1) | instskip(NEXT) | instid1(VALU_DEP_1)
	v_dual_sub_nc_u32 v4, v5, v4 :: v_dual_lshrrev_b32 v1, s59, v7
	v_mad_u32 v3, v4, s53, v3
	s_delay_alu instid0(VALU_DEP_4) | instskip(NEXT) | instid1(VALU_DEP_3)
	v_mad_u32 v2, v4, s52, v2
	v_mul_lo_u32 v5, v1, s57
	s_delay_alu instid0(VALU_DEP_1) | instskip(NEXT) | instid1(VALU_DEP_1)
	v_sub_nc_u32_e32 v4, v6, v5
	v_mad_u32 v3, v4, s55, v3
	s_delay_alu instid0(VALU_DEP_4)
	v_mad_u32 v2, v4, s54, v2
	s_cbranch_scc1 .LBB16_6
	s_branch .LBB16_92
.LBB16_7:
	s_and_not1_saveexec_b32 s0, s31
	s_cbranch_execz .LBB16_125
.LBB16_8:
	v_cndmask_b32_e64 v6, 0, 1, s30
	s_and_not1_b32 vcc_lo, exec_lo, s30
	s_cbranch_vccnz .LBB16_20
; %bb.9:
	s_cmp_lg_u32 s28, 0
	s_mov_b32 s8, 0
	s_cbranch_scc0 .LBB16_23
; %bb.10:
	s_min_u32 s1, s29, 15
	s_delay_alu instid0(SALU_CYCLE_1)
	s_add_co_i32 s1, s1, 1
	s_cmp_eq_u32 s29, 2
	s_cbranch_scc1 .LBB16_24
; %bb.11:
	v_dual_mov_b32 v2, 0 :: v_dual_mov_b32 v3, 0
	v_mov_b32_e32 v1, v0
	s_and_b32 s0, s1, 28
	s_add_nc_u64 s[4:5], s[2:3], 0xc4
	s_mov_b32 s9, 0
	s_mov_b64 s[6:7], s[2:3]
.LBB16_12:                              ; =>This Inner Loop Header: Depth=1
	s_clause 0x1
	s_load_b256 s[12:19], s[6:7], 0x4
	s_load_b128 s[36:39], s[6:7], 0x24
	s_load_b256 s[20:27], s[4:5], 0x0
	s_add_co_i32 s9, s9, 4
	s_wait_xcnt 0x0
	s_add_nc_u64 s[6:7], s[6:7], 48
	s_cmp_lg_u32 s0, s9
	s_add_nc_u64 s[4:5], s[4:5], 32
	s_wait_kmcnt 0x0
	v_mul_hi_u32 v4, s13, v1
	s_delay_alu instid0(VALU_DEP_1) | instskip(NEXT) | instid1(VALU_DEP_1)
	v_add_nc_u32_e32 v4, v1, v4
	v_lshrrev_b32_e32 v4, s14, v4
	s_delay_alu instid0(VALU_DEP_1) | instskip(NEXT) | instid1(VALU_DEP_1)
	v_mul_hi_u32 v5, s16, v4
	v_add_nc_u32_e32 v5, v4, v5
	s_delay_alu instid0(VALU_DEP_1) | instskip(NEXT) | instid1(VALU_DEP_1)
	v_lshrrev_b32_e32 v5, s17, v5
	v_mul_hi_u32 v7, s19, v5
	s_delay_alu instid0(VALU_DEP_1) | instskip(SKIP_1) | instid1(VALU_DEP_2)
	v_add_nc_u32_e32 v7, v5, v7
	v_mul_lo_u32 v9, v4, s12
	v_lshrrev_b32_e32 v7, s36, v7
	s_delay_alu instid0(VALU_DEP_1) | instskip(NEXT) | instid1(VALU_DEP_3)
	v_mul_hi_u32 v10, s38, v7
	v_sub_nc_u32_e32 v1, v1, v9
	v_mul_lo_u32 v9, v5, s15
	s_delay_alu instid0(VALU_DEP_2) | instskip(SKIP_1) | instid1(VALU_DEP_3)
	v_mad_u32 v3, v1, s21, v3
	v_mad_u32 v1, v1, s20, v2
	v_sub_nc_u32_e32 v2, v4, v9
	v_mul_lo_u32 v4, v7, s18
	v_add_nc_u32_e32 v9, v7, v10
	s_delay_alu instid0(VALU_DEP_3) | instskip(SKIP_1) | instid1(VALU_DEP_3)
	v_mad_u32 v3, v2, s23, v3
	v_mad_u32 v2, v2, s22, v1
	v_dual_sub_nc_u32 v4, v5, v4 :: v_dual_lshrrev_b32 v1, s39, v9
	s_delay_alu instid0(VALU_DEP_1) | instskip(NEXT) | instid1(VALU_DEP_2)
	v_mad_u32 v3, v4, s25, v3
	v_mul_lo_u32 v5, v1, s37
	s_delay_alu instid0(VALU_DEP_4) | instskip(NEXT) | instid1(VALU_DEP_2)
	v_mad_u32 v2, v4, s24, v2
	v_sub_nc_u32_e32 v4, v7, v5
	s_delay_alu instid0(VALU_DEP_1) | instskip(NEXT) | instid1(VALU_DEP_3)
	v_mad_u32 v3, v4, s27, v3
	v_mad_u32 v2, v4, s26, v2
	s_cbranch_scc1 .LBB16_12
; %bb.13:
	s_and_b32 s6, s1, 3
	s_mov_b32 s1, 0
	s_cmp_eq_u32 s6, 0
	s_cbranch_scc0 .LBB16_25
	s_branch .LBB16_27
.LBB16_14:
	s_or_b32 exec_lo, exec_lo, s9
	s_delay_alu instid0(SALU_CYCLE_1)
	s_mov_b32 s9, exec_lo
	v_cmpx_gt_i32_e64 s34, v0
	s_cbranch_execz .LBB16_103
.LBB16_15:
	s_and_not1_b32 vcc_lo, exec_lo, s30
	s_cbranch_vccnz .LBB16_22
; %bb.16:
	s_and_not1_b32 vcc_lo, exec_lo, s36
	s_cbranch_vccnz .LBB16_90
; %bb.17:
	s_add_co_i32 s0, s35, 1
	s_cmp_eq_u32 s29, 2
	s_cbranch_scc1 .LBB16_111
; %bb.18:
	v_dual_mov_b32 v2, 0 :: v_dual_mov_b32 v3, 0
	v_mov_b32_e32 v1, v0
	s_and_b32 s22, s0, 28
	s_mov_b32 s23, 0
	s_mov_b64 s[24:25], s[2:3]
	s_mov_b64 s[26:27], s[20:21]
.LBB16_19:                              ; =>This Inner Loop Header: Depth=1
	s_clause 0x1
	s_load_b256 s[40:47], s[24:25], 0x4
	s_load_b128 s[56:59], s[24:25], 0x24
	s_load_b256 s[48:55], s[26:27], 0x0
	s_add_co_i32 s23, s23, 4
	s_wait_xcnt 0x0
	s_add_nc_u64 s[24:25], s[24:25], 48
	s_cmp_eq_u32 s22, s23
	s_add_nc_u64 s[26:27], s[26:27], 32
	s_wait_kmcnt 0x0
	v_mul_hi_u32 v4, s41, v1
	s_delay_alu instid0(VALU_DEP_1) | instskip(NEXT) | instid1(VALU_DEP_1)
	v_add_nc_u32_e32 v4, v1, v4
	v_lshrrev_b32_e32 v4, s42, v4
	s_delay_alu instid0(VALU_DEP_1) | instskip(NEXT) | instid1(VALU_DEP_1)
	v_mul_hi_u32 v5, s44, v4
	v_add_nc_u32_e32 v5, v4, v5
	s_delay_alu instid0(VALU_DEP_1) | instskip(NEXT) | instid1(VALU_DEP_1)
	v_lshrrev_b32_e32 v5, s45, v5
	v_mul_hi_u32 v6, s47, v5
	s_delay_alu instid0(VALU_DEP_1) | instskip(SKIP_1) | instid1(VALU_DEP_1)
	v_add_nc_u32_e32 v6, v5, v6
	v_mul_lo_u32 v7, v4, s40
	v_sub_nc_u32_e32 v1, v1, v7
	v_mul_lo_u32 v7, v5, s43
	s_delay_alu instid0(VALU_DEP_4) | instskip(NEXT) | instid1(VALU_DEP_3)
	v_lshrrev_b32_e32 v6, s56, v6
	v_mad_u32 v3, v1, s49, v3
	v_mad_u32 v1, v1, s48, v2
	s_delay_alu instid0(VALU_DEP_4) | instskip(NEXT) | instid1(VALU_DEP_4)
	v_sub_nc_u32_e32 v2, v4, v7
	v_mul_hi_u32 v8, s58, v6
	v_mul_lo_u32 v4, v6, s46
	s_delay_alu instid0(VALU_DEP_3) | instskip(SKIP_1) | instid1(VALU_DEP_4)
	v_mad_u32 v3, v2, s51, v3
	v_mad_u32 v2, v2, s50, v1
	v_add_nc_u32_e32 v7, v6, v8
	s_delay_alu instid0(VALU_DEP_1) | instskip(NEXT) | instid1(VALU_DEP_1)
	v_dual_sub_nc_u32 v4, v5, v4 :: v_dual_lshrrev_b32 v1, s59, v7
	v_mad_u32 v3, v4, s53, v3
	s_delay_alu instid0(VALU_DEP_4) | instskip(NEXT) | instid1(VALU_DEP_3)
	v_mad_u32 v2, v4, s52, v2
	v_mul_lo_u32 v5, v1, s57
	s_delay_alu instid0(VALU_DEP_1) | instskip(NEXT) | instid1(VALU_DEP_1)
	v_sub_nc_u32_e32 v4, v6, v5
	v_mad_u32 v3, v4, s55, v3
	s_delay_alu instid0(VALU_DEP_4)
	v_mad_u32 v2, v4, s54, v2
	s_cbranch_scc0 .LBB16_19
	s_branch .LBB16_112
.LBB16_20:
	s_mov_b32 s8, -1
                                        ; implicit-def: $vgpr3
	s_branch .LBB16_27
.LBB16_21:
                                        ; implicit-def: $vgpr3
	s_branch .LBB16_96
.LBB16_22:
                                        ; implicit-def: $vgpr3
	s_branch .LBB16_116
.LBB16_23:
	v_dual_mov_b32 v3, 0 :: v_dual_mov_b32 v2, 0
	s_branch .LBB16_27
.LBB16_24:
	v_mov_b64_e32 v[2:3], 0
	v_mov_b32_e32 v1, v0
	s_mov_b32 s0, 0
	s_and_b32 s6, s1, 3
	s_mov_b32 s1, 0
	s_cmp_eq_u32 s6, 0
	s_cbranch_scc1 .LBB16_27
.LBB16_25:
	s_lshl_b32 s4, s0, 3
	s_mov_b32 s5, s1
	s_mul_u64 s[10:11], s[0:1], 12
	s_add_nc_u64 s[4:5], s[2:3], s[4:5]
	s_delay_alu instid0(SALU_CYCLE_1)
	s_add_nc_u64 s[0:1], s[4:5], 0xc4
	s_add_nc_u64 s[4:5], s[2:3], s[10:11]
.LBB16_26:                              ; =>This Inner Loop Header: Depth=1
	s_load_b96 s[12:14], s[4:5], 0x4
	s_load_b64 s[10:11], s[0:1], 0x0
	s_add_co_i32 s6, s6, -1
	s_wait_xcnt 0x0
	s_add_nc_u64 s[4:5], s[4:5], 12
	s_cmp_lg_u32 s6, 0
	s_add_nc_u64 s[0:1], s[0:1], 8
	s_wait_kmcnt 0x0
	v_mul_hi_u32 v4, s13, v1
	s_delay_alu instid0(VALU_DEP_1) | instskip(NEXT) | instid1(VALU_DEP_1)
	v_add_nc_u32_e32 v4, v1, v4
	v_lshrrev_b32_e32 v4, s14, v4
	s_delay_alu instid0(VALU_DEP_1) | instskip(NEXT) | instid1(VALU_DEP_1)
	v_mul_lo_u32 v5, v4, s12
	v_sub_nc_u32_e32 v1, v1, v5
	s_delay_alu instid0(VALU_DEP_1)
	v_mad_u32 v3, v1, s11, v3
	v_mad_u32 v2, v1, s10, v2
	v_mov_b32_e32 v1, v4
	s_cbranch_scc1 .LBB16_26
.LBB16_27:
	s_and_not1_b32 vcc_lo, exec_lo, s8
	s_cbranch_vccnz .LBB16_30
; %bb.28:
	s_clause 0x1
	s_load_b96 s[4:6], s[2:3], 0x4
	s_load_b64 s[0:1], s[2:3], 0xc4
	s_cmp_lt_u32 s28, 2
	s_wait_kmcnt 0x0
	v_mul_hi_u32 v1, s5, v0
	s_delay_alu instid0(VALU_DEP_1) | instskip(NEXT) | instid1(VALU_DEP_1)
	v_add_nc_u32_e32 v1, v0, v1
	v_lshrrev_b32_e32 v1, s6, v1
	s_delay_alu instid0(VALU_DEP_1) | instskip(NEXT) | instid1(VALU_DEP_1)
	v_mul_lo_u32 v2, v1, s4
	v_sub_nc_u32_e32 v2, v0, v2
	s_delay_alu instid0(VALU_DEP_1)
	v_mul_lo_u32 v3, v2, s1
	v_mul_lo_u32 v2, v2, s0
	s_cbranch_scc1 .LBB16_30
; %bb.29:
	s_clause 0x1
	s_load_b96 s[4:6], s[2:3], 0x10
	s_load_b64 s[0:1], s[2:3], 0xcc
	s_wait_kmcnt 0x0
	v_mul_hi_u32 v4, s5, v1
	s_delay_alu instid0(VALU_DEP_1) | instskip(NEXT) | instid1(VALU_DEP_1)
	v_add_nc_u32_e32 v4, v1, v4
	v_lshrrev_b32_e32 v4, s6, v4
	s_delay_alu instid0(VALU_DEP_1) | instskip(NEXT) | instid1(VALU_DEP_1)
	v_mul_lo_u32 v4, v4, s4
	v_sub_nc_u32_e32 v1, v1, v4
	s_delay_alu instid0(VALU_DEP_1)
	v_mad_u32 v2, v1, s0, v2
	v_mad_u32 v3, v1, s1, v3
.LBB16_30:
	v_cmp_ne_u32_e32 vcc_lo, 1, v6
	v_add_nc_u32_e32 v1, 0x80, v0
	s_cbranch_vccnz .LBB16_36
; %bb.31:
	s_cmp_lg_u32 s28, 0
	s_mov_b32 s8, 0
	s_cbranch_scc0 .LBB16_37
; %bb.32:
	s_min_u32 s1, s29, 15
	s_delay_alu instid0(SALU_CYCLE_1)
	s_add_co_i32 s1, s1, 1
	s_cmp_eq_u32 s29, 2
	s_cbranch_scc1 .LBB16_38
; %bb.33:
	v_dual_mov_b32 v4, 0 :: v_dual_mov_b32 v5, 0
	v_mov_b32_e32 v7, v1
	s_and_b32 s0, s1, 28
	s_add_nc_u64 s[4:5], s[2:3], 0xc4
	s_mov_b32 s9, 0
	s_mov_b64 s[6:7], s[2:3]
.LBB16_34:                              ; =>This Inner Loop Header: Depth=1
	s_clause 0x1
	s_load_b256 s[12:19], s[6:7], 0x4
	s_load_b128 s[36:39], s[6:7], 0x24
	s_load_b256 s[20:27], s[4:5], 0x0
	s_add_co_i32 s9, s9, 4
	s_wait_xcnt 0x0
	s_add_nc_u64 s[6:7], s[6:7], 48
	s_cmp_lg_u32 s0, s9
	s_add_nc_u64 s[4:5], s[4:5], 32
	s_wait_kmcnt 0x0
	v_mul_hi_u32 v9, s13, v7
	s_delay_alu instid0(VALU_DEP_1) | instskip(NEXT) | instid1(VALU_DEP_1)
	v_add_nc_u32_e32 v9, v7, v9
	v_lshrrev_b32_e32 v9, s14, v9
	s_delay_alu instid0(VALU_DEP_1) | instskip(NEXT) | instid1(VALU_DEP_1)
	v_mul_hi_u32 v10, s16, v9
	v_add_nc_u32_e32 v10, v9, v10
	s_delay_alu instid0(VALU_DEP_1) | instskip(NEXT) | instid1(VALU_DEP_1)
	v_lshrrev_b32_e32 v10, s17, v10
	v_mul_hi_u32 v11, s19, v10
	s_delay_alu instid0(VALU_DEP_1) | instskip(SKIP_1) | instid1(VALU_DEP_1)
	v_add_nc_u32_e32 v11, v10, v11
	v_mul_lo_u32 v12, v9, s12
	v_sub_nc_u32_e32 v7, v7, v12
	v_mul_lo_u32 v12, v10, s15
	s_delay_alu instid0(VALU_DEP_4) | instskip(NEXT) | instid1(VALU_DEP_3)
	v_lshrrev_b32_e32 v11, s36, v11
	v_mad_u32 v5, v7, s21, v5
	v_mad_u32 v4, v7, s20, v4
	s_delay_alu instid0(VALU_DEP_4) | instskip(NEXT) | instid1(VALU_DEP_4)
	v_sub_nc_u32_e32 v7, v9, v12
	v_mul_hi_u32 v13, s38, v11
	v_mul_lo_u32 v9, v11, s18
	s_delay_alu instid0(VALU_DEP_3) | instskip(SKIP_1) | instid1(VALU_DEP_4)
	v_mad_u32 v5, v7, s23, v5
	v_mad_u32 v4, v7, s22, v4
	v_add_nc_u32_e32 v12, v11, v13
	s_delay_alu instid0(VALU_DEP_1) | instskip(NEXT) | instid1(VALU_DEP_1)
	v_dual_sub_nc_u32 v9, v10, v9 :: v_dual_lshrrev_b32 v7, s39, v12
	v_mad_u32 v5, v9, s25, v5
	s_delay_alu instid0(VALU_DEP_4) | instskip(NEXT) | instid1(VALU_DEP_3)
	v_mad_u32 v4, v9, s24, v4
	v_mul_lo_u32 v10, v7, s37
	s_delay_alu instid0(VALU_DEP_1) | instskip(NEXT) | instid1(VALU_DEP_1)
	v_sub_nc_u32_e32 v9, v11, v10
	v_mad_u32 v5, v9, s27, v5
	s_delay_alu instid0(VALU_DEP_4)
	v_mad_u32 v4, v9, s26, v4
	s_cbranch_scc1 .LBB16_34
; %bb.35:
	s_and_b32 s6, s1, 3
	s_mov_b32 s1, 0
	s_cmp_eq_u32 s6, 0
	s_cbranch_scc0 .LBB16_39
	s_branch .LBB16_41
.LBB16_36:
	s_mov_b32 s8, -1
                                        ; implicit-def: $vgpr5
	s_branch .LBB16_41
.LBB16_37:
	v_dual_mov_b32 v5, 0 :: v_dual_mov_b32 v4, 0
	s_branch .LBB16_41
.LBB16_38:
	v_mov_b64_e32 v[4:5], 0
	v_mov_b32_e32 v7, v1
	s_mov_b32 s0, 0
	s_and_b32 s6, s1, 3
	s_mov_b32 s1, 0
	s_cmp_eq_u32 s6, 0
	s_cbranch_scc1 .LBB16_41
.LBB16_39:
	s_lshl_b32 s4, s0, 3
	s_mov_b32 s5, s1
	s_mul_u64 s[10:11], s[0:1], 12
	s_add_nc_u64 s[4:5], s[2:3], s[4:5]
	s_delay_alu instid0(SALU_CYCLE_1)
	s_add_nc_u64 s[0:1], s[4:5], 0xc4
	s_add_nc_u64 s[4:5], s[2:3], s[10:11]
.LBB16_40:                              ; =>This Inner Loop Header: Depth=1
	s_load_b96 s[12:14], s[4:5], 0x4
	s_load_b64 s[10:11], s[0:1], 0x0
	s_add_co_i32 s6, s6, -1
	s_wait_xcnt 0x0
	s_add_nc_u64 s[4:5], s[4:5], 12
	s_cmp_lg_u32 s6, 0
	s_add_nc_u64 s[0:1], s[0:1], 8
	s_wait_kmcnt 0x0
	v_mul_hi_u32 v9, s13, v7
	s_delay_alu instid0(VALU_DEP_1) | instskip(NEXT) | instid1(VALU_DEP_1)
	v_add_nc_u32_e32 v9, v7, v9
	v_lshrrev_b32_e32 v9, s14, v9
	s_delay_alu instid0(VALU_DEP_1) | instskip(NEXT) | instid1(VALU_DEP_1)
	v_mul_lo_u32 v10, v9, s12
	v_sub_nc_u32_e32 v7, v7, v10
	s_delay_alu instid0(VALU_DEP_1)
	v_mad_u32 v5, v7, s11, v5
	v_mad_u32 v4, v7, s10, v4
	v_mov_b32_e32 v7, v9
	s_cbranch_scc1 .LBB16_40
.LBB16_41:
	s_and_not1_b32 vcc_lo, exec_lo, s8
	s_cbranch_vccnz .LBB16_44
; %bb.42:
	s_clause 0x1
	s_load_b96 s[4:6], s[2:3], 0x4
	s_load_b64 s[0:1], s[2:3], 0xc4
	s_cmp_lt_u32 s28, 2
	s_wait_kmcnt 0x0
	v_mul_hi_u32 v4, s5, v1
	s_delay_alu instid0(VALU_DEP_1) | instskip(NEXT) | instid1(VALU_DEP_1)
	v_add_nc_u32_e32 v4, v1, v4
	v_lshrrev_b32_e32 v7, s6, v4
	s_delay_alu instid0(VALU_DEP_1) | instskip(NEXT) | instid1(VALU_DEP_1)
	v_mul_lo_u32 v4, v7, s4
	v_sub_nc_u32_e32 v1, v1, v4
	s_delay_alu instid0(VALU_DEP_1)
	v_mul_lo_u32 v5, v1, s1
	v_mul_lo_u32 v4, v1, s0
	s_cbranch_scc1 .LBB16_44
; %bb.43:
	s_clause 0x1
	s_load_b96 s[4:6], s[2:3], 0x10
	s_load_b64 s[0:1], s[2:3], 0xcc
	s_wait_kmcnt 0x0
	v_mul_hi_u32 v1, s5, v7
	s_delay_alu instid0(VALU_DEP_1) | instskip(NEXT) | instid1(VALU_DEP_1)
	v_add_nc_u32_e32 v1, v7, v1
	v_lshrrev_b32_e32 v1, s6, v1
	s_delay_alu instid0(VALU_DEP_1) | instskip(NEXT) | instid1(VALU_DEP_1)
	v_mul_lo_u32 v1, v1, s4
	v_sub_nc_u32_e32 v1, v7, v1
	s_delay_alu instid0(VALU_DEP_1)
	v_mad_u32 v4, v1, s0, v4
	v_mad_u32 v5, v1, s1, v5
.LBB16_44:
	v_cmp_ne_u32_e32 vcc_lo, 1, v6
	v_add_nc_u32_e32 v7, 0x100, v0
	s_cbranch_vccnz .LBB16_50
; %bb.45:
	s_cmp_lg_u32 s28, 0
	s_mov_b32 s8, 0
	s_cbranch_scc0 .LBB16_51
; %bb.46:
	s_min_u32 s1, s29, 15
	s_delay_alu instid0(SALU_CYCLE_1)
	s_add_co_i32 s1, s1, 1
	s_cmp_eq_u32 s29, 2
	s_cbranch_scc1 .LBB16_52
; %bb.47:
	v_dual_mov_b32 v0, 0 :: v_dual_mov_b32 v1, 0
	v_mov_b32_e32 v9, v7
	s_and_b32 s0, s1, 28
	s_add_nc_u64 s[4:5], s[2:3], 0xc4
	s_mov_b32 s9, 0
	s_mov_b64 s[6:7], s[2:3]
.LBB16_48:                              ; =>This Inner Loop Header: Depth=1
	s_clause 0x1
	s_load_b256 s[12:19], s[6:7], 0x4
	s_load_b128 s[36:39], s[6:7], 0x24
	s_load_b256 s[20:27], s[4:5], 0x0
	s_add_co_i32 s9, s9, 4
	s_wait_xcnt 0x0
	s_add_nc_u64 s[6:7], s[6:7], 48
	s_cmp_lg_u32 s0, s9
	s_add_nc_u64 s[4:5], s[4:5], 32
	s_wait_kmcnt 0x0
	v_mul_hi_u32 v10, s13, v9
	s_delay_alu instid0(VALU_DEP_1) | instskip(NEXT) | instid1(VALU_DEP_1)
	v_add_nc_u32_e32 v10, v9, v10
	v_lshrrev_b32_e32 v10, s14, v10
	s_delay_alu instid0(VALU_DEP_1) | instskip(NEXT) | instid1(VALU_DEP_1)
	v_mul_hi_u32 v11, s16, v10
	v_add_nc_u32_e32 v11, v10, v11
	s_delay_alu instid0(VALU_DEP_1) | instskip(NEXT) | instid1(VALU_DEP_1)
	v_lshrrev_b32_e32 v11, s17, v11
	v_mul_hi_u32 v12, s19, v11
	s_delay_alu instid0(VALU_DEP_1) | instskip(SKIP_1) | instid1(VALU_DEP_1)
	v_add_nc_u32_e32 v12, v11, v12
	v_mul_lo_u32 v13, v10, s12
	v_sub_nc_u32_e32 v9, v9, v13
	v_mul_lo_u32 v13, v11, s15
	s_delay_alu instid0(VALU_DEP_4) | instskip(NEXT) | instid1(VALU_DEP_3)
	v_lshrrev_b32_e32 v12, s36, v12
	v_mad_u32 v1, v9, s21, v1
	v_mad_u32 v0, v9, s20, v0
	s_delay_alu instid0(VALU_DEP_4) | instskip(NEXT) | instid1(VALU_DEP_4)
	v_sub_nc_u32_e32 v9, v10, v13
	v_mul_hi_u32 v14, s38, v12
	v_mul_lo_u32 v10, v12, s18
	s_delay_alu instid0(VALU_DEP_3) | instskip(SKIP_1) | instid1(VALU_DEP_4)
	v_mad_u32 v1, v9, s23, v1
	v_mad_u32 v0, v9, s22, v0
	v_add_nc_u32_e32 v13, v12, v14
	s_delay_alu instid0(VALU_DEP_1) | instskip(NEXT) | instid1(VALU_DEP_1)
	v_dual_sub_nc_u32 v10, v11, v10 :: v_dual_lshrrev_b32 v9, s39, v13
	v_mad_u32 v1, v10, s25, v1
	s_delay_alu instid0(VALU_DEP_4) | instskip(NEXT) | instid1(VALU_DEP_3)
	v_mad_u32 v0, v10, s24, v0
	v_mul_lo_u32 v11, v9, s37
	s_delay_alu instid0(VALU_DEP_1) | instskip(NEXT) | instid1(VALU_DEP_1)
	v_sub_nc_u32_e32 v10, v12, v11
	v_mad_u32 v1, v10, s27, v1
	s_delay_alu instid0(VALU_DEP_4)
	v_mad_u32 v0, v10, s26, v0
	s_cbranch_scc1 .LBB16_48
; %bb.49:
	s_and_b32 s6, s1, 3
	s_mov_b32 s1, 0
	s_cmp_eq_u32 s6, 0
	s_cbranch_scc0 .LBB16_53
	s_branch .LBB16_55
.LBB16_50:
	s_mov_b32 s8, -1
                                        ; implicit-def: $vgpr1
	s_branch .LBB16_55
.LBB16_51:
	v_dual_mov_b32 v1, 0 :: v_dual_mov_b32 v0, 0
	s_branch .LBB16_55
.LBB16_52:
	v_mov_b64_e32 v[0:1], 0
	v_mov_b32_e32 v9, v7
	s_mov_b32 s0, 0
	s_and_b32 s6, s1, 3
	s_mov_b32 s1, 0
	s_cmp_eq_u32 s6, 0
	s_cbranch_scc1 .LBB16_55
.LBB16_53:
	s_lshl_b32 s4, s0, 3
	s_mov_b32 s5, s1
	s_mul_u64 s[10:11], s[0:1], 12
	s_add_nc_u64 s[4:5], s[2:3], s[4:5]
	s_delay_alu instid0(SALU_CYCLE_1)
	s_add_nc_u64 s[0:1], s[4:5], 0xc4
	s_add_nc_u64 s[4:5], s[2:3], s[10:11]
.LBB16_54:                              ; =>This Inner Loop Header: Depth=1
	s_load_b96 s[12:14], s[4:5], 0x4
	s_load_b64 s[10:11], s[0:1], 0x0
	s_add_co_i32 s6, s6, -1
	s_wait_xcnt 0x0
	s_add_nc_u64 s[4:5], s[4:5], 12
	s_cmp_lg_u32 s6, 0
	s_add_nc_u64 s[0:1], s[0:1], 8
	s_wait_kmcnt 0x0
	v_mul_hi_u32 v10, s13, v9
	s_delay_alu instid0(VALU_DEP_1) | instskip(NEXT) | instid1(VALU_DEP_1)
	v_add_nc_u32_e32 v10, v9, v10
	v_lshrrev_b32_e32 v10, s14, v10
	s_delay_alu instid0(VALU_DEP_1) | instskip(NEXT) | instid1(VALU_DEP_1)
	v_mul_lo_u32 v11, v10, s12
	v_sub_nc_u32_e32 v9, v9, v11
	s_delay_alu instid0(VALU_DEP_1)
	v_mad_u32 v1, v9, s11, v1
	v_mad_u32 v0, v9, s10, v0
	v_mov_b32_e32 v9, v10
	s_cbranch_scc1 .LBB16_54
.LBB16_55:
	s_and_not1_b32 vcc_lo, exec_lo, s8
	s_cbranch_vccnz .LBB16_58
; %bb.56:
	s_clause 0x1
	s_load_b96 s[4:6], s[2:3], 0x4
	s_load_b64 s[0:1], s[2:3], 0xc4
	s_cmp_lt_u32 s28, 2
	s_wait_kmcnt 0x0
	v_mul_hi_u32 v0, s5, v7
	s_delay_alu instid0(VALU_DEP_1) | instskip(NEXT) | instid1(VALU_DEP_1)
	v_add_nc_u32_e32 v0, v7, v0
	v_lshrrev_b32_e32 v9, s6, v0
	s_delay_alu instid0(VALU_DEP_1) | instskip(NEXT) | instid1(VALU_DEP_1)
	v_mul_lo_u32 v0, v9, s4
	v_sub_nc_u32_e32 v0, v7, v0
	s_delay_alu instid0(VALU_DEP_1)
	v_mul_lo_u32 v1, v0, s1
	v_mul_lo_u32 v0, v0, s0
	s_cbranch_scc1 .LBB16_58
; %bb.57:
	s_clause 0x1
	s_load_b96 s[4:6], s[2:3], 0x10
	s_load_b64 s[0:1], s[2:3], 0xcc
	s_wait_kmcnt 0x0
	v_mul_hi_u32 v7, s5, v9
	s_delay_alu instid0(VALU_DEP_1) | instskip(NEXT) | instid1(VALU_DEP_1)
	v_add_nc_u32_e32 v7, v9, v7
	v_lshrrev_b32_e32 v7, s6, v7
	s_delay_alu instid0(VALU_DEP_1) | instskip(NEXT) | instid1(VALU_DEP_1)
	v_mul_lo_u32 v7, v7, s4
	v_sub_nc_u32_e32 v7, v9, v7
	s_delay_alu instid0(VALU_DEP_1)
	v_mad_u32 v0, v7, s0, v0
	v_mad_u32 v1, v7, s1, v1
.LBB16_58:
	v_cmp_ne_u32_e32 vcc_lo, 1, v6
	s_cbranch_vccnz .LBB16_64
; %bb.59:
	s_cmp_lg_u32 s28, 0
	s_mov_b32 s8, 0
	s_cbranch_scc0 .LBB16_65
; %bb.60:
	s_min_u32 s1, s29, 15
	s_delay_alu instid0(SALU_CYCLE_1)
	s_add_co_i32 s1, s1, 1
	s_cmp_eq_u32 s29, 2
	s_cbranch_scc1 .LBB16_66
; %bb.61:
	v_dual_mov_b32 v6, 0 :: v_dual_mov_b32 v7, 0
	v_mov_b32_e32 v9, v8
	s_and_b32 s0, s1, 28
	s_add_nc_u64 s[4:5], s[2:3], 0xc4
	s_mov_b32 s9, 0
	s_mov_b64 s[6:7], s[2:3]
.LBB16_62:                              ; =>This Inner Loop Header: Depth=1
	s_clause 0x1
	s_load_b256 s[12:19], s[6:7], 0x4
	s_load_b128 s[36:39], s[6:7], 0x24
	s_load_b256 s[20:27], s[4:5], 0x0
	s_add_co_i32 s9, s9, 4
	s_wait_xcnt 0x0
	s_add_nc_u64 s[6:7], s[6:7], 48
	s_cmp_lg_u32 s0, s9
	s_add_nc_u64 s[4:5], s[4:5], 32
	s_wait_kmcnt 0x0
	v_mul_hi_u32 v10, s13, v9
	s_delay_alu instid0(VALU_DEP_1) | instskip(NEXT) | instid1(VALU_DEP_1)
	v_add_nc_u32_e32 v10, v9, v10
	v_lshrrev_b32_e32 v10, s14, v10
	s_delay_alu instid0(VALU_DEP_1) | instskip(NEXT) | instid1(VALU_DEP_1)
	v_mul_hi_u32 v11, s16, v10
	v_add_nc_u32_e32 v11, v10, v11
	s_delay_alu instid0(VALU_DEP_1) | instskip(NEXT) | instid1(VALU_DEP_1)
	v_lshrrev_b32_e32 v11, s17, v11
	v_mul_hi_u32 v12, s19, v11
	s_delay_alu instid0(VALU_DEP_1) | instskip(SKIP_1) | instid1(VALU_DEP_1)
	v_add_nc_u32_e32 v12, v11, v12
	v_mul_lo_u32 v13, v10, s12
	v_sub_nc_u32_e32 v9, v9, v13
	v_mul_lo_u32 v13, v11, s15
	s_delay_alu instid0(VALU_DEP_4) | instskip(NEXT) | instid1(VALU_DEP_3)
	v_lshrrev_b32_e32 v12, s36, v12
	v_mad_u32 v7, v9, s21, v7
	v_mad_u32 v6, v9, s20, v6
	s_delay_alu instid0(VALU_DEP_4) | instskip(NEXT) | instid1(VALU_DEP_4)
	v_sub_nc_u32_e32 v9, v10, v13
	v_mul_hi_u32 v14, s38, v12
	v_mul_lo_u32 v10, v12, s18
	s_delay_alu instid0(VALU_DEP_3) | instskip(SKIP_1) | instid1(VALU_DEP_4)
	v_mad_u32 v7, v9, s23, v7
	v_mad_u32 v6, v9, s22, v6
	v_add_nc_u32_e32 v13, v12, v14
	s_delay_alu instid0(VALU_DEP_1) | instskip(NEXT) | instid1(VALU_DEP_1)
	v_dual_sub_nc_u32 v10, v11, v10 :: v_dual_lshrrev_b32 v9, s39, v13
	v_mad_u32 v7, v10, s25, v7
	s_delay_alu instid0(VALU_DEP_4) | instskip(NEXT) | instid1(VALU_DEP_3)
	v_mad_u32 v6, v10, s24, v6
	v_mul_lo_u32 v11, v9, s37
	s_delay_alu instid0(VALU_DEP_1) | instskip(NEXT) | instid1(VALU_DEP_1)
	v_sub_nc_u32_e32 v10, v12, v11
	v_mad_u32 v7, v10, s27, v7
	s_delay_alu instid0(VALU_DEP_4)
	v_mad_u32 v6, v10, s26, v6
	s_cbranch_scc1 .LBB16_62
; %bb.63:
	s_and_b32 s6, s1, 3
	s_mov_b32 s1, 0
	s_cmp_eq_u32 s6, 0
	s_cbranch_scc0 .LBB16_67
	s_branch .LBB16_69
.LBB16_64:
	s_mov_b32 s8, -1
                                        ; implicit-def: $vgpr7
	s_branch .LBB16_69
.LBB16_65:
	v_dual_mov_b32 v7, 0 :: v_dual_mov_b32 v6, 0
	s_branch .LBB16_69
.LBB16_66:
	v_mov_b64_e32 v[6:7], 0
	v_mov_b32_e32 v9, v8
	s_mov_b32 s0, 0
	s_and_b32 s6, s1, 3
	s_mov_b32 s1, 0
	s_cmp_eq_u32 s6, 0
	s_cbranch_scc1 .LBB16_69
.LBB16_67:
	s_lshl_b32 s4, s0, 3
	s_mov_b32 s5, s1
	s_mul_u64 s[10:11], s[0:1], 12
	s_add_nc_u64 s[4:5], s[2:3], s[4:5]
	s_delay_alu instid0(SALU_CYCLE_1)
	s_add_nc_u64 s[0:1], s[4:5], 0xc4
	s_add_nc_u64 s[4:5], s[2:3], s[10:11]
.LBB16_68:                              ; =>This Inner Loop Header: Depth=1
	s_load_b96 s[12:14], s[4:5], 0x4
	s_load_b64 s[10:11], s[0:1], 0x0
	s_add_co_i32 s6, s6, -1
	s_wait_xcnt 0x0
	s_add_nc_u64 s[4:5], s[4:5], 12
	s_cmp_lg_u32 s6, 0
	s_add_nc_u64 s[0:1], s[0:1], 8
	s_wait_kmcnt 0x0
	v_mul_hi_u32 v10, s13, v9
	s_delay_alu instid0(VALU_DEP_1) | instskip(NEXT) | instid1(VALU_DEP_1)
	v_add_nc_u32_e32 v10, v9, v10
	v_lshrrev_b32_e32 v10, s14, v10
	s_delay_alu instid0(VALU_DEP_1) | instskip(NEXT) | instid1(VALU_DEP_1)
	v_mul_lo_u32 v11, v10, s12
	v_sub_nc_u32_e32 v9, v9, v11
	s_delay_alu instid0(VALU_DEP_1)
	v_mad_u32 v7, v9, s11, v7
	v_mad_u32 v6, v9, s10, v6
	v_mov_b32_e32 v9, v10
	s_cbranch_scc1 .LBB16_68
.LBB16_69:
	s_and_not1_b32 vcc_lo, exec_lo, s8
	s_cbranch_vccnz .LBB16_72
; %bb.70:
	s_clause 0x1
	s_load_b96 s[4:6], s[2:3], 0x4
	s_load_b64 s[0:1], s[2:3], 0xc4
	s_cmp_lt_u32 s28, 2
	s_wait_kmcnt 0x0
	v_mul_hi_u32 v6, s5, v8
	s_delay_alu instid0(VALU_DEP_1) | instskip(NEXT) | instid1(VALU_DEP_1)
	v_add_nc_u32_e32 v6, v8, v6
	v_lshrrev_b32_e32 v9, s6, v6
	s_delay_alu instid0(VALU_DEP_1) | instskip(NEXT) | instid1(VALU_DEP_1)
	v_mul_lo_u32 v6, v9, s4
	v_sub_nc_u32_e32 v6, v8, v6
	s_delay_alu instid0(VALU_DEP_1)
	v_mul_lo_u32 v7, v6, s1
	v_mul_lo_u32 v6, v6, s0
	s_cbranch_scc1 .LBB16_72
; %bb.71:
	s_clause 0x1
	s_load_b96 s[4:6], s[2:3], 0x10
	s_load_b64 s[0:1], s[2:3], 0xcc
	s_wait_kmcnt 0x0
	v_mul_hi_u32 v8, s5, v9
	s_delay_alu instid0(VALU_DEP_1) | instskip(NEXT) | instid1(VALU_DEP_1)
	v_add_nc_u32_e32 v8, v9, v8
	v_lshrrev_b32_e32 v8, s6, v8
	s_delay_alu instid0(VALU_DEP_1) | instskip(NEXT) | instid1(VALU_DEP_1)
	v_mul_lo_u32 v8, v8, s4
	v_sub_nc_u32_e32 v8, v9, v8
	s_delay_alu instid0(VALU_DEP_1)
	v_mad_u32 v6, v8, s0, v6
	v_mad_u32 v7, v8, s1, v7
.LBB16_72:
	s_load_b128 s[4:7], s[2:3], 0x148
	s_wait_kmcnt 0x0
	global_load_b32 v8, v3, s[6:7]
                                        ; implicit-def: $vgpr3
	s_wait_loadcnt 0x0
	v_cmp_ge_f32_e64 s0, 0x41000000, |v8|
	s_wait_xcnt 0x0
	s_and_saveexec_b32 s1, s0
	s_delay_alu instid0(SALU_CYCLE_1)
	s_xor_b32 s0, exec_lo, s1
	s_cbranch_execz .LBB16_74
; %bb.73:
	v_fma_f32 v3, |v8|, 0.5, -2.0
	s_mov_b32 s1, 0xa2a2e5b9
	v_mul_f32_e64 v11, 0x3fb8aa3b, |v8|
	v_cmp_ngt_f32_e64 vcc_lo, 0xc2ce8ed0, |v8|
	s_delay_alu instid0(VALU_DEP_3) | instskip(NEXT) | instid1(VALU_DEP_3)
	v_fmaak_f32 v9, s1, v3, 0x24199b15
	v_rndne_f32_e32 v12, v11
	v_fma_f32 v13, 0x3fb8aa3b, |v8|, -v11
	s_delay_alu instid0(VALU_DEP_3) | instskip(NEXT) | instid1(VALU_DEP_3)
	v_fmaak_f32 v10, v3, v9, 0x22a2e5b9
	v_sub_f32_e32 v11, v11, v12
	s_delay_alu instid0(VALU_DEP_3) | instskip(SKIP_1) | instid1(VALU_DEP_2)
	v_fma_f32 v13, 0x32a5705f, |v8|, v13
	v_cvt_i32_f32_e32 v12, v12
	v_dual_add_f32 v10, 0xa58c275c, v10 :: v_dual_add_f32 v11, v11, v13
	s_delay_alu instid0(VALU_DEP_1) | instskip(NEXT) | instid1(VALU_DEP_2)
	v_fma_f32 v9, v3, v10, -v9
	v_exp_f32_e32 v11, v11
	s_delay_alu instid0(VALU_DEP_1) | instskip(NEXT) | instid1(VALU_DEP_1)
	v_add_f32_e32 v9, 0x26f736c5, v9
	v_fma_f32 v10, v3, v9, -v10
	s_delay_alu instid0(VALU_DEP_1) | instskip(NEXT) | instid1(VALU_DEP_1)
	v_add_f32_e32 v10, 0xa8528116, v10
	v_fma_f32 v9, v3, v10, -v9
	;; [unrolled: 3-line block ×26, first 2 shown]
	v_ldexp_f32 v10, v11, v12
	s_delay_alu instid0(VALU_DEP_1) | instskip(SKIP_1) | instid1(VALU_DEP_2)
	v_dual_add_f32 v3, 0x3f2d4275, v3 :: v_dual_cndmask_b32 v10, 0, v10
	v_cmp_nlt_f32_e64 vcc_lo, 0x42b17218, |v8|
	v_dual_sub_f32 v3, v3, v9 :: v_dual_cndmask_b32 v8, 0x7f800000, v10
	s_delay_alu instid0(VALU_DEP_1) | instskip(NEXT) | instid1(VALU_DEP_1)
	v_mul_f32_e32 v3, 0.5, v3
	v_mul_f32_e32 v3, v8, v3
                                        ; implicit-def: $vgpr8
.LBB16_74:
	s_and_not1_saveexec_b32 s1, s0
	s_cbranch_execz .LBB16_76
; %bb.75:
	v_and_b32_e32 v3, 0x7fffffff, v8
	s_mov_b32 s0, 0xa3056dbb
	s_delay_alu instid0(VALU_DEP_1) | instskip(SKIP_1) | instid1(VALU_DEP_2)
	v_div_scale_f32 v9, null, v3, v3, 0x42000000
	v_div_scale_f32 v3, vcc_lo, 0x42000000, v3, 0x42000000
	v_rcp_f32_e32 v10, v9
	v_nop
	s_delay_alu instid0(TRANS32_DEP_1) | instskip(NEXT) | instid1(VALU_DEP_1)
	v_fma_f32 v11, -v9, v10, 1.0
	v_fmac_f32_e32 v10, v11, v10
	s_delay_alu instid0(VALU_DEP_1) | instskip(NEXT) | instid1(VALU_DEP_1)
	v_mul_f32_e32 v11, v3, v10
	v_fma_f32 v12, -v9, v11, v3
	s_delay_alu instid0(VALU_DEP_1) | instskip(SKIP_1) | instid1(VALU_DEP_1)
	v_fmac_f32_e32 v11, v12, v10
	v_mul_f32_e64 v12, 0x3fb8aa3b, |v8|
	v_rndne_f32_e32 v13, v12
	s_delay_alu instid0(VALU_DEP_3) | instskip(SKIP_1) | instid1(VALU_DEP_3)
	v_fma_f32 v3, -v9, v11, v3
	v_fma_f32 v14, 0x3fb8aa3b, |v8|, -v12
	v_sub_f32_e32 v12, v12, v13
	s_delay_alu instid0(VALU_DEP_3) | instskip(NEXT) | instid1(VALU_DEP_3)
	v_div_fmas_f32 v3, v3, v10, v11
	v_fma_f32 v14, 0x32a5705f, |v8|, v14
	v_mul_f32_e64 v11, 0x4f800000, |v8|
	v_cmp_gt_f32_e64 vcc_lo, 0xf800000, |v8|
	v_cvt_i32_f32_e32 v13, v13
	v_div_fixup_f32 v3, v3, |v8|, 0x42000000
	v_add_f32_e32 v12, v12, v14
	s_delay_alu instid0(VALU_DEP_4) | instskip(NEXT) | instid1(VALU_DEP_3)
	v_cndmask_b32_e64 v11, |v8|, v11, vcc_lo
	v_add_f32_e32 v3, -2.0, v3
	s_delay_alu instid0(VALU_DEP_3) | instskip(NEXT) | instid1(VALU_DEP_2)
	v_exp_f32_e32 v12, v12
	v_sqrt_f32_e32 v15, v11
	s_delay_alu instid0(VALU_DEP_1) | instskip(NEXT) | instid1(VALU_DEP_1)
	v_fmaak_f32 v9, s0, v3, 0xa2b236d3
	v_fmaak_f32 v10, v3, v9, 0x23056dbb
	s_delay_alu instid0(TRANS32_DEP_1) | instskip(NEXT) | instid1(VALU_DEP_2)
	v_dual_add_nc_u32 v16, -1, v15 :: v_dual_add_nc_u32 v14, 1, v15
	v_add_f32_e32 v10, 0x244df0c1, v10
	s_delay_alu instid0(VALU_DEP_2) | instskip(NEXT) | instid1(VALU_DEP_2)
	v_dual_fma_f32 v17, -v16, v15, v11 :: v_dual_fma_f32 v18, -v14, v15, v11
	v_fma_f32 v9, v3, v10, -v9
	s_delay_alu instid0(VALU_DEP_2) | instskip(NEXT) | instid1(VALU_DEP_2)
	v_cmp_ge_f32_e64 s0, 0, v17
	v_add_f32_e32 v9, 0x241f9ee8, v9
	s_delay_alu instid0(VALU_DEP_2) | instskip(SKIP_1) | instid1(VALU_DEP_3)
	v_cndmask_b32_e64 v15, v15, v16, s0
	v_cmp_lt_f32_e64 s0, 0, v18
	v_fma_f32 v10, v3, v9, -v10
	s_delay_alu instid0(VALU_DEP_1) | instskip(NEXT) | instid1(VALU_DEP_1)
	v_add_f32_e32 v10, 0xa5a3005d, v10
	v_fma_f32 v9, v3, v10, -v9
	s_delay_alu instid0(VALU_DEP_1) | instskip(NEXT) | instid1(VALU_DEP_1)
	v_add_f32_e32 v9, 0xa5c5773f, v9
	;; [unrolled: 3-line block ×20, first 2 shown]
	v_fma_f32 v3, v3, v9, -v10
	v_ldexp_f32 v9, v12, v13
	v_cndmask_b32_e64 v12, v15, v14, s0
	v_cmp_ngt_f32_e64 s0, 0xc2ce8ed0, |v8|
	s_delay_alu instid0(VALU_DEP_4) | instskip(NEXT) | instid1(VALU_DEP_3)
	v_add_f32_e32 v3, 0x3f4df315, v3
	v_mul_f32_e32 v13, 0x37800000, v12
	s_delay_alu instid0(VALU_DEP_3) | instskip(SKIP_1) | instid1(VALU_DEP_4)
	v_cndmask_b32_e64 v9, 0, v9, s0
	v_cmp_nlt_f32_e64 s0, 0x42b17218, |v8|
	v_sub_f32_e32 v3, v3, v10
	s_delay_alu instid0(VALU_DEP_2) | instskip(NEXT) | instid1(VALU_DEP_2)
	v_cndmask_b32_e64 v8, 0x7f800000, v9, s0
	v_dual_cndmask_b32 v9, v12, v13, vcc_lo :: v_dual_mul_f32 v3, 0.5, v3
	v_cmp_class_f32_e64 vcc_lo, v11, 0x260
	s_delay_alu instid0(VALU_DEP_2) | instskip(NEXT) | instid1(VALU_DEP_3)
	v_mul_f32_e32 v3, v8, v3
	v_cndmask_b32_e32 v9, v9, v11, vcc_lo
	s_delay_alu instid0(VALU_DEP_1) | instskip(NEXT) | instid1(VALU_DEP_1)
	v_div_scale_f32 v8, null, v9, v9, v3
	v_rcp_f32_e32 v10, v8
	v_nop
	s_delay_alu instid0(TRANS32_DEP_1) | instskip(NEXT) | instid1(VALU_DEP_1)
	v_fma_f32 v11, -v8, v10, 1.0
	v_fmac_f32_e32 v10, v11, v10
	v_div_scale_f32 v11, vcc_lo, v3, v9, v3
	s_delay_alu instid0(VALU_DEP_1) | instskip(NEXT) | instid1(VALU_DEP_1)
	v_mul_f32_e32 v12, v11, v10
	v_fma_f32 v13, -v8, v12, v11
	s_delay_alu instid0(VALU_DEP_1) | instskip(NEXT) | instid1(VALU_DEP_1)
	v_fmac_f32_e32 v12, v13, v10
	v_fma_f32 v8, -v8, v12, v11
	s_delay_alu instid0(VALU_DEP_1) | instskip(NEXT) | instid1(VALU_DEP_1)
	v_div_fmas_f32 v8, v8, v10, v12
	v_div_fixup_f32 v3, v8, v9, v3
.LBB16_76:
	s_or_b32 exec_lo, exec_lo, s1
	global_load_b32 v8, v5, s[6:7]
                                        ; implicit-def: $vgpr5
	s_wait_loadcnt 0x0
	v_cmp_ge_f32_e64 s0, 0x41000000, |v8|
	s_wait_xcnt 0x0
	s_and_saveexec_b32 s1, s0
	s_delay_alu instid0(SALU_CYCLE_1)
	s_xor_b32 s0, exec_lo, s1
	s_cbranch_execz .LBB16_78
; %bb.77:
	v_fma_f32 v5, |v8|, 0.5, -2.0
	s_mov_b32 s1, 0xa2a2e5b9
	v_mul_f32_e64 v11, 0x3fb8aa3b, |v8|
	v_cmp_ngt_f32_e64 vcc_lo, 0xc2ce8ed0, |v8|
	s_delay_alu instid0(VALU_DEP_3) | instskip(NEXT) | instid1(VALU_DEP_3)
	v_fmaak_f32 v9, s1, v5, 0x24199b15
	v_rndne_f32_e32 v12, v11
	v_fma_f32 v13, 0x3fb8aa3b, |v8|, -v11
	s_delay_alu instid0(VALU_DEP_2) | instskip(NEXT) | instid1(VALU_DEP_2)
	v_dual_fmaak_f32 v10, v5, v9, 0x22a2e5b9 :: v_dual_sub_f32 v11, v11, v12
	v_fma_f32 v13, 0x32a5705f, |v8|, v13
	v_cvt_i32_f32_e32 v12, v12
	s_delay_alu instid0(VALU_DEP_2) | instskip(NEXT) | instid1(VALU_DEP_1)
	v_dual_add_f32 v10, 0xa58c275c, v10 :: v_dual_add_f32 v11, v11, v13
	v_fma_f32 v9, v5, v10, -v9
	s_delay_alu instid0(VALU_DEP_2) | instskip(NEXT) | instid1(VALU_DEP_1)
	v_exp_f32_e32 v11, v11
	v_add_f32_e32 v9, 0x26f736c5, v9
	s_delay_alu instid0(VALU_DEP_1) | instskip(NEXT) | instid1(VALU_DEP_1)
	v_fma_f32 v10, v5, v9, -v10
	v_add_f32_e32 v10, 0xa8528116, v10
	s_delay_alu instid0(VALU_DEP_1) | instskip(NEXT) | instid1(VALU_DEP_1)
	v_fma_f32 v9, v5, v10, -v9
	v_add_f32_e32 v9, 0x29acda32, v9
	s_delay_alu instid0(VALU_DEP_1) | instskip(NEXT) | instid1(VALU_DEP_1)
	v_fma_f32 v10, v5, v9, -v10
	v_add_f32_e32 v10, 0xab08b263, v10
	s_delay_alu instid0(VALU_DEP_1) | instskip(NEXT) | instid1(VALU_DEP_1)
	v_fma_f32 v9, v5, v10, -v9
	v_add_f32_e32 v9, 0x2c4ff17f, v9
	s_delay_alu instid0(VALU_DEP_1) | instskip(NEXT) | instid1(VALU_DEP_1)
	v_fma_f32 v10, v5, v9, -v10
	v_add_f32_e32 v10, 0xad97e4ac, v10
	s_delay_alu instid0(VALU_DEP_1) | instskip(NEXT) | instid1(VALU_DEP_1)
	v_fma_f32 v9, v5, v10, -v9
	v_add_f32_e32 v9, 0x2ed4c5f6, v9
	s_delay_alu instid0(VALU_DEP_1) | instskip(NEXT) | instid1(VALU_DEP_1)
	v_fma_f32 v10, v5, v9, -v10
	v_add_f32_e32 v10, 0xb00ea7f1, v10
	s_delay_alu instid0(VALU_DEP_1) | instskip(NEXT) | instid1(VALU_DEP_1)
	v_fma_f32 v9, v5, v10, -v9
	v_add_f32_e32 v9, 0x3136c81d, v9
	s_delay_alu instid0(VALU_DEP_1) | instskip(NEXT) | instid1(VALU_DEP_1)
	v_fma_f32 v10, v5, v9, -v10
	v_add_f32_e32 v10, 0xb25f57b4, v10
	s_delay_alu instid0(VALU_DEP_1) | instskip(NEXT) | instid1(VALU_DEP_1)
	v_fma_f32 v9, v5, v10, -v9
	v_add_f32_e32 v9, 0x3381dbb5, v9
	s_delay_alu instid0(VALU_DEP_1) | instskip(NEXT) | instid1(VALU_DEP_1)
	v_fma_f32 v10, v5, v9, -v10
	v_add_f32_e32 v10, 0xb48f631c, v10
	s_delay_alu instid0(VALU_DEP_1) | instskip(NEXT) | instid1(VALU_DEP_1)
	v_fma_f32 v9, v5, v10, -v9
	v_add_f32_e32 v9, 0x3595f925, v9
	s_delay_alu instid0(VALU_DEP_1) | instskip(NEXT) | instid1(VALU_DEP_1)
	v_fma_f32 v10, v5, v9, -v10
	v_add_f32_e32 v10, 0xb694337e, v10
	s_delay_alu instid0(VALU_DEP_1) | instskip(NEXT) | instid1(VALU_DEP_1)
	v_fma_f32 v9, v5, v10, -v9
	v_add_f32_e32 v9, 0x3789fac6, v9
	s_delay_alu instid0(VALU_DEP_1) | instskip(NEXT) | instid1(VALU_DEP_1)
	v_fma_f32 v10, v5, v9, -v10
	v_add_f32_e32 v10, 0xb8715933, v10
	s_delay_alu instid0(VALU_DEP_1) | instskip(NEXT) | instid1(VALU_DEP_1)
	v_fma_f32 v9, v5, v10, -v9
	v_add_f32_e32 v9, 0x3945a8dc, v9
	s_delay_alu instid0(VALU_DEP_1) | instskip(NEXT) | instid1(VALU_DEP_1)
	v_fma_f32 v10, v5, v9, -v10
	v_add_f32_e32 v10, 0xba1717e9, v10
	s_delay_alu instid0(VALU_DEP_1) | instskip(NEXT) | instid1(VALU_DEP_1)
	v_fma_f32 v9, v5, v10, -v9
	v_add_f32_e32 v9, 0x3ad6e3ac, v9
	s_delay_alu instid0(VALU_DEP_1) | instskip(NEXT) | instid1(VALU_DEP_1)
	v_fma_f32 v10, v5, v9, -v10
	v_add_f32_e32 v10, 0xbb8db2f1, v10
	s_delay_alu instid0(VALU_DEP_1) | instskip(NEXT) | instid1(VALU_DEP_1)
	v_fma_f32 v9, v5, v10, -v9
	v_add_f32_e32 v9, 0x3c2ccb10, v9
	s_delay_alu instid0(VALU_DEP_1) | instskip(NEXT) | instid1(VALU_DEP_1)
	v_fma_f32 v10, v5, v9, -v10
	v_add_f32_e32 v10, 0xbcc274f8, v10
	s_delay_alu instid0(VALU_DEP_1) | instskip(NEXT) | instid1(VALU_DEP_1)
	v_fma_f32 v9, v5, v10, -v9
	v_add_f32_e32 v9, 0x3d49f456, v9
	s_delay_alu instid0(VALU_DEP_1) | instskip(NEXT) | instid1(VALU_DEP_1)
	v_fma_f32 v10, v5, v9, -v10
	v_add_f32_e32 v10, 0xbdc25b82, v10
	s_delay_alu instid0(VALU_DEP_1) | instskip(NEXT) | instid1(VALU_DEP_1)
	v_fma_f32 v9, v5, v10, -v9
	v_add_f32_e32 v9, 0x3e2fbd64, v9
	s_delay_alu instid0(VALU_DEP_1) | instskip(NEXT) | instid1(VALU_DEP_1)
	v_fma_f32 v10, v5, v9, -v10
	v_add_f32_e32 v10, 0xbe9bff5e, v10
	s_delay_alu instid0(VALU_DEP_1) | instskip(SKIP_1) | instid1(VALU_DEP_1)
	v_fma_f32 v5, v5, v10, -v9
	v_ldexp_f32 v10, v11, v12
	v_dual_add_f32 v5, 0x3f2d4275, v5 :: v_dual_cndmask_b32 v10, 0, v10
	v_cmp_nlt_f32_e64 vcc_lo, 0x42b17218, |v8|
	s_delay_alu instid0(VALU_DEP_2) | instskip(NEXT) | instid1(VALU_DEP_1)
	v_dual_sub_f32 v5, v5, v9 :: v_dual_cndmask_b32 v8, 0x7f800000, v10
	v_mul_f32_e32 v5, 0.5, v5
	s_delay_alu instid0(VALU_DEP_1)
	v_mul_f32_e32 v5, v8, v5
                                        ; implicit-def: $vgpr8
.LBB16_78:
	s_and_not1_saveexec_b32 s1, s0
	s_cbranch_execz .LBB16_80
; %bb.79:
	v_and_b32_e32 v5, 0x7fffffff, v8
	s_mov_b32 s0, 0xa3056dbb
	s_delay_alu instid0(VALU_DEP_1) | instskip(SKIP_1) | instid1(VALU_DEP_2)
	v_div_scale_f32 v9, null, v5, v5, 0x42000000
	v_div_scale_f32 v5, vcc_lo, 0x42000000, v5, 0x42000000
	v_rcp_f32_e32 v10, v9
	v_nop
	s_delay_alu instid0(TRANS32_DEP_1) | instskip(NEXT) | instid1(VALU_DEP_1)
	v_fma_f32 v11, -v9, v10, 1.0
	v_fmac_f32_e32 v10, v11, v10
	s_delay_alu instid0(VALU_DEP_1) | instskip(NEXT) | instid1(VALU_DEP_1)
	v_mul_f32_e32 v11, v5, v10
	v_fma_f32 v12, -v9, v11, v5
	s_delay_alu instid0(VALU_DEP_1) | instskip(SKIP_1) | instid1(VALU_DEP_1)
	v_fmac_f32_e32 v11, v12, v10
	v_mul_f32_e64 v12, 0x3fb8aa3b, |v8|
	v_rndne_f32_e32 v13, v12
	s_delay_alu instid0(VALU_DEP_3) | instskip(SKIP_1) | instid1(VALU_DEP_3)
	v_fma_f32 v5, -v9, v11, v5
	v_fma_f32 v14, 0x3fb8aa3b, |v8|, -v12
	v_sub_f32_e32 v12, v12, v13
	s_delay_alu instid0(VALU_DEP_3)
	v_div_fmas_f32 v5, v5, v10, v11
	v_mul_f32_e64 v11, 0x4f800000, |v8|
	v_cmp_gt_f32_e64 vcc_lo, 0xf800000, |v8|
	v_fma_f32 v14, 0x32a5705f, |v8|, v14
	v_cvt_i32_f32_e32 v13, v13
	v_div_fixup_f32 v5, v5, |v8|, 0x42000000
	s_delay_alu instid0(VALU_DEP_4) | instskip(NEXT) | instid1(VALU_DEP_2)
	v_cndmask_b32_e64 v11, |v8|, v11, vcc_lo
	v_dual_add_f32 v12, v12, v14 :: v_dual_add_f32 v5, -2.0, v5
	s_delay_alu instid0(VALU_DEP_2) | instskip(SKIP_1) | instid1(TRANS32_DEP_1)
	v_sqrt_f32_e32 v15, v11
	v_nop
	v_dual_fmaak_f32 v9, s0, v5, 0xa2b236d3 :: v_dual_add_nc_u32 v16, -1, v15
	s_delay_alu instid0(VALU_DEP_1) | instskip(NEXT) | instid1(VALU_DEP_2)
	v_fmaak_f32 v10, v5, v9, 0x23056dbb
	v_dual_add_nc_u32 v14, 1, v15 :: v_dual_fma_f32 v17, -v16, v15, v11
	s_delay_alu instid0(VALU_DEP_2) | instskip(NEXT) | instid1(VALU_DEP_2)
	v_add_f32_e32 v10, 0x244df0c1, v10
	v_fma_f32 v18, -v14, v15, v11
	s_delay_alu instid0(VALU_DEP_3) | instskip(NEXT) | instid1(VALU_DEP_1)
	v_cmp_ge_f32_e64 s0, 0, v17
	v_dual_fma_f32 v9, v5, v10, -v9 :: v_dual_cndmask_b32 v15, v15, v16, s0
	s_delay_alu instid0(VALU_DEP_1) | instskip(NEXT) | instid1(VALU_DEP_4)
	v_add_f32_e32 v9, 0x241f9ee8, v9
	v_cmp_lt_f32_e64 s0, 0, v18
	s_delay_alu instid0(VALU_DEP_2) | instskip(NEXT) | instid1(VALU_DEP_1)
	v_fma_f32 v10, v5, v9, -v10
	v_add_f32_e32 v10, 0xa5a3005d, v10
	s_delay_alu instid0(VALU_DEP_1) | instskip(NEXT) | instid1(VALU_DEP_1)
	v_fma_f32 v9, v5, v10, -v9
	v_add_f32_e32 v9, 0xa5c5773f, v9
	s_delay_alu instid0(VALU_DEP_1) | instskip(NEXT) | instid1(VALU_DEP_1)
	;; [unrolled: 3-line block ×19, first 2 shown]
	v_fma_f32 v9, v5, v10, -v9
	v_add_f32_e32 v9, 0x3b5ccc65, v9
	v_exp_f32_e32 v12, v12
	s_delay_alu instid0(VALU_DEP_1) | instskip(NEXT) | instid1(TRANS32_DEP_1)
	v_fma_f32 v5, v5, v9, -v10
	v_ldexp_f32 v9, v12, v13
	v_cndmask_b32_e64 v12, v15, v14, s0
	s_delay_alu instid0(VALU_DEP_3) | instskip(SKIP_1) | instid1(VALU_DEP_3)
	v_add_f32_e32 v5, 0x3f4df315, v5
	v_cmp_ngt_f32_e64 s0, 0xc2ce8ed0, |v8|
	v_mul_f32_e32 v13, 0x37800000, v12
	s_delay_alu instid0(VALU_DEP_2) | instskip(SKIP_1) | instid1(VALU_DEP_2)
	v_dual_sub_f32 v5, v5, v10 :: v_dual_cndmask_b32 v9, 0, v9, s0
	v_cmp_nlt_f32_e64 s0, 0x42b17218, |v8|
	v_mul_f32_e32 v5, 0.5, v5
	s_delay_alu instid0(VALU_DEP_2) | instskip(SKIP_2) | instid1(VALU_DEP_1)
	v_cndmask_b32_e64 v8, 0x7f800000, v9, s0
	v_cndmask_b32_e32 v9, v12, v13, vcc_lo
	v_cmp_class_f32_e64 vcc_lo, v11, 0x260
	v_dual_mul_f32 v5, v8, v5 :: v_dual_cndmask_b32 v9, v9, v11, vcc_lo
	s_delay_alu instid0(VALU_DEP_1) | instskip(NEXT) | instid1(VALU_DEP_1)
	v_div_scale_f32 v8, null, v9, v9, v5
	v_rcp_f32_e32 v10, v8
	v_nop
	s_delay_alu instid0(TRANS32_DEP_1) | instskip(NEXT) | instid1(VALU_DEP_1)
	v_fma_f32 v11, -v8, v10, 1.0
	v_fmac_f32_e32 v10, v11, v10
	v_div_scale_f32 v11, vcc_lo, v5, v9, v5
	s_delay_alu instid0(VALU_DEP_1) | instskip(NEXT) | instid1(VALU_DEP_1)
	v_mul_f32_e32 v12, v11, v10
	v_fma_f32 v13, -v8, v12, v11
	s_delay_alu instid0(VALU_DEP_1) | instskip(NEXT) | instid1(VALU_DEP_1)
	v_fmac_f32_e32 v12, v13, v10
	v_fma_f32 v8, -v8, v12, v11
	s_delay_alu instid0(VALU_DEP_1) | instskip(NEXT) | instid1(VALU_DEP_1)
	v_div_fmas_f32 v8, v8, v10, v12
	v_div_fixup_f32 v5, v8, v9, v5
.LBB16_80:
	s_or_b32 exec_lo, exec_lo, s1
	global_load_b32 v8, v1, s[6:7]
                                        ; implicit-def: $vgpr1
	s_wait_loadcnt 0x0
	v_cmp_ge_f32_e64 s0, 0x41000000, |v8|
	s_wait_xcnt 0x0
	s_and_saveexec_b32 s1, s0
	s_delay_alu instid0(SALU_CYCLE_1)
	s_xor_b32 s0, exec_lo, s1
	s_cbranch_execz .LBB16_82
; %bb.81:
	v_fma_f32 v1, |v8|, 0.5, -2.0
	s_mov_b32 s1, 0xa2a2e5b9
	v_mul_f32_e64 v11, 0x3fb8aa3b, |v8|
	v_cmp_ngt_f32_e64 vcc_lo, 0xc2ce8ed0, |v8|
	s_delay_alu instid0(VALU_DEP_3) | instskip(NEXT) | instid1(VALU_DEP_3)
	v_fmaak_f32 v9, s1, v1, 0x24199b15
	v_rndne_f32_e32 v12, v11
	v_fma_f32 v13, 0x3fb8aa3b, |v8|, -v11
	s_delay_alu instid0(VALU_DEP_2) | instskip(NEXT) | instid1(VALU_DEP_2)
	v_dual_fmaak_f32 v10, v1, v9, 0x22a2e5b9 :: v_dual_sub_f32 v11, v11, v12
	v_fma_f32 v13, 0x32a5705f, |v8|, v13
	v_cvt_i32_f32_e32 v12, v12
	s_delay_alu instid0(VALU_DEP_2) | instskip(NEXT) | instid1(VALU_DEP_1)
	v_dual_add_f32 v10, 0xa58c275c, v10 :: v_dual_add_f32 v11, v11, v13
	v_fma_f32 v9, v1, v10, -v9
	s_delay_alu instid0(VALU_DEP_2) | instskip(NEXT) | instid1(VALU_DEP_1)
	v_exp_f32_e32 v11, v11
	v_add_f32_e32 v9, 0x26f736c5, v9
	s_delay_alu instid0(VALU_DEP_1) | instskip(NEXT) | instid1(VALU_DEP_1)
	v_fma_f32 v10, v1, v9, -v10
	v_add_f32_e32 v10, 0xa8528116, v10
	s_delay_alu instid0(VALU_DEP_1) | instskip(NEXT) | instid1(VALU_DEP_1)
	v_fma_f32 v9, v1, v10, -v9
	;; [unrolled: 3-line block ×25, first 2 shown]
	v_add_f32_e32 v10, 0xbe9bff5e, v10
	s_delay_alu instid0(VALU_DEP_1) | instskip(SKIP_1) | instid1(VALU_DEP_1)
	v_fma_f32 v1, v1, v10, -v9
	v_ldexp_f32 v10, v11, v12
	v_dual_add_f32 v1, 0x3f2d4275, v1 :: v_dual_cndmask_b32 v10, 0, v10
	v_cmp_nlt_f32_e64 vcc_lo, 0x42b17218, |v8|
	s_delay_alu instid0(VALU_DEP_2) | instskip(NEXT) | instid1(VALU_DEP_1)
	v_dual_sub_f32 v1, v1, v9 :: v_dual_cndmask_b32 v8, 0x7f800000, v10
	v_mul_f32_e32 v1, 0.5, v1
	s_delay_alu instid0(VALU_DEP_1)
	v_mul_f32_e32 v1, v8, v1
                                        ; implicit-def: $vgpr8
.LBB16_82:
	s_and_not1_saveexec_b32 s1, s0
	s_cbranch_execz .LBB16_84
; %bb.83:
	v_and_b32_e32 v1, 0x7fffffff, v8
	s_mov_b32 s0, 0xa3056dbb
	s_delay_alu instid0(VALU_DEP_1) | instskip(SKIP_1) | instid1(VALU_DEP_2)
	v_div_scale_f32 v9, null, v1, v1, 0x42000000
	v_div_scale_f32 v1, vcc_lo, 0x42000000, v1, 0x42000000
	v_rcp_f32_e32 v10, v9
	v_nop
	s_delay_alu instid0(TRANS32_DEP_1) | instskip(NEXT) | instid1(VALU_DEP_1)
	v_fma_f32 v11, -v9, v10, 1.0
	v_fmac_f32_e32 v10, v11, v10
	s_delay_alu instid0(VALU_DEP_1) | instskip(NEXT) | instid1(VALU_DEP_1)
	v_mul_f32_e32 v11, v1, v10
	v_fma_f32 v12, -v9, v11, v1
	s_delay_alu instid0(VALU_DEP_1) | instskip(SKIP_1) | instid1(VALU_DEP_1)
	v_fmac_f32_e32 v11, v12, v10
	v_mul_f32_e64 v12, 0x3fb8aa3b, |v8|
	v_rndne_f32_e32 v13, v12
	s_delay_alu instid0(VALU_DEP_3) | instskip(SKIP_1) | instid1(VALU_DEP_3)
	v_fma_f32 v1, -v9, v11, v1
	v_fma_f32 v14, 0x3fb8aa3b, |v8|, -v12
	v_sub_f32_e32 v12, v12, v13
	s_delay_alu instid0(VALU_DEP_3)
	v_div_fmas_f32 v1, v1, v10, v11
	v_mul_f32_e64 v11, 0x4f800000, |v8|
	v_cmp_gt_f32_e64 vcc_lo, 0xf800000, |v8|
	v_fma_f32 v14, 0x32a5705f, |v8|, v14
	v_cvt_i32_f32_e32 v13, v13
	v_div_fixup_f32 v1, v1, |v8|, 0x42000000
	s_delay_alu instid0(VALU_DEP_4) | instskip(NEXT) | instid1(VALU_DEP_2)
	v_cndmask_b32_e64 v11, |v8|, v11, vcc_lo
	v_dual_add_f32 v12, v12, v14 :: v_dual_add_f32 v1, -2.0, v1
	s_delay_alu instid0(VALU_DEP_2) | instskip(SKIP_1) | instid1(TRANS32_DEP_1)
	v_sqrt_f32_e32 v15, v11
	v_nop
	v_dual_fmaak_f32 v9, s0, v1, 0xa2b236d3 :: v_dual_add_nc_u32 v16, -1, v15
	s_delay_alu instid0(VALU_DEP_1) | instskip(NEXT) | instid1(VALU_DEP_2)
	v_fmaak_f32 v10, v1, v9, 0x23056dbb
	v_dual_add_nc_u32 v14, 1, v15 :: v_dual_fma_f32 v17, -v16, v15, v11
	s_delay_alu instid0(VALU_DEP_2) | instskip(NEXT) | instid1(VALU_DEP_2)
	v_add_f32_e32 v10, 0x244df0c1, v10
	v_fma_f32 v18, -v14, v15, v11
	s_delay_alu instid0(VALU_DEP_3) | instskip(NEXT) | instid1(VALU_DEP_1)
	v_cmp_ge_f32_e64 s0, 0, v17
	v_dual_fma_f32 v9, v1, v10, -v9 :: v_dual_cndmask_b32 v15, v15, v16, s0
	s_delay_alu instid0(VALU_DEP_1) | instskip(NEXT) | instid1(VALU_DEP_4)
	v_add_f32_e32 v9, 0x241f9ee8, v9
	v_cmp_lt_f32_e64 s0, 0, v18
	s_delay_alu instid0(VALU_DEP_2) | instskip(NEXT) | instid1(VALU_DEP_1)
	v_fma_f32 v10, v1, v9, -v10
	v_add_f32_e32 v10, 0xa5a3005d, v10
	s_delay_alu instid0(VALU_DEP_1) | instskip(NEXT) | instid1(VALU_DEP_1)
	v_fma_f32 v9, v1, v10, -v9
	v_add_f32_e32 v9, 0xa5c5773f, v9
	s_delay_alu instid0(VALU_DEP_1) | instskip(NEXT) | instid1(VALU_DEP_1)
	;; [unrolled: 3-line block ×19, first 2 shown]
	v_fma_f32 v9, v1, v10, -v9
	v_add_f32_e32 v9, 0x3b5ccc65, v9
	v_exp_f32_e32 v12, v12
	s_delay_alu instid0(VALU_DEP_1) | instskip(NEXT) | instid1(TRANS32_DEP_1)
	v_fma_f32 v1, v1, v9, -v10
	v_ldexp_f32 v9, v12, v13
	v_cndmask_b32_e64 v12, v15, v14, s0
	s_delay_alu instid0(VALU_DEP_3) | instskip(SKIP_1) | instid1(VALU_DEP_3)
	v_add_f32_e32 v1, 0x3f4df315, v1
	v_cmp_ngt_f32_e64 s0, 0xc2ce8ed0, |v8|
	v_mul_f32_e32 v13, 0x37800000, v12
	s_delay_alu instid0(VALU_DEP_2) | instskip(SKIP_1) | instid1(VALU_DEP_2)
	v_dual_sub_f32 v1, v1, v10 :: v_dual_cndmask_b32 v9, 0, v9, s0
	v_cmp_nlt_f32_e64 s0, 0x42b17218, |v8|
	v_mul_f32_e32 v1, 0.5, v1
	s_delay_alu instid0(VALU_DEP_2) | instskip(SKIP_2) | instid1(VALU_DEP_1)
	v_cndmask_b32_e64 v8, 0x7f800000, v9, s0
	v_cndmask_b32_e32 v9, v12, v13, vcc_lo
	v_cmp_class_f32_e64 vcc_lo, v11, 0x260
	v_dual_mul_f32 v1, v8, v1 :: v_dual_cndmask_b32 v9, v9, v11, vcc_lo
	s_delay_alu instid0(VALU_DEP_1) | instskip(NEXT) | instid1(VALU_DEP_1)
	v_div_scale_f32 v8, null, v9, v9, v1
	v_rcp_f32_e32 v10, v8
	v_nop
	s_delay_alu instid0(TRANS32_DEP_1) | instskip(NEXT) | instid1(VALU_DEP_1)
	v_fma_f32 v11, -v8, v10, 1.0
	v_fmac_f32_e32 v10, v11, v10
	v_div_scale_f32 v11, vcc_lo, v1, v9, v1
	s_delay_alu instid0(VALU_DEP_1) | instskip(NEXT) | instid1(VALU_DEP_1)
	v_mul_f32_e32 v12, v11, v10
	v_fma_f32 v13, -v8, v12, v11
	s_delay_alu instid0(VALU_DEP_1) | instskip(NEXT) | instid1(VALU_DEP_1)
	v_fmac_f32_e32 v12, v13, v10
	v_fma_f32 v8, -v8, v12, v11
	s_delay_alu instid0(VALU_DEP_1) | instskip(NEXT) | instid1(VALU_DEP_1)
	v_div_fmas_f32 v8, v8, v10, v12
	v_div_fixup_f32 v1, v8, v9, v1
.LBB16_84:
	s_or_b32 exec_lo, exec_lo, s1
	global_load_b32 v7, v7, s[6:7]
                                        ; implicit-def: $vgpr8
	s_wait_loadcnt 0x0
	v_cmp_ge_f32_e64 s0, 0x41000000, |v7|
	s_wait_xcnt 0x0
	s_and_saveexec_b32 s1, s0
	s_delay_alu instid0(SALU_CYCLE_1)
	s_xor_b32 s0, exec_lo, s1
	s_cbranch_execz .LBB16_86
; %bb.85:
	v_fma_f32 v8, |v7|, 0.5, -2.0
	s_mov_b32 s1, 0xa2a2e5b9
	v_mul_f32_e64 v11, 0x3fb8aa3b, |v7|
	v_cmp_ngt_f32_e64 vcc_lo, 0xc2ce8ed0, |v7|
	s_delay_alu instid0(VALU_DEP_3) | instskip(NEXT) | instid1(VALU_DEP_3)
	v_fmaak_f32 v9, s1, v8, 0x24199b15
	v_rndne_f32_e32 v12, v11
	v_fma_f32 v13, 0x3fb8aa3b, |v7|, -v11
	s_delay_alu instid0(VALU_DEP_2) | instskip(NEXT) | instid1(VALU_DEP_2)
	v_dual_fmaak_f32 v10, v8, v9, 0x22a2e5b9 :: v_dual_sub_f32 v11, v11, v12
	v_fma_f32 v13, 0x32a5705f, |v7|, v13
	v_cvt_i32_f32_e32 v12, v12
	s_delay_alu instid0(VALU_DEP_2) | instskip(NEXT) | instid1(VALU_DEP_1)
	v_dual_add_f32 v10, 0xa58c275c, v10 :: v_dual_add_f32 v11, v11, v13
	v_fma_f32 v9, v8, v10, -v9
	s_delay_alu instid0(VALU_DEP_2) | instskip(NEXT) | instid1(VALU_DEP_1)
	v_exp_f32_e32 v11, v11
	v_add_f32_e32 v9, 0x26f736c5, v9
	s_delay_alu instid0(VALU_DEP_1) | instskip(NEXT) | instid1(VALU_DEP_1)
	v_fma_f32 v10, v8, v9, -v10
	v_add_f32_e32 v10, 0xa8528116, v10
	s_delay_alu instid0(VALU_DEP_1) | instskip(NEXT) | instid1(VALU_DEP_1)
	v_fma_f32 v9, v8, v10, -v9
	;; [unrolled: 3-line block ×25, first 2 shown]
	v_add_f32_e32 v10, 0xbe9bff5e, v10
	s_delay_alu instid0(VALU_DEP_1) | instskip(SKIP_1) | instid1(VALU_DEP_2)
	v_fma_f32 v8, v8, v10, -v9
	v_ldexp_f32 v10, v11, v12
	v_add_f32_e32 v8, 0x3f2d4275, v8
	s_delay_alu instid0(VALU_DEP_2) | instskip(SKIP_1) | instid1(VALU_DEP_2)
	v_cndmask_b32_e32 v10, 0, v10, vcc_lo
	v_cmp_nlt_f32_e64 vcc_lo, 0x42b17218, |v7|
	v_dual_sub_f32 v8, v8, v9 :: v_dual_cndmask_b32 v7, 0x7f800000, v10
	s_delay_alu instid0(VALU_DEP_1) | instskip(NEXT) | instid1(VALU_DEP_1)
	v_mul_f32_e32 v8, 0.5, v8
	v_mul_f32_e32 v8, v7, v8
                                        ; implicit-def: $vgpr7
.LBB16_86:
	s_and_not1_saveexec_b32 s1, s0
	s_cbranch_execz .LBB16_88
; %bb.87:
	v_and_b32_e32 v8, 0x7fffffff, v7
	s_mov_b32 s0, 0xa3056dbb
	s_delay_alu instid0(VALU_DEP_1) | instskip(SKIP_1) | instid1(VALU_DEP_2)
	v_div_scale_f32 v9, null, v8, v8, 0x42000000
	v_div_scale_f32 v8, vcc_lo, 0x42000000, v8, 0x42000000
	v_rcp_f32_e32 v10, v9
	v_nop
	s_delay_alu instid0(TRANS32_DEP_1) | instskip(NEXT) | instid1(VALU_DEP_1)
	v_fma_f32 v11, -v9, v10, 1.0
	v_fmac_f32_e32 v10, v11, v10
	s_delay_alu instid0(VALU_DEP_1) | instskip(NEXT) | instid1(VALU_DEP_1)
	v_mul_f32_e32 v11, v8, v10
	v_fma_f32 v12, -v9, v11, v8
	s_delay_alu instid0(VALU_DEP_1) | instskip(SKIP_1) | instid1(VALU_DEP_1)
	v_fmac_f32_e32 v11, v12, v10
	v_mul_f32_e64 v12, 0x3fb8aa3b, |v7|
	v_rndne_f32_e32 v13, v12
	s_delay_alu instid0(VALU_DEP_3) | instskip(SKIP_1) | instid1(VALU_DEP_3)
	v_fma_f32 v8, -v9, v11, v8
	v_fma_f32 v14, 0x3fb8aa3b, |v7|, -v12
	v_sub_f32_e32 v12, v12, v13
	s_delay_alu instid0(VALU_DEP_3)
	v_div_fmas_f32 v8, v8, v10, v11
	v_mul_f32_e64 v11, 0x4f800000, |v7|
	v_cmp_gt_f32_e64 vcc_lo, 0xf800000, |v7|
	v_fma_f32 v14, 0x32a5705f, |v7|, v14
	v_cvt_i32_f32_e32 v13, v13
	v_div_fixup_f32 v8, v8, |v7|, 0x42000000
	s_delay_alu instid0(VALU_DEP_4) | instskip(NEXT) | instid1(VALU_DEP_2)
	v_cndmask_b32_e64 v11, |v7|, v11, vcc_lo
	v_dual_add_f32 v12, v12, v14 :: v_dual_add_f32 v8, -2.0, v8
	s_delay_alu instid0(VALU_DEP_2) | instskip(SKIP_1) | instid1(TRANS32_DEP_1)
	v_sqrt_f32_e32 v15, v11
	v_nop
	v_dual_fmaak_f32 v9, s0, v8, 0xa2b236d3 :: v_dual_add_nc_u32 v16, -1, v15
	s_delay_alu instid0(VALU_DEP_1) | instskip(NEXT) | instid1(VALU_DEP_2)
	v_fmaak_f32 v10, v8, v9, 0x23056dbb
	v_dual_add_nc_u32 v14, 1, v15 :: v_dual_fma_f32 v17, -v16, v15, v11
	s_delay_alu instid0(VALU_DEP_2) | instskip(NEXT) | instid1(VALU_DEP_2)
	v_add_f32_e32 v10, 0x244df0c1, v10
	v_fma_f32 v18, -v14, v15, v11
	s_delay_alu instid0(VALU_DEP_3) | instskip(NEXT) | instid1(VALU_DEP_1)
	v_cmp_ge_f32_e64 s0, 0, v17
	v_dual_fma_f32 v9, v8, v10, -v9 :: v_dual_cndmask_b32 v15, v15, v16, s0
	s_delay_alu instid0(VALU_DEP_1) | instskip(NEXT) | instid1(VALU_DEP_4)
	v_add_f32_e32 v9, 0x241f9ee8, v9
	v_cmp_lt_f32_e64 s0, 0, v18
	s_delay_alu instid0(VALU_DEP_2) | instskip(NEXT) | instid1(VALU_DEP_1)
	v_fma_f32 v10, v8, v9, -v10
	v_add_f32_e32 v10, 0xa5a3005d, v10
	s_delay_alu instid0(VALU_DEP_1) | instskip(NEXT) | instid1(VALU_DEP_1)
	v_fma_f32 v9, v8, v10, -v9
	v_add_f32_e32 v9, 0xa5c5773f, v9
	s_delay_alu instid0(VALU_DEP_1) | instskip(NEXT) | instid1(VALU_DEP_1)
	;; [unrolled: 3-line block ×19, first 2 shown]
	v_fma_f32 v9, v8, v10, -v9
	v_add_f32_e32 v9, 0x3b5ccc65, v9
	v_exp_f32_e32 v12, v12
	s_delay_alu instid0(VALU_DEP_1) | instskip(NEXT) | instid1(TRANS32_DEP_1)
	v_fma_f32 v8, v8, v9, -v10
	v_ldexp_f32 v9, v12, v13
	v_cndmask_b32_e64 v12, v15, v14, s0
	s_delay_alu instid0(VALU_DEP_3) | instskip(SKIP_1) | instid1(VALU_DEP_2)
	v_add_f32_e32 v8, 0x3f4df315, v8
	v_cmp_ngt_f32_e64 s0, 0xc2ce8ed0, |v7|
	v_dual_mul_f32 v13, 0x37800000, v12 :: v_dual_sub_f32 v8, v8, v10
	s_delay_alu instid0(VALU_DEP_2) | instskip(SKIP_1) | instid1(VALU_DEP_3)
	v_cndmask_b32_e64 v9, 0, v9, s0
	v_cmp_nlt_f32_e64 s0, 0x42b17218, |v7|
	v_mul_f32_e32 v8, 0.5, v8
	s_delay_alu instid0(VALU_DEP_2) | instskip(SKIP_2) | instid1(VALU_DEP_1)
	v_cndmask_b32_e64 v7, 0x7f800000, v9, s0
	v_cndmask_b32_e32 v9, v12, v13, vcc_lo
	v_cmp_class_f32_e64 vcc_lo, v11, 0x260
	v_dual_mul_f32 v7, v7, v8 :: v_dual_cndmask_b32 v9, v9, v11, vcc_lo
	s_delay_alu instid0(VALU_DEP_1) | instskip(NEXT) | instid1(VALU_DEP_1)
	v_div_scale_f32 v8, null, v9, v9, v7
	v_rcp_f32_e32 v10, v8
	v_nop
	s_delay_alu instid0(TRANS32_DEP_1) | instskip(NEXT) | instid1(VALU_DEP_1)
	v_fma_f32 v11, -v8, v10, 1.0
	v_fmac_f32_e32 v10, v11, v10
	v_div_scale_f32 v11, vcc_lo, v7, v9, v7
	s_delay_alu instid0(VALU_DEP_1) | instskip(NEXT) | instid1(VALU_DEP_1)
	v_mul_f32_e32 v12, v11, v10
	v_fma_f32 v13, -v8, v12, v11
	s_delay_alu instid0(VALU_DEP_1) | instskip(NEXT) | instid1(VALU_DEP_1)
	v_fmac_f32_e32 v12, v13, v10
	v_fma_f32 v8, -v8, v12, v11
	s_delay_alu instid0(VALU_DEP_1) | instskip(NEXT) | instid1(VALU_DEP_1)
	v_div_fmas_f32 v8, v8, v10, v12
	v_div_fixup_f32 v8, v8, v9, v7
.LBB16_88:
	s_or_b32 exec_lo, exec_lo, s1
	s_clause 0x3
	global_store_b32 v2, v3, s[4:5]
	global_store_b32 v4, v5, s[4:5]
	;; [unrolled: 1-line block ×4, first 2 shown]
	s_endpgm
.LBB16_89:
	v_dual_mov_b32 v3, 0 :: v_dual_mov_b32 v2, 0
	s_branch .LBB16_95
.LBB16_90:
	v_dual_mov_b32 v3, 0 :: v_dual_mov_b32 v2, 0
	s_branch .LBB16_115
.LBB16_91:
	v_mov_b64_e32 v[2:3], 0
	v_mov_b32_e32 v1, v0
	s_mov_b32 s22, 0
.LBB16_92:
	s_and_b32 s0, s0, 3
	s_mov_b32 s23, 0
	s_cmp_eq_u32 s0, 0
	s_cbranch_scc1 .LBB16_95
; %bb.93:
	s_lshl_b32 s24, s22, 3
	s_mov_b32 s25, s23
	s_mul_u64 s[26:27], s[22:23], 12
	s_add_nc_u64 s[24:25], s[2:3], s[24:25]
	s_delay_alu instid0(SALU_CYCLE_1)
	s_add_nc_u64 s[22:23], s[24:25], 0xc4
	s_add_nc_u64 s[24:25], s[2:3], s[26:27]
.LBB16_94:                              ; =>This Inner Loop Header: Depth=1
	s_load_b96 s[40:42], s[24:25], 0x4
	s_load_b64 s[26:27], s[22:23], 0x0
	s_add_co_i32 s0, s0, -1
	s_wait_xcnt 0x0
	s_add_nc_u64 s[24:25], s[24:25], 12
	s_cmp_lg_u32 s0, 0
	s_add_nc_u64 s[22:23], s[22:23], 8
	s_wait_kmcnt 0x0
	v_mul_hi_u32 v4, s41, v1
	s_delay_alu instid0(VALU_DEP_1) | instskip(NEXT) | instid1(VALU_DEP_1)
	v_add_nc_u32_e32 v4, v1, v4
	v_lshrrev_b32_e32 v4, s42, v4
	s_delay_alu instid0(VALU_DEP_1) | instskip(NEXT) | instid1(VALU_DEP_1)
	v_mul_lo_u32 v5, v4, s40
	v_sub_nc_u32_e32 v1, v1, v5
	s_delay_alu instid0(VALU_DEP_1)
	v_mad_u32 v3, v1, s27, v3
	v_mad_u32 v2, v1, s26, v2
	v_mov_b32_e32 v1, v4
	s_cbranch_scc1 .LBB16_94
.LBB16_95:
	s_cbranch_execnz .LBB16_98
.LBB16_96:
	v_mov_b32_e32 v1, 0
	s_and_not1_b32 vcc_lo, exec_lo, s33
	s_delay_alu instid0(VALU_DEP_1) | instskip(NEXT) | instid1(VALU_DEP_1)
	v_mul_u64_e32 v[2:3], s[16:17], v[0:1]
	v_add_nc_u32_e32 v2, v0, v3
	s_delay_alu instid0(VALU_DEP_1) | instskip(NEXT) | instid1(VALU_DEP_1)
	v_lshrrev_b32_e32 v4, s10, v2
	v_mul_lo_u32 v2, v4, s8
	s_delay_alu instid0(VALU_DEP_1) | instskip(NEXT) | instid1(VALU_DEP_1)
	v_sub_nc_u32_e32 v2, v0, v2
	v_mul_lo_u32 v3, v2, s13
	v_mul_lo_u32 v2, v2, s12
	s_cbranch_vccnz .LBB16_98
; %bb.97:
	v_mov_b32_e32 v5, v1
	s_delay_alu instid0(VALU_DEP_1) | instskip(NEXT) | instid1(VALU_DEP_1)
	v_mul_u64_e32 v[6:7], s[18:19], v[4:5]
	v_add_nc_u32_e32 v1, v4, v7
	s_delay_alu instid0(VALU_DEP_1) | instskip(NEXT) | instid1(VALU_DEP_1)
	v_lshrrev_b32_e32 v1, s1, v1
	v_mul_lo_u32 v1, v1, s11
	s_delay_alu instid0(VALU_DEP_1) | instskip(NEXT) | instid1(VALU_DEP_1)
	v_sub_nc_u32_e32 v1, v4, v1
	v_mad_u32 v2, v1, s14, v2
	v_mad_u32 v3, v1, s15, v3
.LBB16_98:
	global_load_b32 v1, v3, s[6:7]
                                        ; implicit-def: $vgpr4
	s_wait_loadcnt 0x0
	v_cmp_ge_f32_e64 s0, 0x41000000, |v1|
	v_mul_f32_e64 v3, 0x3fb8aa3b, |v1|
	s_and_saveexec_b32 s22, s0
	s_delay_alu instid0(SALU_CYCLE_1)
	s_xor_b32 s0, exec_lo, s22
	s_cbranch_execz .LBB16_100
; %bb.99:
	s_delay_alu instid0(VALU_DEP_1)
	v_rndne_f32_e32 v7, v3
	v_fma_f32 v8, 0x3fb8aa3b, |v1|, -v3
	v_fma_f32 v4, |v1|, 0.5, -2.0
	v_cmp_ngt_f32_e64 vcc_lo, 0xc2ce8ed0, |v1|
	s_mov_b32 s22, 0xa2a2e5b9
	v_sub_f32_e32 v3, v3, v7
	v_fma_f32 v8, 0x32a5705f, |v1|, v8
	v_cvt_i32_f32_e32 v7, v7
	s_delay_alu instid0(VALU_DEP_2) | instskip(NEXT) | instid1(VALU_DEP_1)
	v_add_f32_e32 v3, v3, v8
	v_exp_f32_e32 v3, v3
	v_nop
	s_delay_alu instid0(TRANS32_DEP_1) | instskip(NEXT) | instid1(VALU_DEP_1)
	v_ldexp_f32 v3, v3, v7
	v_cndmask_b32_e32 v3, 0, v3, vcc_lo
	v_cmp_nlt_f32_e64 vcc_lo, 0x42b17218, |v1|
	s_delay_alu instid0(VALU_DEP_2) | instskip(SKIP_1) | instid1(VALU_DEP_1)
	v_cndmask_b32_e32 v1, 0x7f800000, v3, vcc_lo
	v_fmaak_f32 v5, s22, v4, 0x24199b15
	v_fmaak_f32 v6, v4, v5, 0x22a2e5b9
	s_delay_alu instid0(VALU_DEP_1) | instskip(NEXT) | instid1(VALU_DEP_1)
	v_add_f32_e32 v6, 0xa58c275c, v6
	v_fma_f32 v5, v4, v6, -v5
	s_delay_alu instid0(VALU_DEP_1) | instskip(NEXT) | instid1(VALU_DEP_1)
	v_add_f32_e32 v5, 0x26f736c5, v5
	v_fma_f32 v6, v4, v5, -v6
	;; [unrolled: 3-line block ×27, first 2 shown]
	s_delay_alu instid0(VALU_DEP_1) | instskip(NEXT) | instid1(VALU_DEP_1)
	v_add_f32_e32 v4, 0x3f2d4275, v4
	v_sub_f32_e32 v4, v4, v5
	s_delay_alu instid0(VALU_DEP_1) | instskip(NEXT) | instid1(VALU_DEP_1)
	v_mul_f32_e32 v3, 0.5, v4
	v_mul_f32_e32 v4, v1, v3
                                        ; implicit-def: $vgpr1
                                        ; implicit-def: $vgpr3
.LBB16_100:
	s_and_not1_saveexec_b32 s22, s0
	s_cbranch_execz .LBB16_102
; %bb.101:
	v_and_b32_e32 v4, 0x7fffffff, v1
	v_fma_f32 v9, 0x3fb8aa3b, |v1|, -v3
	s_mov_b32 s0, 0xa3056dbb
	s_delay_alu instid0(VALU_DEP_2) | instskip(SKIP_1) | instid1(VALU_DEP_3)
	v_div_scale_f32 v5, null, v4, v4, 0x42000000
	v_div_scale_f32 v4, vcc_lo, 0x42000000, v4, 0x42000000
	v_fma_f32 v9, 0x32a5705f, |v1|, v9
	s_delay_alu instid0(VALU_DEP_3) | instskip(SKIP_1) | instid1(TRANS32_DEP_1)
	v_rcp_f32_e32 v6, v5
	v_nop
	v_fma_f32 v7, -v5, v6, 1.0
	s_delay_alu instid0(VALU_DEP_1) | instskip(NEXT) | instid1(VALU_DEP_1)
	v_fmac_f32_e32 v6, v7, v6
	v_mul_f32_e32 v7, v4, v6
	s_delay_alu instid0(VALU_DEP_1) | instskip(NEXT) | instid1(VALU_DEP_1)
	v_fma_f32 v8, -v5, v7, v4
	v_fmac_f32_e32 v7, v8, v6
	v_rndne_f32_e32 v8, v3
	s_delay_alu instid0(VALU_DEP_1) | instskip(SKIP_1) | instid1(VALU_DEP_2)
	v_dual_fma_f32 v4, -v5, v7, v4 :: v_dual_sub_f32 v3, v3, v8
	v_cvt_i32_f32_e32 v8, v8
	v_div_fmas_f32 v4, v4, v6, v7
	v_mul_f32_e64 v7, 0x4f800000, |v1|
	v_cmp_gt_f32_e64 vcc_lo, 0xf800000, |v1|
	v_add_f32_e32 v3, v3, v9
	s_delay_alu instid0(VALU_DEP_4) | instskip(NEXT) | instid1(VALU_DEP_3)
	v_div_fixup_f32 v4, v4, |v1|, 0x42000000
	v_cndmask_b32_e64 v7, |v1|, v7, vcc_lo
	s_delay_alu instid0(VALU_DEP_3) | instskip(NEXT) | instid1(VALU_DEP_2)
	v_exp_f32_e32 v3, v3
	v_add_f32_e32 v4, -2.0, v4
	s_delay_alu instid0(VALU_DEP_2) | instskip(NEXT) | instid1(VALU_DEP_1)
	v_sqrt_f32_e32 v10, v7
	v_fmaak_f32 v5, s0, v4, 0xa2b236d3
	s_delay_alu instid0(TRANS32_DEP_2)
	v_ldexp_f32 v3, v3, v8
	s_delay_alu instid0(TRANS32_DEP_1) | instid1(VALU_DEP_2)
	v_dual_fmaak_f32 v6, v4, v5, 0x23056dbb :: v_dual_add_nc_u32 v11, -1, v10
	s_delay_alu instid0(VALU_DEP_1) | instskip(NEXT) | instid1(VALU_DEP_2)
	v_dual_add_nc_u32 v9, 1, v10 :: v_dual_fma_f32 v12, -v11, v10, v7
	v_add_f32_e32 v6, 0x244df0c1, v6
	s_delay_alu instid0(VALU_DEP_2) | instskip(NEXT) | instid1(VALU_DEP_3)
	v_fma_f32 v13, -v9, v10, v7
	v_cmp_ge_f32_e64 s0, 0, v12
	s_delay_alu instid0(VALU_DEP_1) | instskip(NEXT) | instid1(VALU_DEP_1)
	v_dual_fma_f32 v5, v4, v6, -v5 :: v_dual_cndmask_b32 v10, v10, v11, s0
	v_add_f32_e32 v5, 0x241f9ee8, v5
	s_delay_alu instid0(VALU_DEP_4) | instskip(NEXT) | instid1(VALU_DEP_2)
	v_cmp_lt_f32_e64 s0, 0, v13
	v_fma_f32 v6, v4, v5, -v6
	s_delay_alu instid0(VALU_DEP_1) | instskip(NEXT) | instid1(VALU_DEP_1)
	v_add_f32_e32 v6, 0xa5a3005d, v6
	v_fma_f32 v5, v4, v6, -v5
	s_delay_alu instid0(VALU_DEP_1) | instskip(NEXT) | instid1(VALU_DEP_1)
	v_add_f32_e32 v5, 0xa5c5773f, v5
	;; [unrolled: 3-line block ×20, first 2 shown]
	v_fma_f32 v4, v4, v5, -v6
	v_cndmask_b32_e64 v5, v10, v9, s0
	v_cmp_ngt_f32_e64 s0, 0xc2ce8ed0, |v1|
	s_delay_alu instid0(VALU_DEP_3) | instskip(NEXT) | instid1(VALU_DEP_3)
	v_add_f32_e32 v4, 0x3f4df315, v4
	v_mul_f32_e32 v8, 0x37800000, v5
	s_delay_alu instid0(VALU_DEP_3) | instskip(SKIP_1) | instid1(VALU_DEP_4)
	v_cndmask_b32_e64 v3, 0, v3, s0
	v_cmp_nlt_f32_e64 s0, 0x42b17218, |v1|
	v_sub_f32_e32 v4, v4, v6
	s_delay_alu instid0(VALU_DEP_2) | instskip(SKIP_1) | instid1(VALU_DEP_3)
	v_cndmask_b32_e64 v1, 0x7f800000, v3, s0
	v_cndmask_b32_e32 v3, v5, v8, vcc_lo
	v_mul_f32_e32 v4, 0.5, v4
	v_cmp_class_f32_e64 vcc_lo, v7, 0x260
	s_delay_alu instid0(VALU_DEP_1) | instskip(NEXT) | instid1(VALU_DEP_1)
	v_dual_mul_f32 v1, v1, v4 :: v_dual_cndmask_b32 v3, v3, v7, vcc_lo
	v_div_scale_f32 v4, null, v3, v3, v1
	s_delay_alu instid0(VALU_DEP_1) | instskip(SKIP_1) | instid1(TRANS32_DEP_1)
	v_rcp_f32_e32 v5, v4
	v_nop
	v_fma_f32 v6, -v4, v5, 1.0
	s_delay_alu instid0(VALU_DEP_1) | instskip(SKIP_1) | instid1(VALU_DEP_1)
	v_fmac_f32_e32 v5, v6, v5
	v_div_scale_f32 v6, vcc_lo, v1, v3, v1
	v_mul_f32_e32 v7, v6, v5
	s_delay_alu instid0(VALU_DEP_1) | instskip(NEXT) | instid1(VALU_DEP_1)
	v_fma_f32 v8, -v4, v7, v6
	v_fmac_f32_e32 v7, v8, v5
	s_delay_alu instid0(VALU_DEP_1) | instskip(NEXT) | instid1(VALU_DEP_1)
	v_fma_f32 v4, -v4, v7, v6
	v_div_fmas_f32 v4, v4, v5, v7
	s_delay_alu instid0(VALU_DEP_1)
	v_div_fixup_f32 v4, v4, v3, v1
.LBB16_102:
	s_or_b32 exec_lo, exec_lo, s22
	v_add_nc_u32_e32 v0, 0x80, v0
	global_store_b32 v2, v4, s[4:5]
	s_wait_xcnt 0x0
	s_or_b32 exec_lo, exec_lo, s9
	s_delay_alu instid0(SALU_CYCLE_1)
	s_mov_b32 s9, exec_lo
	v_cmpx_gt_i32_e64 s34, v0
	s_cbranch_execnz .LBB16_15
.LBB16_103:
	s_or_b32 exec_lo, exec_lo, s9
	s_delay_alu instid0(SALU_CYCLE_1)
	s_mov_b32 s9, exec_lo
	v_cmpx_gt_i32_e64 s34, v0
	s_cbranch_execz .LBB16_123
.LBB16_104:
	s_and_not1_b32 vcc_lo, exec_lo, s30
	s_cbranch_vccnz .LBB16_109
; %bb.105:
	s_and_not1_b32 vcc_lo, exec_lo, s36
	s_cbranch_vccnz .LBB16_110
; %bb.106:
	s_add_co_i32 s0, s35, 1
	s_cmp_eq_u32 s29, 2
	s_cbranch_scc1 .LBB16_126
; %bb.107:
	v_dual_mov_b32 v2, 0 :: v_dual_mov_b32 v3, 0
	v_mov_b32_e32 v1, v0
	s_and_b32 s22, s0, 28
	s_mov_b32 s23, 0
	s_mov_b64 s[24:25], s[2:3]
	s_mov_b64 s[26:27], s[20:21]
.LBB16_108:                             ; =>This Inner Loop Header: Depth=1
	s_clause 0x1
	s_load_b256 s[40:47], s[24:25], 0x4
	s_load_b128 s[56:59], s[24:25], 0x24
	s_load_b256 s[48:55], s[26:27], 0x0
	s_add_co_i32 s23, s23, 4
	s_wait_xcnt 0x0
	s_add_nc_u64 s[24:25], s[24:25], 48
	s_cmp_eq_u32 s22, s23
	s_add_nc_u64 s[26:27], s[26:27], 32
	s_wait_kmcnt 0x0
	v_mul_hi_u32 v4, s41, v1
	s_delay_alu instid0(VALU_DEP_1) | instskip(NEXT) | instid1(VALU_DEP_1)
	v_add_nc_u32_e32 v4, v1, v4
	v_lshrrev_b32_e32 v4, s42, v4
	s_delay_alu instid0(VALU_DEP_1) | instskip(NEXT) | instid1(VALU_DEP_1)
	v_mul_hi_u32 v5, s44, v4
	v_add_nc_u32_e32 v5, v4, v5
	s_delay_alu instid0(VALU_DEP_1) | instskip(NEXT) | instid1(VALU_DEP_1)
	v_lshrrev_b32_e32 v5, s45, v5
	v_mul_hi_u32 v6, s47, v5
	s_delay_alu instid0(VALU_DEP_1) | instskip(SKIP_1) | instid1(VALU_DEP_1)
	v_add_nc_u32_e32 v6, v5, v6
	v_mul_lo_u32 v7, v4, s40
	v_sub_nc_u32_e32 v1, v1, v7
	v_mul_lo_u32 v7, v5, s43
	s_delay_alu instid0(VALU_DEP_4) | instskip(NEXT) | instid1(VALU_DEP_3)
	v_lshrrev_b32_e32 v6, s56, v6
	v_mad_u32 v3, v1, s49, v3
	v_mad_u32 v1, v1, s48, v2
	s_delay_alu instid0(VALU_DEP_4) | instskip(NEXT) | instid1(VALU_DEP_4)
	v_sub_nc_u32_e32 v2, v4, v7
	v_mul_hi_u32 v8, s58, v6
	v_mul_lo_u32 v4, v6, s46
	s_delay_alu instid0(VALU_DEP_3) | instskip(SKIP_1) | instid1(VALU_DEP_4)
	v_mad_u32 v3, v2, s51, v3
	v_mad_u32 v2, v2, s50, v1
	v_add_nc_u32_e32 v7, v6, v8
	s_delay_alu instid0(VALU_DEP_1) | instskip(NEXT) | instid1(VALU_DEP_1)
	v_dual_sub_nc_u32 v4, v5, v4 :: v_dual_lshrrev_b32 v1, s59, v7
	v_mad_u32 v3, v4, s53, v3
	s_delay_alu instid0(VALU_DEP_4) | instskip(NEXT) | instid1(VALU_DEP_3)
	v_mad_u32 v2, v4, s52, v2
	v_mul_lo_u32 v5, v1, s57
	s_delay_alu instid0(VALU_DEP_1) | instskip(NEXT) | instid1(VALU_DEP_1)
	v_sub_nc_u32_e32 v4, v6, v5
	v_mad_u32 v3, v4, s55, v3
	s_delay_alu instid0(VALU_DEP_4)
	v_mad_u32 v2, v4, s54, v2
	s_cbranch_scc0 .LBB16_108
	s_branch .LBB16_127
.LBB16_109:
                                        ; implicit-def: $vgpr3
	s_branch .LBB16_131
.LBB16_110:
	v_dual_mov_b32 v3, 0 :: v_dual_mov_b32 v2, 0
	s_branch .LBB16_130
.LBB16_111:
	v_mov_b64_e32 v[2:3], 0
	v_mov_b32_e32 v1, v0
	s_mov_b32 s22, 0
.LBB16_112:
	s_and_b32 s0, s0, 3
	s_mov_b32 s23, 0
	s_cmp_eq_u32 s0, 0
	s_cbranch_scc1 .LBB16_115
; %bb.113:
	s_lshl_b32 s24, s22, 3
	s_mov_b32 s25, s23
	s_mul_u64 s[26:27], s[22:23], 12
	s_add_nc_u64 s[24:25], s[2:3], s[24:25]
	s_delay_alu instid0(SALU_CYCLE_1)
	s_add_nc_u64 s[22:23], s[24:25], 0xc4
	s_add_nc_u64 s[24:25], s[2:3], s[26:27]
.LBB16_114:                             ; =>This Inner Loop Header: Depth=1
	s_load_b96 s[40:42], s[24:25], 0x4
	s_load_b64 s[26:27], s[22:23], 0x0
	s_add_co_i32 s0, s0, -1
	s_wait_xcnt 0x0
	s_add_nc_u64 s[24:25], s[24:25], 12
	s_cmp_lg_u32 s0, 0
	s_add_nc_u64 s[22:23], s[22:23], 8
	s_wait_kmcnt 0x0
	v_mul_hi_u32 v4, s41, v1
	s_delay_alu instid0(VALU_DEP_1) | instskip(NEXT) | instid1(VALU_DEP_1)
	v_add_nc_u32_e32 v4, v1, v4
	v_lshrrev_b32_e32 v4, s42, v4
	s_delay_alu instid0(VALU_DEP_1) | instskip(NEXT) | instid1(VALU_DEP_1)
	v_mul_lo_u32 v5, v4, s40
	v_sub_nc_u32_e32 v1, v1, v5
	s_delay_alu instid0(VALU_DEP_1)
	v_mad_u32 v3, v1, s27, v3
	v_mad_u32 v2, v1, s26, v2
	v_mov_b32_e32 v1, v4
	s_cbranch_scc1 .LBB16_114
.LBB16_115:
	s_cbranch_execnz .LBB16_118
.LBB16_116:
	v_mov_b32_e32 v1, 0
	s_and_not1_b32 vcc_lo, exec_lo, s33
	s_delay_alu instid0(VALU_DEP_1) | instskip(NEXT) | instid1(VALU_DEP_1)
	v_mul_u64_e32 v[2:3], s[16:17], v[0:1]
	v_add_nc_u32_e32 v2, v0, v3
	s_delay_alu instid0(VALU_DEP_1) | instskip(NEXT) | instid1(VALU_DEP_1)
	v_lshrrev_b32_e32 v4, s10, v2
	v_mul_lo_u32 v2, v4, s8
	s_delay_alu instid0(VALU_DEP_1) | instskip(NEXT) | instid1(VALU_DEP_1)
	v_sub_nc_u32_e32 v2, v0, v2
	v_mul_lo_u32 v3, v2, s13
	v_mul_lo_u32 v2, v2, s12
	s_cbranch_vccnz .LBB16_118
; %bb.117:
	v_mov_b32_e32 v5, v1
	s_delay_alu instid0(VALU_DEP_1) | instskip(NEXT) | instid1(VALU_DEP_1)
	v_mul_u64_e32 v[6:7], s[18:19], v[4:5]
	v_add_nc_u32_e32 v1, v4, v7
	s_delay_alu instid0(VALU_DEP_1) | instskip(NEXT) | instid1(VALU_DEP_1)
	v_lshrrev_b32_e32 v1, s1, v1
	v_mul_lo_u32 v1, v1, s11
	s_delay_alu instid0(VALU_DEP_1) | instskip(NEXT) | instid1(VALU_DEP_1)
	v_sub_nc_u32_e32 v1, v4, v1
	v_mad_u32 v2, v1, s14, v2
	v_mad_u32 v3, v1, s15, v3
.LBB16_118:
	global_load_b32 v1, v3, s[6:7]
                                        ; implicit-def: $vgpr4
	s_wait_loadcnt 0x0
	v_cmp_ge_f32_e64 s0, 0x41000000, |v1|
	s_wait_xcnt 0x0
	v_mul_f32_e64 v3, 0x3fb8aa3b, |v1|
	s_and_saveexec_b32 s22, s0
	s_delay_alu instid0(SALU_CYCLE_1)
	s_xor_b32 s0, exec_lo, s22
	s_cbranch_execz .LBB16_120
; %bb.119:
	s_delay_alu instid0(VALU_DEP_1)
	v_rndne_f32_e32 v7, v3
	v_fma_f32 v8, 0x3fb8aa3b, |v1|, -v3
	v_fma_f32 v4, |v1|, 0.5, -2.0
	v_cmp_ngt_f32_e64 vcc_lo, 0xc2ce8ed0, |v1|
	s_mov_b32 s22, 0xa2a2e5b9
	v_sub_f32_e32 v3, v3, v7
	v_fma_f32 v8, 0x32a5705f, |v1|, v8
	v_cvt_i32_f32_e32 v7, v7
	s_delay_alu instid0(VALU_DEP_2) | instskip(NEXT) | instid1(VALU_DEP_1)
	v_add_f32_e32 v3, v3, v8
	v_exp_f32_e32 v3, v3
	v_nop
	s_delay_alu instid0(TRANS32_DEP_1) | instskip(NEXT) | instid1(VALU_DEP_1)
	v_ldexp_f32 v3, v3, v7
	v_cndmask_b32_e32 v3, 0, v3, vcc_lo
	v_cmp_nlt_f32_e64 vcc_lo, 0x42b17218, |v1|
	s_delay_alu instid0(VALU_DEP_2) | instskip(SKIP_1) | instid1(VALU_DEP_1)
	v_cndmask_b32_e32 v1, 0x7f800000, v3, vcc_lo
	v_fmaak_f32 v5, s22, v4, 0x24199b15
	v_fmaak_f32 v6, v4, v5, 0x22a2e5b9
	s_delay_alu instid0(VALU_DEP_1) | instskip(NEXT) | instid1(VALU_DEP_1)
	v_add_f32_e32 v6, 0xa58c275c, v6
	v_fma_f32 v5, v4, v6, -v5
	s_delay_alu instid0(VALU_DEP_1) | instskip(NEXT) | instid1(VALU_DEP_1)
	v_add_f32_e32 v5, 0x26f736c5, v5
	v_fma_f32 v6, v4, v5, -v6
	s_delay_alu instid0(VALU_DEP_1) | instskip(NEXT) | instid1(VALU_DEP_1)
	v_add_f32_e32 v6, 0xa8528116, v6
	v_fma_f32 v5, v4, v6, -v5
	s_delay_alu instid0(VALU_DEP_1) | instskip(NEXT) | instid1(VALU_DEP_1)
	v_add_f32_e32 v5, 0x29acda32, v5
	v_fma_f32 v6, v4, v5, -v6
	s_delay_alu instid0(VALU_DEP_1) | instskip(NEXT) | instid1(VALU_DEP_1)
	v_add_f32_e32 v6, 0xab08b263, v6
	v_fma_f32 v5, v4, v6, -v5
	s_delay_alu instid0(VALU_DEP_1) | instskip(NEXT) | instid1(VALU_DEP_1)
	v_add_f32_e32 v5, 0x2c4ff17f, v5
	v_fma_f32 v6, v4, v5, -v6
	s_delay_alu instid0(VALU_DEP_1) | instskip(NEXT) | instid1(VALU_DEP_1)
	v_add_f32_e32 v6, 0xad97e4ac, v6
	v_fma_f32 v5, v4, v6, -v5
	s_delay_alu instid0(VALU_DEP_1) | instskip(NEXT) | instid1(VALU_DEP_1)
	v_add_f32_e32 v5, 0x2ed4c5f6, v5
	v_fma_f32 v6, v4, v5, -v6
	s_delay_alu instid0(VALU_DEP_1) | instskip(NEXT) | instid1(VALU_DEP_1)
	v_add_f32_e32 v6, 0xb00ea7f1, v6
	v_fma_f32 v5, v4, v6, -v5
	s_delay_alu instid0(VALU_DEP_1) | instskip(NEXT) | instid1(VALU_DEP_1)
	v_add_f32_e32 v5, 0x3136c81d, v5
	v_fma_f32 v6, v4, v5, -v6
	s_delay_alu instid0(VALU_DEP_1) | instskip(NEXT) | instid1(VALU_DEP_1)
	v_add_f32_e32 v6, 0xb25f57b4, v6
	v_fma_f32 v5, v4, v6, -v5
	s_delay_alu instid0(VALU_DEP_1) | instskip(NEXT) | instid1(VALU_DEP_1)
	v_add_f32_e32 v5, 0x3381dbb5, v5
	v_fma_f32 v6, v4, v5, -v6
	s_delay_alu instid0(VALU_DEP_1) | instskip(NEXT) | instid1(VALU_DEP_1)
	v_add_f32_e32 v6, 0xb48f631c, v6
	v_fma_f32 v5, v4, v6, -v5
	s_delay_alu instid0(VALU_DEP_1) | instskip(NEXT) | instid1(VALU_DEP_1)
	v_add_f32_e32 v5, 0x3595f925, v5
	v_fma_f32 v6, v4, v5, -v6
	s_delay_alu instid0(VALU_DEP_1) | instskip(NEXT) | instid1(VALU_DEP_1)
	v_add_f32_e32 v6, 0xb694337e, v6
	v_fma_f32 v5, v4, v6, -v5
	s_delay_alu instid0(VALU_DEP_1) | instskip(NEXT) | instid1(VALU_DEP_1)
	v_add_f32_e32 v5, 0x3789fac6, v5
	v_fma_f32 v6, v4, v5, -v6
	s_delay_alu instid0(VALU_DEP_1) | instskip(NEXT) | instid1(VALU_DEP_1)
	v_add_f32_e32 v6, 0xb8715933, v6
	v_fma_f32 v5, v4, v6, -v5
	s_delay_alu instid0(VALU_DEP_1) | instskip(NEXT) | instid1(VALU_DEP_1)
	v_add_f32_e32 v5, 0x3945a8dc, v5
	v_fma_f32 v6, v4, v5, -v6
	s_delay_alu instid0(VALU_DEP_1) | instskip(NEXT) | instid1(VALU_DEP_1)
	v_add_f32_e32 v6, 0xba1717e9, v6
	v_fma_f32 v5, v4, v6, -v5
	s_delay_alu instid0(VALU_DEP_1) | instskip(NEXT) | instid1(VALU_DEP_1)
	v_add_f32_e32 v5, 0x3ad6e3ac, v5
	v_fma_f32 v6, v4, v5, -v6
	s_delay_alu instid0(VALU_DEP_1) | instskip(NEXT) | instid1(VALU_DEP_1)
	v_add_f32_e32 v6, 0xbb8db2f1, v6
	v_fma_f32 v5, v4, v6, -v5
	s_delay_alu instid0(VALU_DEP_1) | instskip(NEXT) | instid1(VALU_DEP_1)
	v_add_f32_e32 v5, 0x3c2ccb10, v5
	v_fma_f32 v6, v4, v5, -v6
	s_delay_alu instid0(VALU_DEP_1) | instskip(NEXT) | instid1(VALU_DEP_1)
	v_add_f32_e32 v6, 0xbcc274f8, v6
	v_fma_f32 v5, v4, v6, -v5
	s_delay_alu instid0(VALU_DEP_1) | instskip(NEXT) | instid1(VALU_DEP_1)
	v_add_f32_e32 v5, 0x3d49f456, v5
	v_fma_f32 v6, v4, v5, -v6
	s_delay_alu instid0(VALU_DEP_1) | instskip(NEXT) | instid1(VALU_DEP_1)
	v_add_f32_e32 v6, 0xbdc25b82, v6
	v_fma_f32 v5, v4, v6, -v5
	s_delay_alu instid0(VALU_DEP_1) | instskip(NEXT) | instid1(VALU_DEP_1)
	v_add_f32_e32 v5, 0x3e2fbd64, v5
	v_fma_f32 v6, v4, v5, -v6
	s_delay_alu instid0(VALU_DEP_1) | instskip(NEXT) | instid1(VALU_DEP_1)
	v_add_f32_e32 v6, 0xbe9bff5e, v6
	v_fma_f32 v4, v4, v6, -v5
	s_delay_alu instid0(VALU_DEP_1) | instskip(NEXT) | instid1(VALU_DEP_1)
	v_add_f32_e32 v4, 0x3f2d4275, v4
	v_sub_f32_e32 v4, v4, v5
	s_delay_alu instid0(VALU_DEP_1) | instskip(NEXT) | instid1(VALU_DEP_1)
	v_mul_f32_e32 v3, 0.5, v4
	v_mul_f32_e32 v4, v1, v3
                                        ; implicit-def: $vgpr1
                                        ; implicit-def: $vgpr3
.LBB16_120:
	s_and_not1_saveexec_b32 s22, s0
	s_cbranch_execz .LBB16_122
; %bb.121:
	v_and_b32_e32 v4, 0x7fffffff, v1
	v_fma_f32 v9, 0x3fb8aa3b, |v1|, -v3
	s_mov_b32 s0, 0xa3056dbb
	s_delay_alu instid0(VALU_DEP_2) | instskip(SKIP_1) | instid1(VALU_DEP_3)
	v_div_scale_f32 v5, null, v4, v4, 0x42000000
	v_div_scale_f32 v4, vcc_lo, 0x42000000, v4, 0x42000000
	v_fma_f32 v9, 0x32a5705f, |v1|, v9
	s_delay_alu instid0(VALU_DEP_3) | instskip(SKIP_1) | instid1(TRANS32_DEP_1)
	v_rcp_f32_e32 v6, v5
	v_nop
	v_fma_f32 v7, -v5, v6, 1.0
	s_delay_alu instid0(VALU_DEP_1) | instskip(NEXT) | instid1(VALU_DEP_1)
	v_fmac_f32_e32 v6, v7, v6
	v_mul_f32_e32 v7, v4, v6
	s_delay_alu instid0(VALU_DEP_1) | instskip(NEXT) | instid1(VALU_DEP_1)
	v_fma_f32 v8, -v5, v7, v4
	v_fmac_f32_e32 v7, v8, v6
	v_rndne_f32_e32 v8, v3
	s_delay_alu instid0(VALU_DEP_1) | instskip(SKIP_1) | instid1(VALU_DEP_2)
	v_dual_fma_f32 v4, -v5, v7, v4 :: v_dual_sub_f32 v3, v3, v8
	v_cvt_i32_f32_e32 v8, v8
	v_div_fmas_f32 v4, v4, v6, v7
	v_mul_f32_e64 v7, 0x4f800000, |v1|
	v_cmp_gt_f32_e64 vcc_lo, 0xf800000, |v1|
	v_add_f32_e32 v3, v3, v9
	s_delay_alu instid0(VALU_DEP_4) | instskip(NEXT) | instid1(VALU_DEP_3)
	v_div_fixup_f32 v4, v4, |v1|, 0x42000000
	v_cndmask_b32_e64 v7, |v1|, v7, vcc_lo
	s_delay_alu instid0(VALU_DEP_3) | instskip(NEXT) | instid1(VALU_DEP_2)
	v_exp_f32_e32 v3, v3
	v_add_f32_e32 v4, -2.0, v4
	s_delay_alu instid0(VALU_DEP_2) | instskip(NEXT) | instid1(VALU_DEP_1)
	v_sqrt_f32_e32 v10, v7
	v_fmaak_f32 v5, s0, v4, 0xa2b236d3
	s_delay_alu instid0(TRANS32_DEP_2)
	v_ldexp_f32 v3, v3, v8
	s_delay_alu instid0(TRANS32_DEP_1) | instid1(VALU_DEP_2)
	v_dual_fmaak_f32 v6, v4, v5, 0x23056dbb :: v_dual_add_nc_u32 v11, -1, v10
	s_delay_alu instid0(VALU_DEP_1) | instskip(NEXT) | instid1(VALU_DEP_2)
	v_dual_add_nc_u32 v9, 1, v10 :: v_dual_fma_f32 v12, -v11, v10, v7
	v_add_f32_e32 v6, 0x244df0c1, v6
	s_delay_alu instid0(VALU_DEP_2) | instskip(NEXT) | instid1(VALU_DEP_3)
	v_fma_f32 v13, -v9, v10, v7
	v_cmp_ge_f32_e64 s0, 0, v12
	s_delay_alu instid0(VALU_DEP_1) | instskip(NEXT) | instid1(VALU_DEP_1)
	v_dual_fma_f32 v5, v4, v6, -v5 :: v_dual_cndmask_b32 v10, v10, v11, s0
	v_add_f32_e32 v5, 0x241f9ee8, v5
	s_delay_alu instid0(VALU_DEP_4) | instskip(NEXT) | instid1(VALU_DEP_2)
	v_cmp_lt_f32_e64 s0, 0, v13
	v_fma_f32 v6, v4, v5, -v6
	s_delay_alu instid0(VALU_DEP_1) | instskip(NEXT) | instid1(VALU_DEP_1)
	v_add_f32_e32 v6, 0xa5a3005d, v6
	v_fma_f32 v5, v4, v6, -v5
	s_delay_alu instid0(VALU_DEP_1) | instskip(NEXT) | instid1(VALU_DEP_1)
	v_add_f32_e32 v5, 0xa5c5773f, v5
	;; [unrolled: 3-line block ×20, first 2 shown]
	v_fma_f32 v4, v4, v5, -v6
	v_cndmask_b32_e64 v5, v10, v9, s0
	v_cmp_ngt_f32_e64 s0, 0xc2ce8ed0, |v1|
	s_delay_alu instid0(VALU_DEP_3) | instskip(NEXT) | instid1(VALU_DEP_3)
	v_add_f32_e32 v4, 0x3f4df315, v4
	v_mul_f32_e32 v8, 0x37800000, v5
	s_delay_alu instid0(VALU_DEP_3) | instskip(SKIP_1) | instid1(VALU_DEP_4)
	v_cndmask_b32_e64 v3, 0, v3, s0
	v_cmp_nlt_f32_e64 s0, 0x42b17218, |v1|
	v_sub_f32_e32 v4, v4, v6
	s_delay_alu instid0(VALU_DEP_2) | instskip(SKIP_1) | instid1(VALU_DEP_3)
	v_cndmask_b32_e64 v1, 0x7f800000, v3, s0
	v_cndmask_b32_e32 v3, v5, v8, vcc_lo
	v_mul_f32_e32 v4, 0.5, v4
	v_cmp_class_f32_e64 vcc_lo, v7, 0x260
	s_delay_alu instid0(VALU_DEP_1) | instskip(NEXT) | instid1(VALU_DEP_1)
	v_dual_mul_f32 v1, v1, v4 :: v_dual_cndmask_b32 v3, v3, v7, vcc_lo
	v_div_scale_f32 v4, null, v3, v3, v1
	s_delay_alu instid0(VALU_DEP_1) | instskip(SKIP_1) | instid1(TRANS32_DEP_1)
	v_rcp_f32_e32 v5, v4
	v_nop
	v_fma_f32 v6, -v4, v5, 1.0
	s_delay_alu instid0(VALU_DEP_1) | instskip(SKIP_1) | instid1(VALU_DEP_1)
	v_fmac_f32_e32 v5, v6, v5
	v_div_scale_f32 v6, vcc_lo, v1, v3, v1
	v_mul_f32_e32 v7, v6, v5
	s_delay_alu instid0(VALU_DEP_1) | instskip(NEXT) | instid1(VALU_DEP_1)
	v_fma_f32 v8, -v4, v7, v6
	v_fmac_f32_e32 v7, v8, v5
	s_delay_alu instid0(VALU_DEP_1) | instskip(NEXT) | instid1(VALU_DEP_1)
	v_fma_f32 v4, -v4, v7, v6
	v_div_fmas_f32 v4, v4, v5, v7
	s_delay_alu instid0(VALU_DEP_1)
	v_div_fixup_f32 v4, v4, v3, v1
.LBB16_122:
	s_or_b32 exec_lo, exec_lo, s22
	v_add_nc_u32_e32 v0, 0x80, v0
	global_store_b32 v2, v4, s[4:5]
	s_wait_xcnt 0x0
	s_or_b32 exec_lo, exec_lo, s9
	s_delay_alu instid0(SALU_CYCLE_1)
	s_mov_b32 s9, exec_lo
	v_cmpx_gt_i32_e64 s34, v0
	s_cbranch_execnz .LBB16_104
.LBB16_123:
	s_or_b32 exec_lo, exec_lo, s9
	s_delay_alu instid0(SALU_CYCLE_1)
	s_mov_b32 s9, exec_lo
	v_cmpx_gt_i32_e64 s34, v0
	s_cbranch_execnz .LBB16_138
.LBB16_124:
	s_or_b32 exec_lo, exec_lo, s9
                                        ; implicit-def: $vgpr8
                                        ; implicit-def: $vgpr0
	s_and_not1_saveexec_b32 s0, s31
	s_cbranch_execnz .LBB16_8
.LBB16_125:
	s_endpgm
.LBB16_126:
	v_mov_b64_e32 v[2:3], 0
	v_mov_b32_e32 v1, v0
	s_mov_b32 s22, 0
.LBB16_127:
	s_and_b32 s0, s0, 3
	s_mov_b32 s23, 0
	s_cmp_eq_u32 s0, 0
	s_cbranch_scc1 .LBB16_130
; %bb.128:
	s_lshl_b32 s24, s22, 3
	s_mov_b32 s25, s23
	s_mul_u64 s[26:27], s[22:23], 12
	s_add_nc_u64 s[24:25], s[2:3], s[24:25]
	s_delay_alu instid0(SALU_CYCLE_1)
	s_add_nc_u64 s[22:23], s[24:25], 0xc4
	s_add_nc_u64 s[24:25], s[2:3], s[26:27]
.LBB16_129:                             ; =>This Inner Loop Header: Depth=1
	s_load_b96 s[40:42], s[24:25], 0x4
	s_load_b64 s[26:27], s[22:23], 0x0
	s_add_co_i32 s0, s0, -1
	s_wait_xcnt 0x0
	s_add_nc_u64 s[24:25], s[24:25], 12
	s_cmp_lg_u32 s0, 0
	s_add_nc_u64 s[22:23], s[22:23], 8
	s_wait_kmcnt 0x0
	v_mul_hi_u32 v4, s41, v1
	s_delay_alu instid0(VALU_DEP_1) | instskip(NEXT) | instid1(VALU_DEP_1)
	v_add_nc_u32_e32 v4, v1, v4
	v_lshrrev_b32_e32 v4, s42, v4
	s_delay_alu instid0(VALU_DEP_1) | instskip(NEXT) | instid1(VALU_DEP_1)
	v_mul_lo_u32 v5, v4, s40
	v_sub_nc_u32_e32 v1, v1, v5
	s_delay_alu instid0(VALU_DEP_1)
	v_mad_u32 v3, v1, s27, v3
	v_mad_u32 v2, v1, s26, v2
	v_mov_b32_e32 v1, v4
	s_cbranch_scc1 .LBB16_129
.LBB16_130:
	s_cbranch_execnz .LBB16_133
.LBB16_131:
	v_mov_b32_e32 v1, 0
	s_and_not1_b32 vcc_lo, exec_lo, s33
	s_delay_alu instid0(VALU_DEP_1) | instskip(NEXT) | instid1(VALU_DEP_1)
	v_mul_u64_e32 v[2:3], s[16:17], v[0:1]
	v_add_nc_u32_e32 v2, v0, v3
	s_delay_alu instid0(VALU_DEP_1) | instskip(NEXT) | instid1(VALU_DEP_1)
	v_lshrrev_b32_e32 v4, s10, v2
	v_mul_lo_u32 v2, v4, s8
	s_delay_alu instid0(VALU_DEP_1) | instskip(NEXT) | instid1(VALU_DEP_1)
	v_sub_nc_u32_e32 v2, v0, v2
	v_mul_lo_u32 v3, v2, s13
	v_mul_lo_u32 v2, v2, s12
	s_cbranch_vccnz .LBB16_133
; %bb.132:
	v_mov_b32_e32 v5, v1
	s_delay_alu instid0(VALU_DEP_1) | instskip(NEXT) | instid1(VALU_DEP_1)
	v_mul_u64_e32 v[6:7], s[18:19], v[4:5]
	v_add_nc_u32_e32 v1, v4, v7
	s_delay_alu instid0(VALU_DEP_1) | instskip(NEXT) | instid1(VALU_DEP_1)
	v_lshrrev_b32_e32 v1, s1, v1
	v_mul_lo_u32 v1, v1, s11
	s_delay_alu instid0(VALU_DEP_1) | instskip(NEXT) | instid1(VALU_DEP_1)
	v_sub_nc_u32_e32 v1, v4, v1
	v_mad_u32 v2, v1, s14, v2
	v_mad_u32 v3, v1, s15, v3
.LBB16_133:
	global_load_b32 v1, v3, s[6:7]
                                        ; implicit-def: $vgpr4
	s_wait_loadcnt 0x0
	v_cmp_ge_f32_e64 s0, 0x41000000, |v1|
	s_wait_xcnt 0x0
	v_mul_f32_e64 v3, 0x3fb8aa3b, |v1|
	s_and_saveexec_b32 s22, s0
	s_delay_alu instid0(SALU_CYCLE_1)
	s_xor_b32 s0, exec_lo, s22
	s_cbranch_execz .LBB16_135
; %bb.134:
	s_delay_alu instid0(VALU_DEP_1)
	v_rndne_f32_e32 v7, v3
	v_fma_f32 v8, 0x3fb8aa3b, |v1|, -v3
	v_fma_f32 v4, |v1|, 0.5, -2.0
	v_cmp_ngt_f32_e64 vcc_lo, 0xc2ce8ed0, |v1|
	s_mov_b32 s22, 0xa2a2e5b9
	v_sub_f32_e32 v3, v3, v7
	v_fma_f32 v8, 0x32a5705f, |v1|, v8
	v_cvt_i32_f32_e32 v7, v7
	s_delay_alu instid0(VALU_DEP_2) | instskip(NEXT) | instid1(VALU_DEP_1)
	v_add_f32_e32 v3, v3, v8
	v_exp_f32_e32 v3, v3
	v_nop
	s_delay_alu instid0(TRANS32_DEP_1) | instskip(NEXT) | instid1(VALU_DEP_1)
	v_ldexp_f32 v3, v3, v7
	v_cndmask_b32_e32 v3, 0, v3, vcc_lo
	v_cmp_nlt_f32_e64 vcc_lo, 0x42b17218, |v1|
	s_delay_alu instid0(VALU_DEP_2) | instskip(SKIP_1) | instid1(VALU_DEP_1)
	v_cndmask_b32_e32 v1, 0x7f800000, v3, vcc_lo
	v_fmaak_f32 v5, s22, v4, 0x24199b15
	v_fmaak_f32 v6, v4, v5, 0x22a2e5b9
	s_delay_alu instid0(VALU_DEP_1) | instskip(NEXT) | instid1(VALU_DEP_1)
	v_add_f32_e32 v6, 0xa58c275c, v6
	v_fma_f32 v5, v4, v6, -v5
	s_delay_alu instid0(VALU_DEP_1) | instskip(NEXT) | instid1(VALU_DEP_1)
	v_add_f32_e32 v5, 0x26f736c5, v5
	v_fma_f32 v6, v4, v5, -v6
	;; [unrolled: 3-line block ×27, first 2 shown]
	s_delay_alu instid0(VALU_DEP_1) | instskip(NEXT) | instid1(VALU_DEP_1)
	v_add_f32_e32 v4, 0x3f2d4275, v4
	v_sub_f32_e32 v4, v4, v5
	s_delay_alu instid0(VALU_DEP_1) | instskip(NEXT) | instid1(VALU_DEP_1)
	v_mul_f32_e32 v3, 0.5, v4
	v_mul_f32_e32 v4, v1, v3
                                        ; implicit-def: $vgpr1
                                        ; implicit-def: $vgpr3
.LBB16_135:
	s_and_not1_saveexec_b32 s22, s0
	s_cbranch_execz .LBB16_137
; %bb.136:
	v_and_b32_e32 v4, 0x7fffffff, v1
	v_fma_f32 v9, 0x3fb8aa3b, |v1|, -v3
	s_mov_b32 s0, 0xa3056dbb
	s_delay_alu instid0(VALU_DEP_2) | instskip(SKIP_1) | instid1(VALU_DEP_3)
	v_div_scale_f32 v5, null, v4, v4, 0x42000000
	v_div_scale_f32 v4, vcc_lo, 0x42000000, v4, 0x42000000
	v_fma_f32 v9, 0x32a5705f, |v1|, v9
	s_delay_alu instid0(VALU_DEP_3) | instskip(SKIP_1) | instid1(TRANS32_DEP_1)
	v_rcp_f32_e32 v6, v5
	v_nop
	v_fma_f32 v7, -v5, v6, 1.0
	s_delay_alu instid0(VALU_DEP_1) | instskip(NEXT) | instid1(VALU_DEP_1)
	v_fmac_f32_e32 v6, v7, v6
	v_mul_f32_e32 v7, v4, v6
	s_delay_alu instid0(VALU_DEP_1) | instskip(NEXT) | instid1(VALU_DEP_1)
	v_fma_f32 v8, -v5, v7, v4
	v_fmac_f32_e32 v7, v8, v6
	v_rndne_f32_e32 v8, v3
	s_delay_alu instid0(VALU_DEP_1) | instskip(SKIP_1) | instid1(VALU_DEP_2)
	v_dual_fma_f32 v4, -v5, v7, v4 :: v_dual_sub_f32 v3, v3, v8
	v_cvt_i32_f32_e32 v8, v8
	v_div_fmas_f32 v4, v4, v6, v7
	v_mul_f32_e64 v7, 0x4f800000, |v1|
	v_cmp_gt_f32_e64 vcc_lo, 0xf800000, |v1|
	v_add_f32_e32 v3, v3, v9
	s_delay_alu instid0(VALU_DEP_4) | instskip(NEXT) | instid1(VALU_DEP_3)
	v_div_fixup_f32 v4, v4, |v1|, 0x42000000
	v_cndmask_b32_e64 v7, |v1|, v7, vcc_lo
	s_delay_alu instid0(VALU_DEP_3) | instskip(NEXT) | instid1(VALU_DEP_2)
	v_exp_f32_e32 v3, v3
	v_add_f32_e32 v4, -2.0, v4
	s_delay_alu instid0(VALU_DEP_2) | instskip(NEXT) | instid1(VALU_DEP_1)
	v_sqrt_f32_e32 v10, v7
	v_fmaak_f32 v5, s0, v4, 0xa2b236d3
	s_delay_alu instid0(TRANS32_DEP_2)
	v_ldexp_f32 v3, v3, v8
	s_delay_alu instid0(TRANS32_DEP_1) | instid1(VALU_DEP_2)
	v_dual_fmaak_f32 v6, v4, v5, 0x23056dbb :: v_dual_add_nc_u32 v11, -1, v10
	s_delay_alu instid0(VALU_DEP_1) | instskip(NEXT) | instid1(VALU_DEP_2)
	v_dual_add_nc_u32 v9, 1, v10 :: v_dual_fma_f32 v12, -v11, v10, v7
	v_add_f32_e32 v6, 0x244df0c1, v6
	s_delay_alu instid0(VALU_DEP_2) | instskip(NEXT) | instid1(VALU_DEP_3)
	v_fma_f32 v13, -v9, v10, v7
	v_cmp_ge_f32_e64 s0, 0, v12
	s_delay_alu instid0(VALU_DEP_1) | instskip(NEXT) | instid1(VALU_DEP_1)
	v_dual_fma_f32 v5, v4, v6, -v5 :: v_dual_cndmask_b32 v10, v10, v11, s0
	v_add_f32_e32 v5, 0x241f9ee8, v5
	s_delay_alu instid0(VALU_DEP_4) | instskip(NEXT) | instid1(VALU_DEP_2)
	v_cmp_lt_f32_e64 s0, 0, v13
	v_fma_f32 v6, v4, v5, -v6
	s_delay_alu instid0(VALU_DEP_1) | instskip(NEXT) | instid1(VALU_DEP_1)
	v_add_f32_e32 v6, 0xa5a3005d, v6
	v_fma_f32 v5, v4, v6, -v5
	s_delay_alu instid0(VALU_DEP_1) | instskip(NEXT) | instid1(VALU_DEP_1)
	v_add_f32_e32 v5, 0xa5c5773f, v5
	;; [unrolled: 3-line block ×20, first 2 shown]
	v_fma_f32 v4, v4, v5, -v6
	v_cndmask_b32_e64 v5, v10, v9, s0
	v_cmp_ngt_f32_e64 s0, 0xc2ce8ed0, |v1|
	s_delay_alu instid0(VALU_DEP_3) | instskip(NEXT) | instid1(VALU_DEP_3)
	v_add_f32_e32 v4, 0x3f4df315, v4
	v_mul_f32_e32 v8, 0x37800000, v5
	s_delay_alu instid0(VALU_DEP_3) | instskip(SKIP_1) | instid1(VALU_DEP_4)
	v_cndmask_b32_e64 v3, 0, v3, s0
	v_cmp_nlt_f32_e64 s0, 0x42b17218, |v1|
	v_sub_f32_e32 v4, v4, v6
	s_delay_alu instid0(VALU_DEP_2) | instskip(SKIP_1) | instid1(VALU_DEP_3)
	v_cndmask_b32_e64 v1, 0x7f800000, v3, s0
	v_cndmask_b32_e32 v3, v5, v8, vcc_lo
	v_mul_f32_e32 v4, 0.5, v4
	v_cmp_class_f32_e64 vcc_lo, v7, 0x260
	s_delay_alu instid0(VALU_DEP_1) | instskip(NEXT) | instid1(VALU_DEP_1)
	v_dual_mul_f32 v1, v1, v4 :: v_dual_cndmask_b32 v3, v3, v7, vcc_lo
	v_div_scale_f32 v4, null, v3, v3, v1
	s_delay_alu instid0(VALU_DEP_1) | instskip(SKIP_1) | instid1(TRANS32_DEP_1)
	v_rcp_f32_e32 v5, v4
	v_nop
	v_fma_f32 v6, -v4, v5, 1.0
	s_delay_alu instid0(VALU_DEP_1) | instskip(SKIP_1) | instid1(VALU_DEP_1)
	v_fmac_f32_e32 v5, v6, v5
	v_div_scale_f32 v6, vcc_lo, v1, v3, v1
	v_mul_f32_e32 v7, v6, v5
	s_delay_alu instid0(VALU_DEP_1) | instskip(NEXT) | instid1(VALU_DEP_1)
	v_fma_f32 v8, -v4, v7, v6
	v_fmac_f32_e32 v7, v8, v5
	s_delay_alu instid0(VALU_DEP_1) | instskip(NEXT) | instid1(VALU_DEP_1)
	v_fma_f32 v4, -v4, v7, v6
	v_div_fmas_f32 v4, v4, v5, v7
	s_delay_alu instid0(VALU_DEP_1)
	v_div_fixup_f32 v4, v4, v3, v1
.LBB16_137:
	s_or_b32 exec_lo, exec_lo, s22
	v_add_nc_u32_e32 v0, 0x80, v0
	global_store_b32 v2, v4, s[4:5]
	s_wait_xcnt 0x0
	s_or_b32 exec_lo, exec_lo, s9
	s_delay_alu instid0(SALU_CYCLE_1)
	s_mov_b32 s9, exec_lo
	v_cmpx_gt_i32_e64 s34, v0
	s_cbranch_execz .LBB16_124
.LBB16_138:
	s_and_not1_b32 vcc_lo, exec_lo, s30
	s_cbranch_vccnz .LBB16_143
; %bb.139:
	s_and_not1_b32 vcc_lo, exec_lo, s36
	s_cbranch_vccnz .LBB16_144
; %bb.140:
	s_add_co_i32 s35, s35, 1
	s_cmp_eq_u32 s29, 2
	s_cbranch_scc1 .LBB16_145
; %bb.141:
	v_dual_mov_b32 v2, 0 :: v_dual_mov_b32 v3, 0
	v_mov_b32_e32 v1, v0
	s_and_b32 s22, s35, 28
	s_mov_b32 s0, 0
	s_mov_b64 s[24:25], s[2:3]
.LBB16_142:                             ; =>This Inner Loop Header: Depth=1
	s_clause 0x1
	s_load_b256 s[36:43], s[24:25], 0x4
	s_load_b128 s[52:55], s[24:25], 0x24
	s_load_b256 s[44:51], s[20:21], 0x0
	s_add_co_i32 s0, s0, 4
	s_wait_xcnt 0x0
	s_add_nc_u64 s[24:25], s[24:25], 48
	s_cmp_eq_u32 s22, s0
	s_add_nc_u64 s[20:21], s[20:21], 32
	s_wait_kmcnt 0x0
	v_mul_hi_u32 v4, s37, v1
	s_delay_alu instid0(VALU_DEP_1) | instskip(NEXT) | instid1(VALU_DEP_1)
	v_add_nc_u32_e32 v4, v1, v4
	v_lshrrev_b32_e32 v4, s38, v4
	s_delay_alu instid0(VALU_DEP_1) | instskip(NEXT) | instid1(VALU_DEP_1)
	v_mul_hi_u32 v5, s40, v4
	v_add_nc_u32_e32 v5, v4, v5
	s_delay_alu instid0(VALU_DEP_1) | instskip(NEXT) | instid1(VALU_DEP_1)
	v_lshrrev_b32_e32 v5, s41, v5
	v_mul_hi_u32 v6, s43, v5
	s_delay_alu instid0(VALU_DEP_1) | instskip(SKIP_1) | instid1(VALU_DEP_1)
	v_add_nc_u32_e32 v6, v5, v6
	v_mul_lo_u32 v7, v4, s36
	v_sub_nc_u32_e32 v1, v1, v7
	v_mul_lo_u32 v7, v5, s39
	s_delay_alu instid0(VALU_DEP_4) | instskip(NEXT) | instid1(VALU_DEP_3)
	v_lshrrev_b32_e32 v6, s52, v6
	v_mad_u32 v3, v1, s45, v3
	v_mad_u32 v1, v1, s44, v2
	s_delay_alu instid0(VALU_DEP_4) | instskip(NEXT) | instid1(VALU_DEP_4)
	v_sub_nc_u32_e32 v2, v4, v7
	v_mul_hi_u32 v8, s54, v6
	v_mul_lo_u32 v4, v6, s42
	s_delay_alu instid0(VALU_DEP_3) | instskip(SKIP_1) | instid1(VALU_DEP_4)
	v_mad_u32 v3, v2, s47, v3
	v_mad_u32 v2, v2, s46, v1
	v_add_nc_u32_e32 v7, v6, v8
	s_delay_alu instid0(VALU_DEP_1) | instskip(NEXT) | instid1(VALU_DEP_1)
	v_dual_sub_nc_u32 v4, v5, v4 :: v_dual_lshrrev_b32 v1, s55, v7
	v_mad_u32 v3, v4, s49, v3
	s_delay_alu instid0(VALU_DEP_4) | instskip(NEXT) | instid1(VALU_DEP_3)
	v_mad_u32 v2, v4, s48, v2
	v_mul_lo_u32 v5, v1, s53
	s_delay_alu instid0(VALU_DEP_1) | instskip(NEXT) | instid1(VALU_DEP_1)
	v_sub_nc_u32_e32 v4, v6, v5
	v_mad_u32 v3, v4, s51, v3
	s_delay_alu instid0(VALU_DEP_4)
	v_mad_u32 v2, v4, s50, v2
	s_cbranch_scc0 .LBB16_142
	s_branch .LBB16_146
.LBB16_143:
                                        ; implicit-def: $vgpr3
	s_branch .LBB16_150
.LBB16_144:
	v_dual_mov_b32 v3, 0 :: v_dual_mov_b32 v2, 0
	s_branch .LBB16_149
.LBB16_145:
	v_mov_b64_e32 v[2:3], 0
	v_mov_b32_e32 v1, v0
	s_mov_b32 s22, 0
.LBB16_146:
	s_and_b32 s0, s35, 3
	s_mov_b32 s23, 0
	s_cmp_eq_u32 s0, 0
	s_cbranch_scc1 .LBB16_149
; %bb.147:
	s_lshl_b32 s20, s22, 3
	s_mov_b32 s21, s23
	s_mul_u64 s[22:23], s[22:23], 12
	s_add_nc_u64 s[20:21], s[2:3], s[20:21]
	s_add_nc_u64 s[22:23], s[2:3], s[22:23]
	;; [unrolled: 1-line block ×3, first 2 shown]
.LBB16_148:                             ; =>This Inner Loop Header: Depth=1
	s_load_b96 s[24:26], s[22:23], 0x4
	s_add_co_i32 s0, s0, -1
	s_wait_xcnt 0x0
	s_add_nc_u64 s[22:23], s[22:23], 12
	s_cmp_lg_u32 s0, 0
	s_wait_kmcnt 0x0
	v_mul_hi_u32 v4, s25, v1
	s_delay_alu instid0(VALU_DEP_1) | instskip(NEXT) | instid1(VALU_DEP_1)
	v_add_nc_u32_e32 v4, v1, v4
	v_lshrrev_b32_e32 v4, s26, v4
	s_load_b64 s[26:27], s[20:21], 0x0
	s_wait_xcnt 0x0
	s_add_nc_u64 s[20:21], s[20:21], 8
	s_delay_alu instid0(VALU_DEP_1) | instskip(NEXT) | instid1(VALU_DEP_1)
	v_mul_lo_u32 v5, v4, s24
	v_sub_nc_u32_e32 v1, v1, v5
	s_wait_kmcnt 0x0
	s_delay_alu instid0(VALU_DEP_1)
	v_mad_u32 v3, v1, s27, v3
	v_mad_u32 v2, v1, s26, v2
	v_mov_b32_e32 v1, v4
	s_cbranch_scc1 .LBB16_148
.LBB16_149:
	s_cbranch_execnz .LBB16_152
.LBB16_150:
	v_mov_b32_e32 v1, 0
	s_and_not1_b32 vcc_lo, exec_lo, s33
	s_delay_alu instid0(VALU_DEP_1) | instskip(NEXT) | instid1(VALU_DEP_1)
	v_mul_u64_e32 v[2:3], s[16:17], v[0:1]
	v_add_nc_u32_e32 v2, v0, v3
	s_delay_alu instid0(VALU_DEP_1) | instskip(NEXT) | instid1(VALU_DEP_1)
	v_lshrrev_b32_e32 v4, s10, v2
	v_mul_lo_u32 v2, v4, s8
	s_delay_alu instid0(VALU_DEP_1) | instskip(NEXT) | instid1(VALU_DEP_1)
	v_sub_nc_u32_e32 v0, v0, v2
	v_mul_lo_u32 v3, v0, s13
	v_mul_lo_u32 v2, v0, s12
	s_cbranch_vccnz .LBB16_152
; %bb.151:
	v_mov_b32_e32 v5, v1
	s_delay_alu instid0(VALU_DEP_1) | instskip(NEXT) | instid1(VALU_DEP_1)
	v_mul_u64_e32 v[0:1], s[18:19], v[4:5]
	v_add_nc_u32_e32 v0, v4, v1
	s_delay_alu instid0(VALU_DEP_1) | instskip(NEXT) | instid1(VALU_DEP_1)
	v_lshrrev_b32_e32 v0, s1, v0
	v_mul_lo_u32 v0, v0, s11
	s_delay_alu instid0(VALU_DEP_1) | instskip(NEXT) | instid1(VALU_DEP_1)
	v_sub_nc_u32_e32 v0, v4, v0
	v_mad_u32 v2, v0, s14, v2
	v_mad_u32 v3, v0, s15, v3
.LBB16_152:
	global_load_b32 v0, v3, s[6:7]
                                        ; implicit-def: $vgpr3
	s_wait_loadcnt 0x0
	v_cmp_ge_f32_e64 s0, 0x41000000, |v0|
	v_mul_f32_e64 v1, 0x3fb8aa3b, |v0|
	s_wait_xcnt 0x0
	s_and_saveexec_b32 s1, s0
	s_delay_alu instid0(SALU_CYCLE_1)
	s_xor_b32 s0, exec_lo, s1
	s_cbranch_execz .LBB16_154
; %bb.153:
	v_fma_f32 v3, |v0|, 0.5, -2.0
	s_mov_b32 s1, 0xa2a2e5b9
	v_rndne_f32_e32 v6, v1
	v_fma_f32 v7, 0x3fb8aa3b, |v0|, -v1
	v_cmp_ngt_f32_e64 vcc_lo, 0xc2ce8ed0, |v0|
	s_delay_alu instid0(VALU_DEP_3) | instskip(NEXT) | instid1(VALU_DEP_3)
	v_dual_fmaak_f32 v4, s1, v3, 0x24199b15 :: v_dual_sub_f32 v1, v1, v6
	v_fma_f32 v7, 0x32a5705f, |v0|, v7
	v_cvt_i32_f32_e32 v6, v6
	s_delay_alu instid0(VALU_DEP_3) | instskip(NEXT) | instid1(VALU_DEP_3)
	v_fmaak_f32 v5, v3, v4, 0x22a2e5b9
	v_add_f32_e32 v1, v1, v7
	s_delay_alu instid0(VALU_DEP_2) | instskip(NEXT) | instid1(VALU_DEP_2)
	v_add_f32_e32 v5, 0xa58c275c, v5
	v_exp_f32_e32 v1, v1
	s_delay_alu instid0(VALU_DEP_1) | instskip(NEXT) | instid1(TRANS32_DEP_1)
	v_fma_f32 v4, v3, v5, -v4
	v_ldexp_f32 v1, v1, v6
	s_delay_alu instid0(VALU_DEP_1) | instskip(NEXT) | instid1(VALU_DEP_1)
	v_dual_add_f32 v4, 0x26f736c5, v4 :: v_dual_cndmask_b32 v1, 0, v1
	v_fma_f32 v5, v3, v4, -v5
	v_cmp_nlt_f32_e64 vcc_lo, 0x42b17218, |v0|
	s_delay_alu instid0(VALU_DEP_2) | instskip(NEXT) | instid1(VALU_DEP_4)
	v_add_f32_e32 v5, 0xa8528116, v5
	v_cndmask_b32_e32 v0, 0x7f800000, v1, vcc_lo
	s_delay_alu instid0(VALU_DEP_2) | instskip(NEXT) | instid1(VALU_DEP_1)
	v_fma_f32 v4, v3, v5, -v4
	v_add_f32_e32 v4, 0x29acda32, v4
	s_delay_alu instid0(VALU_DEP_1) | instskip(NEXT) | instid1(VALU_DEP_1)
	v_fma_f32 v5, v3, v4, -v5
	v_add_f32_e32 v5, 0xab08b263, v5
	s_delay_alu instid0(VALU_DEP_1) | instskip(NEXT) | instid1(VALU_DEP_1)
	;; [unrolled: 3-line block ×25, first 2 shown]
	v_sub_f32_e32 v3, v3, v4
	v_mul_f32_e32 v1, 0.5, v3
	s_delay_alu instid0(VALU_DEP_1)
	v_mul_f32_e32 v3, v0, v1
                                        ; implicit-def: $vgpr0
                                        ; implicit-def: $vgpr1
.LBB16_154:
	s_and_not1_saveexec_b32 s1, s0
	s_cbranch_execz .LBB16_156
; %bb.155:
	v_and_b32_e32 v3, 0x7fffffff, v0
	v_fma_f32 v8, 0x3fb8aa3b, |v0|, -v1
	s_mov_b32 s0, 0xa3056dbb
	s_delay_alu instid0(VALU_DEP_2) | instskip(SKIP_1) | instid1(VALU_DEP_3)
	v_div_scale_f32 v4, null, v3, v3, 0x42000000
	v_div_scale_f32 v3, vcc_lo, 0x42000000, v3, 0x42000000
	v_fma_f32 v8, 0x32a5705f, |v0|, v8
	s_delay_alu instid0(VALU_DEP_3) | instskip(SKIP_1) | instid1(TRANS32_DEP_1)
	v_rcp_f32_e32 v5, v4
	v_nop
	v_fma_f32 v6, -v4, v5, 1.0
	s_delay_alu instid0(VALU_DEP_1) | instskip(NEXT) | instid1(VALU_DEP_1)
	v_fmac_f32_e32 v5, v6, v5
	v_mul_f32_e32 v6, v3, v5
	s_delay_alu instid0(VALU_DEP_1) | instskip(NEXT) | instid1(VALU_DEP_1)
	v_fma_f32 v7, -v4, v6, v3
	v_fmac_f32_e32 v6, v7, v5
	v_rndne_f32_e32 v7, v1
	s_delay_alu instid0(VALU_DEP_1) | instskip(SKIP_1) | instid1(VALU_DEP_2)
	v_dual_fma_f32 v3, -v4, v6, v3 :: v_dual_sub_f32 v1, v1, v7
	v_cvt_i32_f32_e32 v7, v7
	v_div_fmas_f32 v3, v3, v5, v6
	v_mul_f32_e64 v6, 0x4f800000, |v0|
	v_cmp_gt_f32_e64 vcc_lo, 0xf800000, |v0|
	v_add_f32_e32 v1, v1, v8
	s_delay_alu instid0(VALU_DEP_4) | instskip(NEXT) | instid1(VALU_DEP_3)
	v_div_fixup_f32 v3, v3, |v0|, 0x42000000
	v_cndmask_b32_e64 v6, |v0|, v6, vcc_lo
	s_delay_alu instid0(VALU_DEP_3) | instskip(NEXT) | instid1(VALU_DEP_2)
	v_exp_f32_e32 v1, v1
	v_add_f32_e32 v3, -2.0, v3
	s_delay_alu instid0(VALU_DEP_2) | instskip(NEXT) | instid1(VALU_DEP_1)
	v_sqrt_f32_e32 v9, v6
	v_fmaak_f32 v4, s0, v3, 0xa2b236d3
	s_delay_alu instid0(TRANS32_DEP_2)
	v_ldexp_f32 v1, v1, v7
	s_delay_alu instid0(TRANS32_DEP_1) | instid1(VALU_DEP_2)
	v_dual_fmaak_f32 v5, v3, v4, 0x23056dbb :: v_dual_add_nc_u32 v10, -1, v9
	s_delay_alu instid0(VALU_DEP_1) | instskip(NEXT) | instid1(VALU_DEP_2)
	v_dual_add_nc_u32 v8, 1, v9 :: v_dual_fma_f32 v11, -v10, v9, v6
	v_add_f32_e32 v5, 0x244df0c1, v5
	s_delay_alu instid0(VALU_DEP_2) | instskip(NEXT) | instid1(VALU_DEP_3)
	v_fma_f32 v12, -v8, v9, v6
	v_cmp_ge_f32_e64 s0, 0, v11
	s_delay_alu instid0(VALU_DEP_1) | instskip(NEXT) | instid1(VALU_DEP_1)
	v_dual_fma_f32 v4, v3, v5, -v4 :: v_dual_cndmask_b32 v9, v9, v10, s0
	v_add_f32_e32 v4, 0x241f9ee8, v4
	s_delay_alu instid0(VALU_DEP_1) | instskip(NEXT) | instid1(VALU_DEP_1)
	v_fma_f32 v5, v3, v4, -v5
	v_add_f32_e32 v5, 0xa5a3005d, v5
	s_delay_alu instid0(VALU_DEP_1) | instskip(NEXT) | instid1(VALU_DEP_1)
	v_fma_f32 v4, v3, v5, -v4
	;; [unrolled: 3-line block ×20, first 2 shown]
	v_add_f32_e32 v4, 0x3b5ccc65, v4
	s_delay_alu instid0(VALU_DEP_1) | instskip(SKIP_1) | instid1(VALU_DEP_2)
	v_fma_f32 v3, v3, v4, -v5
	v_cmp_lt_f32_e64 s0, 0, v12
	v_add_f32_e32 v3, 0x3f4df315, v3
	s_delay_alu instid0(VALU_DEP_2) | instskip(SKIP_1) | instid1(VALU_DEP_3)
	v_cndmask_b32_e64 v4, v9, v8, s0
	v_cmp_ngt_f32_e64 s0, 0xc2ce8ed0, |v0|
	v_sub_f32_e32 v3, v3, v5
	s_delay_alu instid0(VALU_DEP_3) | instskip(NEXT) | instid1(VALU_DEP_3)
	v_mul_f32_e32 v7, 0x37800000, v4
	v_cndmask_b32_e64 v1, 0, v1, s0
	v_cmp_nlt_f32_e64 s0, 0x42b17218, |v0|
	s_delay_alu instid0(VALU_DEP_4) | instskip(NEXT) | instid1(VALU_DEP_2)
	v_mul_f32_e32 v3, 0.5, v3
	v_cndmask_b32_e64 v0, 0x7f800000, v1, s0
	v_cndmask_b32_e32 v1, v4, v7, vcc_lo
	v_cmp_class_f32_e64 vcc_lo, v6, 0x260
	s_delay_alu instid0(VALU_DEP_2) | instskip(NEXT) | instid1(VALU_DEP_1)
	v_dual_mul_f32 v0, v0, v3 :: v_dual_cndmask_b32 v1, v1, v6
	v_div_scale_f32 v3, null, v1, v1, v0
	s_delay_alu instid0(VALU_DEP_1) | instskip(SKIP_1) | instid1(TRANS32_DEP_1)
	v_rcp_f32_e32 v4, v3
	v_nop
	v_fma_f32 v5, -v3, v4, 1.0
	s_delay_alu instid0(VALU_DEP_1) | instskip(SKIP_1) | instid1(VALU_DEP_1)
	v_fmac_f32_e32 v4, v5, v4
	v_div_scale_f32 v5, vcc_lo, v0, v1, v0
	v_mul_f32_e32 v6, v5, v4
	s_delay_alu instid0(VALU_DEP_1) | instskip(NEXT) | instid1(VALU_DEP_1)
	v_fma_f32 v7, -v3, v6, v5
	v_fmac_f32_e32 v6, v7, v4
	s_delay_alu instid0(VALU_DEP_1) | instskip(NEXT) | instid1(VALU_DEP_1)
	v_fma_f32 v3, -v3, v6, v5
	v_div_fmas_f32 v3, v3, v4, v6
	s_delay_alu instid0(VALU_DEP_1)
	v_div_fixup_f32 v3, v3, v1, v0
.LBB16_156:
	s_or_b32 exec_lo, exec_lo, s1
	global_store_b32 v2, v3, s[4:5]
	s_wait_xcnt 0x0
	s_or_b32 exec_lo, exec_lo, s9
                                        ; implicit-def: $vgpr8
                                        ; implicit-def: $vgpr0
	s_and_not1_saveexec_b32 s0, s31
	s_cbranch_execz .LBB16_125
	s_branch .LBB16_8
	.section	.rodata,"a",@progbits
	.p2align	6, 0x0
	.amdhsa_kernel _ZN2at6native32elementwise_kernel_manual_unrollILi128ELi4EZNS0_22gpu_kernel_impl_nocastIZZZNS0_12_GLOBAL__N_130modified_bessel_i0_kernel_cudaERNS_18TensorIteratorBaseEENKUlvE_clEvENKUlvE0_clEvEUlfE_EEvS5_RKT_EUlibE_EEviT1_
		.amdhsa_group_segment_fixed_size 0
		.amdhsa_private_segment_fixed_size 0
		.amdhsa_kernarg_size 360
		.amdhsa_user_sgpr_count 2
		.amdhsa_user_sgpr_dispatch_ptr 0
		.amdhsa_user_sgpr_queue_ptr 0
		.amdhsa_user_sgpr_kernarg_segment_ptr 1
		.amdhsa_user_sgpr_dispatch_id 0
		.amdhsa_user_sgpr_kernarg_preload_length 0
		.amdhsa_user_sgpr_kernarg_preload_offset 0
		.amdhsa_user_sgpr_private_segment_size 0
		.amdhsa_wavefront_size32 1
		.amdhsa_uses_dynamic_stack 0
		.amdhsa_enable_private_segment 0
		.amdhsa_system_sgpr_workgroup_id_x 1
		.amdhsa_system_sgpr_workgroup_id_y 0
		.amdhsa_system_sgpr_workgroup_id_z 0
		.amdhsa_system_sgpr_workgroup_info 0
		.amdhsa_system_vgpr_workitem_id 0
		.amdhsa_next_free_vgpr 19
		.amdhsa_next_free_sgpr 60
		.amdhsa_named_barrier_count 0
		.amdhsa_reserve_vcc 1
		.amdhsa_float_round_mode_32 0
		.amdhsa_float_round_mode_16_64 0
		.amdhsa_float_denorm_mode_32 3
		.amdhsa_float_denorm_mode_16_64 3
		.amdhsa_fp16_overflow 0
		.amdhsa_memory_ordered 1
		.amdhsa_forward_progress 1
		.amdhsa_inst_pref_size 157
		.amdhsa_round_robin_scheduling 0
		.amdhsa_exception_fp_ieee_invalid_op 0
		.amdhsa_exception_fp_denorm_src 0
		.amdhsa_exception_fp_ieee_div_zero 0
		.amdhsa_exception_fp_ieee_overflow 0
		.amdhsa_exception_fp_ieee_underflow 0
		.amdhsa_exception_fp_ieee_inexact 0
		.amdhsa_exception_int_div_zero 0
	.end_amdhsa_kernel
	.section	.text._ZN2at6native32elementwise_kernel_manual_unrollILi128ELi4EZNS0_22gpu_kernel_impl_nocastIZZZNS0_12_GLOBAL__N_130modified_bessel_i0_kernel_cudaERNS_18TensorIteratorBaseEENKUlvE_clEvENKUlvE0_clEvEUlfE_EEvS5_RKT_EUlibE_EEviT1_,"axG",@progbits,_ZN2at6native32elementwise_kernel_manual_unrollILi128ELi4EZNS0_22gpu_kernel_impl_nocastIZZZNS0_12_GLOBAL__N_130modified_bessel_i0_kernel_cudaERNS_18TensorIteratorBaseEENKUlvE_clEvENKUlvE0_clEvEUlfE_EEvS5_RKT_EUlibE_EEviT1_,comdat
.Lfunc_end16:
	.size	_ZN2at6native32elementwise_kernel_manual_unrollILi128ELi4EZNS0_22gpu_kernel_impl_nocastIZZZNS0_12_GLOBAL__N_130modified_bessel_i0_kernel_cudaERNS_18TensorIteratorBaseEENKUlvE_clEvENKUlvE0_clEvEUlfE_EEvS5_RKT_EUlibE_EEviT1_, .Lfunc_end16-_ZN2at6native32elementwise_kernel_manual_unrollILi128ELi4EZNS0_22gpu_kernel_impl_nocastIZZZNS0_12_GLOBAL__N_130modified_bessel_i0_kernel_cudaERNS_18TensorIteratorBaseEENKUlvE_clEvENKUlvE0_clEvEUlfE_EEvS5_RKT_EUlibE_EEviT1_
                                        ; -- End function
	.set _ZN2at6native32elementwise_kernel_manual_unrollILi128ELi4EZNS0_22gpu_kernel_impl_nocastIZZZNS0_12_GLOBAL__N_130modified_bessel_i0_kernel_cudaERNS_18TensorIteratorBaseEENKUlvE_clEvENKUlvE0_clEvEUlfE_EEvS5_RKT_EUlibE_EEviT1_.num_vgpr, 19
	.set _ZN2at6native32elementwise_kernel_manual_unrollILi128ELi4EZNS0_22gpu_kernel_impl_nocastIZZZNS0_12_GLOBAL__N_130modified_bessel_i0_kernel_cudaERNS_18TensorIteratorBaseEENKUlvE_clEvENKUlvE0_clEvEUlfE_EEvS5_RKT_EUlibE_EEviT1_.num_agpr, 0
	.set _ZN2at6native32elementwise_kernel_manual_unrollILi128ELi4EZNS0_22gpu_kernel_impl_nocastIZZZNS0_12_GLOBAL__N_130modified_bessel_i0_kernel_cudaERNS_18TensorIteratorBaseEENKUlvE_clEvENKUlvE0_clEvEUlfE_EEvS5_RKT_EUlibE_EEviT1_.numbered_sgpr, 60
	.set _ZN2at6native32elementwise_kernel_manual_unrollILi128ELi4EZNS0_22gpu_kernel_impl_nocastIZZZNS0_12_GLOBAL__N_130modified_bessel_i0_kernel_cudaERNS_18TensorIteratorBaseEENKUlvE_clEvENKUlvE0_clEvEUlfE_EEvS5_RKT_EUlibE_EEviT1_.num_named_barrier, 0
	.set _ZN2at6native32elementwise_kernel_manual_unrollILi128ELi4EZNS0_22gpu_kernel_impl_nocastIZZZNS0_12_GLOBAL__N_130modified_bessel_i0_kernel_cudaERNS_18TensorIteratorBaseEENKUlvE_clEvENKUlvE0_clEvEUlfE_EEvS5_RKT_EUlibE_EEviT1_.private_seg_size, 0
	.set _ZN2at6native32elementwise_kernel_manual_unrollILi128ELi4EZNS0_22gpu_kernel_impl_nocastIZZZNS0_12_GLOBAL__N_130modified_bessel_i0_kernel_cudaERNS_18TensorIteratorBaseEENKUlvE_clEvENKUlvE0_clEvEUlfE_EEvS5_RKT_EUlibE_EEviT1_.uses_vcc, 1
	.set _ZN2at6native32elementwise_kernel_manual_unrollILi128ELi4EZNS0_22gpu_kernel_impl_nocastIZZZNS0_12_GLOBAL__N_130modified_bessel_i0_kernel_cudaERNS_18TensorIteratorBaseEENKUlvE_clEvENKUlvE0_clEvEUlfE_EEvS5_RKT_EUlibE_EEviT1_.uses_flat_scratch, 0
	.set _ZN2at6native32elementwise_kernel_manual_unrollILi128ELi4EZNS0_22gpu_kernel_impl_nocastIZZZNS0_12_GLOBAL__N_130modified_bessel_i0_kernel_cudaERNS_18TensorIteratorBaseEENKUlvE_clEvENKUlvE0_clEvEUlfE_EEvS5_RKT_EUlibE_EEviT1_.has_dyn_sized_stack, 0
	.set _ZN2at6native32elementwise_kernel_manual_unrollILi128ELi4EZNS0_22gpu_kernel_impl_nocastIZZZNS0_12_GLOBAL__N_130modified_bessel_i0_kernel_cudaERNS_18TensorIteratorBaseEENKUlvE_clEvENKUlvE0_clEvEUlfE_EEvS5_RKT_EUlibE_EEviT1_.has_recursion, 0
	.set _ZN2at6native32elementwise_kernel_manual_unrollILi128ELi4EZNS0_22gpu_kernel_impl_nocastIZZZNS0_12_GLOBAL__N_130modified_bessel_i0_kernel_cudaERNS_18TensorIteratorBaseEENKUlvE_clEvENKUlvE0_clEvEUlfE_EEvS5_RKT_EUlibE_EEviT1_.has_indirect_call, 0
	.section	.AMDGPU.csdata,"",@progbits
; Kernel info:
; codeLenInByte = 20004
; TotalNumSgprs: 62
; NumVgprs: 19
; ScratchSize: 0
; MemoryBound: 0
; FloatMode: 240
; IeeeMode: 1
; LDSByteSize: 0 bytes/workgroup (compile time only)
; SGPRBlocks: 0
; VGPRBlocks: 1
; NumSGPRsForWavesPerEU: 62
; NumVGPRsForWavesPerEU: 19
; NamedBarCnt: 0
; Occupancy: 16
; WaveLimiterHint : 1
; COMPUTE_PGM_RSRC2:SCRATCH_EN: 0
; COMPUTE_PGM_RSRC2:USER_SGPR: 2
; COMPUTE_PGM_RSRC2:TRAP_HANDLER: 0
; COMPUTE_PGM_RSRC2:TGID_X_EN: 1
; COMPUTE_PGM_RSRC2:TGID_Y_EN: 0
; COMPUTE_PGM_RSRC2:TGID_Z_EN: 0
; COMPUTE_PGM_RSRC2:TIDIG_COMP_CNT: 0
	.section	.text._ZN2at6native32elementwise_kernel_manual_unrollILi128ELi4EZNS0_15gpu_kernel_implIZZZNS0_12_GLOBAL__N_130modified_bessel_i0_kernel_cudaERNS_18TensorIteratorBaseEENKUlvE_clEvENKUlvE0_clEvEUlfE_EEvS5_RKT_EUlibE_EEviT1_,"axG",@progbits,_ZN2at6native32elementwise_kernel_manual_unrollILi128ELi4EZNS0_15gpu_kernel_implIZZZNS0_12_GLOBAL__N_130modified_bessel_i0_kernel_cudaERNS_18TensorIteratorBaseEENKUlvE_clEvENKUlvE0_clEvEUlfE_EEvS5_RKT_EUlibE_EEviT1_,comdat
	.globl	_ZN2at6native32elementwise_kernel_manual_unrollILi128ELi4EZNS0_15gpu_kernel_implIZZZNS0_12_GLOBAL__N_130modified_bessel_i0_kernel_cudaERNS_18TensorIteratorBaseEENKUlvE_clEvENKUlvE0_clEvEUlfE_EEvS5_RKT_EUlibE_EEviT1_ ; -- Begin function _ZN2at6native32elementwise_kernel_manual_unrollILi128ELi4EZNS0_15gpu_kernel_implIZZZNS0_12_GLOBAL__N_130modified_bessel_i0_kernel_cudaERNS_18TensorIteratorBaseEENKUlvE_clEvENKUlvE0_clEvEUlfE_EEvS5_RKT_EUlibE_EEviT1_
	.p2align	8
	.type	_ZN2at6native32elementwise_kernel_manual_unrollILi128ELi4EZNS0_15gpu_kernel_implIZZZNS0_12_GLOBAL__N_130modified_bessel_i0_kernel_cudaERNS_18TensorIteratorBaseEENKUlvE_clEvENKUlvE0_clEvEUlfE_EEvS5_RKT_EUlibE_EEviT1_,@function
_ZN2at6native32elementwise_kernel_manual_unrollILi128ELi4EZNS0_15gpu_kernel_implIZZZNS0_12_GLOBAL__N_130modified_bessel_i0_kernel_cudaERNS_18TensorIteratorBaseEENKUlvE_clEvENKUlvE0_clEvEUlfE_EEvS5_RKT_EUlibE_EEviT1_: ; @_ZN2at6native32elementwise_kernel_manual_unrollILi128ELi4EZNS0_15gpu_kernel_implIZZZNS0_12_GLOBAL__N_130modified_bessel_i0_kernel_cudaERNS_18TensorIteratorBaseEENKUlvE_clEvENKUlvE0_clEvEUlfE_EEvS5_RKT_EUlibE_EEviT1_
; %bb.0:
	v_mov_b32_e32 v1, 0
	s_bfe_u32 s9, ttmp6, 0x4000c
	s_clause 0x1
	s_load_b32 s12, s[0:1], 0x0
	s_load_b128 s[4:7], s[0:1], 0x8
	s_add_co_i32 s9, s9, 1
	s_and_b32 s10, ttmp6, 15
	global_load_u16 v1, v1, s[0:1] offset:33
	s_load_b64 s[2:3], s[0:1], 0x18
	s_wait_xcnt 0x0
	s_mul_i32 s1, ttmp9, s9
	s_getreg_b32 s11, hwreg(HW_REG_IB_STS2, 6, 4)
	s_add_co_i32 s10, s10, s1
	s_mov_b32 s1, 0
	s_wait_loadcnt 0x0
	v_readfirstlane_b32 s8, v1
	s_and_b32 s0, 0xffff, s8
	s_delay_alu instid0(SALU_CYCLE_1) | instskip(SKIP_3) | instid1(SALU_CYCLE_1)
	s_lshr_b32 s9, s0, 8
	s_cmp_eq_u32 s11, 0
	s_mov_b32 s11, 0
	s_cselect_b32 s0, ttmp9, s10
	v_lshl_or_b32 v8, s0, 9, v0
	s_mov_b32 s0, exec_lo
	s_delay_alu instid0(VALU_DEP_1) | instskip(SKIP_1) | instid1(VALU_DEP_1)
	v_or_b32_e32 v0, 0x180, v8
	s_wait_kmcnt 0x0
	v_cmpx_le_i32_e64 s12, v0
	s_xor_b32 s10, exec_lo, s0
	s_cbranch_execz .LBB17_1047
; %bb.1:
	s_mov_b32 s17, -1
	s_mov_b32 s15, 0
	s_mov_b32 s13, 0
	s_mov_b32 s14, exec_lo
	v_cmpx_gt_i32_e64 s12, v8
	s_cbranch_execz .LBB17_256
; %bb.2:
	v_mul_lo_u32 v0, v8, s3
	s_and_b32 s0, 0xffff, s9
	s_delay_alu instid0(SALU_CYCLE_1) | instskip(NEXT) | instid1(VALU_DEP_1)
	s_cmp_lt_i32 s0, 11
	v_ashrrev_i32_e32 v1, 31, v0
	s_delay_alu instid0(VALU_DEP_1)
	v_add_nc_u64_e32 v[0:1], s[6:7], v[0:1]
	s_cbranch_scc1 .LBB17_9
; %bb.3:
	s_cmp_gt_i32 s0, 25
	s_cbranch_scc0 .LBB17_22
; %bb.4:
	s_cmp_gt_i32 s0, 28
	s_cbranch_scc0 .LBB17_25
	;; [unrolled: 3-line block ×4, first 2 shown]
; %bb.7:
	s_cmp_eq_u32 s0, 46
	s_mov_b32 s16, 0
	s_cbranch_scc0 .LBB17_31
; %bb.8:
	global_load_b32 v2, v[0:1], off
	s_mov_b32 s11, -1
	s_wait_loadcnt 0x0
	v_lshlrev_b32_e32 v2, 16, v2
	s_branch .LBB17_33
.LBB17_9:
                                        ; implicit-def: $vgpr2
	s_cbranch_execnz .LBB17_206
.LBB17_10:
	s_and_not1_b32 vcc_lo, exec_lo, s11
	s_cbranch_vccnz .LBB17_253
.LBB17_11:
	s_wait_loadcnt 0x0
	s_delay_alu instid0(VALU_DEP_1) | instskip(SKIP_2) | instid1(SALU_CYCLE_1)
	v_cmp_ge_f32_e64 s0, 0x41000000, |v2|
	v_mul_f32_e64 v1, 0x3fb8aa3b, |v2|
                                        ; implicit-def: $vgpr0
	s_and_saveexec_b32 s11, s0
	s_xor_b32 s0, exec_lo, s11
	s_cbranch_execz .LBB17_13
; %bb.12:
	v_fma_f32 v0, |v2|, 0.5, -2.0
	s_mov_b32 s11, 0xa2a2e5b9
	v_rndne_f32_e32 v5, v1
	v_fma_f32 v6, 0x3fb8aa3b, |v2|, -v1
	v_cmp_ngt_f32_e64 vcc_lo, 0xc2ce8ed0, |v2|
	v_fmaak_f32 v3, s11, v0, 0x24199b15
	s_delay_alu instid0(VALU_DEP_4) | instskip(NEXT) | instid1(VALU_DEP_4)
	v_sub_f32_e32 v1, v1, v5
	v_fma_f32 v6, 0x32a5705f, |v2|, v6
	v_cvt_i32_f32_e32 v5, v5
	s_delay_alu instid0(VALU_DEP_2) | instskip(NEXT) | instid1(VALU_DEP_1)
	v_dual_fmaak_f32 v4, v0, v3, 0x22a2e5b9 :: v_dual_add_f32 v1, v1, v6
	v_add_f32_e32 v4, 0xa58c275c, v4
	s_delay_alu instid0(VALU_DEP_2) | instskip(SKIP_1) | instid1(TRANS32_DEP_1)
	v_exp_f32_e32 v1, v1
	v_nop
	v_ldexp_f32 v1, v1, v5
	s_delay_alu instid0(VALU_DEP_1) | instskip(SKIP_1) | instid1(VALU_DEP_2)
	v_dual_fma_f32 v3, v0, v4, -v3 :: v_dual_cndmask_b32 v1, 0, v1, vcc_lo
	v_cmp_nlt_f32_e64 vcc_lo, 0x42b17218, |v2|
                                        ; implicit-def: $vgpr2
	v_cndmask_b32_e32 v1, 0x7f800000, v1, vcc_lo
	s_delay_alu instid0(VALU_DEP_3) | instskip(NEXT) | instid1(VALU_DEP_1)
	v_add_f32_e32 v3, 0x26f736c5, v3
	v_fma_f32 v4, v0, v3, -v4
	s_delay_alu instid0(VALU_DEP_1) | instskip(NEXT) | instid1(VALU_DEP_1)
	v_add_f32_e32 v4, 0xa8528116, v4
	v_fma_f32 v3, v0, v4, -v3
	s_delay_alu instid0(VALU_DEP_1) | instskip(NEXT) | instid1(VALU_DEP_1)
	;; [unrolled: 3-line block ×26, first 2 shown]
	v_add_f32_e32 v0, 0x3f2d4275, v0
	v_sub_f32_e32 v0, v0, v3
	s_delay_alu instid0(VALU_DEP_1) | instskip(NEXT) | instid1(VALU_DEP_1)
	v_mul_f32_e32 v0, 0.5, v0
	v_mul_f32_e32 v0, v1, v0
                                        ; implicit-def: $vgpr1
.LBB17_13:
	s_and_not1_saveexec_b32 s11, s0
	s_cbranch_execz .LBB17_15
; %bb.14:
	v_and_b32_e32 v0, 0x7fffffff, v2
	s_mov_b32 s0, 0xa3056dbb
	v_fma_f32 v7, 0x3fb8aa3b, |v2|, -v1
	s_delay_alu instid0(VALU_DEP_2) | instskip(SKIP_1) | instid1(VALU_DEP_3)
	v_div_scale_f32 v3, null, v0, v0, 0x42000000
	v_div_scale_f32 v0, vcc_lo, 0x42000000, v0, 0x42000000
	v_fma_f32 v7, 0x32a5705f, |v2|, v7
	s_delay_alu instid0(VALU_DEP_3) | instskip(SKIP_1) | instid1(TRANS32_DEP_1)
	v_rcp_f32_e32 v4, v3
	v_nop
	v_fma_f32 v5, -v3, v4, 1.0
	s_delay_alu instid0(VALU_DEP_1) | instskip(NEXT) | instid1(VALU_DEP_1)
	v_fmac_f32_e32 v4, v5, v4
	v_mul_f32_e32 v5, v0, v4
	s_delay_alu instid0(VALU_DEP_1) | instskip(NEXT) | instid1(VALU_DEP_1)
	v_fma_f32 v6, -v3, v5, v0
	v_fmac_f32_e32 v5, v6, v4
	v_rndne_f32_e32 v6, v1
	s_delay_alu instid0(VALU_DEP_1) | instskip(SKIP_1) | instid1(VALU_DEP_2)
	v_dual_fma_f32 v0, -v3, v5, v0 :: v_dual_sub_f32 v1, v1, v6
	v_cvt_i32_f32_e32 v6, v6
	v_div_fmas_f32 v0, v0, v4, v5
	v_mul_f32_e64 v5, 0x4f800000, |v2|
	v_cmp_gt_f32_e64 vcc_lo, 0xf800000, |v2|
	s_delay_alu instid0(VALU_DEP_3) | instskip(NEXT) | instid1(VALU_DEP_2)
	v_div_fixup_f32 v0, v0, |v2|, 0x42000000
	v_cndmask_b32_e64 v5, |v2|, v5, vcc_lo
	s_delay_alu instid0(VALU_DEP_2) | instskip(NEXT) | instid1(VALU_DEP_2)
	v_dual_add_f32 v0, -2.0, v0 :: v_dual_add_f32 v1, v1, v7
	v_sqrt_f32_e32 v9, v5
	s_delay_alu instid0(VALU_DEP_1) | instskip(NEXT) | instid1(VALU_DEP_2)
	v_fmaak_f32 v3, s0, v0, 0xa2b236d3
	v_exp_f32_e32 v1, v1
	s_delay_alu instid0(TRANS32_DEP_2) | instskip(NEXT) | instid1(VALU_DEP_2)
	v_add_nc_u32_e32 v10, -1, v9
	v_dual_fmaak_f32 v4, v0, v3, 0x23056dbb :: v_dual_add_nc_u32 v7, 1, v9
	s_delay_alu instid0(TRANS32_DEP_1) | instskip(NEXT) | instid1(VALU_DEP_3)
	v_ldexp_f32 v1, v1, v6
	v_fma_f32 v11, -v10, v9, v5
	s_delay_alu instid0(VALU_DEP_3) | instskip(NEXT) | instid1(VALU_DEP_4)
	v_add_f32_e32 v4, 0x244df0c1, v4
	v_fma_f32 v12, -v7, v9, v5
	s_delay_alu instid0(VALU_DEP_3) | instskip(NEXT) | instid1(VALU_DEP_1)
	v_cmp_ge_f32_e64 s0, 0, v11
	v_dual_fma_f32 v3, v0, v4, -v3 :: v_dual_cndmask_b32 v9, v9, v10, s0
	s_delay_alu instid0(VALU_DEP_1) | instskip(NEXT) | instid1(VALU_DEP_4)
	v_add_f32_e32 v3, 0x241f9ee8, v3
	v_cmp_lt_f32_e64 s0, 0, v12
	s_delay_alu instid0(VALU_DEP_2) | instskip(NEXT) | instid1(VALU_DEP_1)
	v_fma_f32 v4, v0, v3, -v4
	v_add_f32_e32 v4, 0xa5a3005d, v4
	s_delay_alu instid0(VALU_DEP_1) | instskip(NEXT) | instid1(VALU_DEP_1)
	v_fma_f32 v3, v0, v4, -v3
	v_add_f32_e32 v3, 0xa5c5773f, v3
	s_delay_alu instid0(VALU_DEP_1) | instskip(NEXT) | instid1(VALU_DEP_1)
	;; [unrolled: 3-line block ×19, first 2 shown]
	v_fma_f32 v3, v0, v4, -v3
	v_add_f32_e32 v3, 0x3b5ccc65, v3
	s_delay_alu instid0(VALU_DEP_1) | instskip(SKIP_2) | instid1(VALU_DEP_3)
	v_fma_f32 v0, v0, v3, -v4
	v_cndmask_b32_e64 v3, v9, v7, s0
	v_cmp_ngt_f32_e64 s0, 0xc2ce8ed0, |v2|
	v_add_f32_e32 v0, 0x3f4df315, v0
	s_delay_alu instid0(VALU_DEP_3) | instskip(NEXT) | instid1(VALU_DEP_3)
	v_mul_f32_e32 v6, 0x37800000, v3
	v_cndmask_b32_e64 v1, 0, v1, s0
	v_cmp_nlt_f32_e64 s0, 0x42b17218, |v2|
	s_delay_alu instid0(VALU_DEP_3) | instskip(SKIP_1) | instid1(VALU_DEP_3)
	v_dual_sub_f32 v0, v0, v4 :: v_dual_cndmask_b32 v2, v3, v6, vcc_lo
	v_cmp_class_f32_e64 vcc_lo, v5, 0x260
	v_cndmask_b32_e64 v1, 0x7f800000, v1, s0
	s_delay_alu instid0(VALU_DEP_2) | instskip(NEXT) | instid1(VALU_DEP_1)
	v_dual_mul_f32 v0, 0.5, v0 :: v_dual_cndmask_b32 v2, v2, v5, vcc_lo
	v_mul_f32_e32 v0, v1, v0
	s_delay_alu instid0(VALU_DEP_1) | instskip(NEXT) | instid1(VALU_DEP_1)
	v_div_scale_f32 v1, null, v2, v2, v0
	v_rcp_f32_e32 v3, v1
	v_nop
	s_delay_alu instid0(TRANS32_DEP_1) | instskip(NEXT) | instid1(VALU_DEP_1)
	v_fma_f32 v4, -v1, v3, 1.0
	v_fmac_f32_e32 v3, v4, v3
	v_div_scale_f32 v4, vcc_lo, v0, v2, v0
	s_delay_alu instid0(VALU_DEP_1) | instskip(NEXT) | instid1(VALU_DEP_1)
	v_mul_f32_e32 v5, v4, v3
	v_fma_f32 v6, -v1, v5, v4
	s_delay_alu instid0(VALU_DEP_1) | instskip(NEXT) | instid1(VALU_DEP_1)
	v_fmac_f32_e32 v5, v6, v3
	v_fma_f32 v1, -v1, v5, v4
	s_delay_alu instid0(VALU_DEP_1) | instskip(NEXT) | instid1(VALU_DEP_1)
	v_div_fmas_f32 v1, v1, v3, v5
	v_div_fixup_f32 v0, v1, v2, v0
.LBB17_15:
	s_or_b32 exec_lo, exec_lo, s11
	v_mul_lo_u32 v2, v8, s2
	s_and_b32 s11, s8, 0xff
	s_delay_alu instid0(SALU_CYCLE_1) | instskip(NEXT) | instid1(VALU_DEP_1)
	s_cmp_lt_i32 s11, 11
	v_ashrrev_i32_e32 v3, 31, v2
	s_delay_alu instid0(VALU_DEP_1)
	v_add_nc_u64_e32 v[2:3], s[4:5], v[2:3]
	s_cbranch_scc1 .LBB17_23
; %bb.16:
	s_and_b32 s16, 0xffff, s11
	s_delay_alu instid0(SALU_CYCLE_1)
	s_cmp_gt_i32 s16, 25
	s_cbranch_scc0 .LBB17_26
; %bb.17:
	s_cmp_gt_i32 s16, 28
	s_cbranch_scc0 .LBB17_28
; %bb.18:
	;; [unrolled: 3-line block ×4, first 2 shown]
	s_mov_b32 s18, 0
	s_mov_b32 s0, -1
	s_cmp_eq_u32 s16, 46
	s_mov_b32 s17, 0
	s_cbranch_scc0 .LBB17_37
; %bb.21:
	v_bfe_u32 v1, v0, 16, 1
	v_cmp_o_f32_e32 vcc_lo, v0, v0
	s_mov_b32 s17, -1
	s_mov_b32 s0, 0
	s_delay_alu instid0(VALU_DEP_2) | instskip(NEXT) | instid1(VALU_DEP_1)
	v_add3_u32 v1, v0, v1, 0x7fff
	v_lshrrev_b32_e32 v1, 16, v1
	s_delay_alu instid0(VALU_DEP_1)
	v_cndmask_b32_e32 v1, 0x7fc0, v1, vcc_lo
	global_store_b32 v[2:3], v1, off
	s_branch .LBB17_37
.LBB17_22:
                                        ; implicit-def: $vgpr2
	s_cbranch_execnz .LBB17_171
	s_branch .LBB17_205
.LBB17_23:
	s_mov_b32 s0, 0
	s_mov_b32 s17, 0
	s_cbranch_execnz .LBB17_106
.LBB17_24:
	s_and_not1_b32 vcc_lo, exec_lo, s17
	s_cbranch_vccnz .LBB17_254
	s_branch .LBB17_144
.LBB17_25:
	s_mov_b32 s16, -1
                                        ; implicit-def: $vgpr2
	s_branch .LBB17_152
.LBB17_26:
	s_mov_b32 s18, -1
	s_mov_b32 s0, 0
	s_mov_b32 s17, 0
	s_branch .LBB17_64
.LBB17_27:
	s_mov_b32 s16, -1
                                        ; implicit-def: $vgpr2
	s_branch .LBB17_147
.LBB17_28:
	s_mov_b32 s18, -1
	s_mov_b32 s0, 0
	s_mov_b32 s17, 0
	s_branch .LBB17_47
.LBB17_29:
	s_mov_b32 s16, -1
	s_branch .LBB17_32
.LBB17_30:
	s_mov_b32 s18, -1
	s_mov_b32 s0, 0
	s_mov_b32 s17, 0
	s_branch .LBB17_43
.LBB17_31:
	s_mov_b32 s13, -1
.LBB17_32:
                                        ; implicit-def: $vgpr2
.LBB17_33:
	s_and_b32 vcc_lo, exec_lo, s16
	s_cbranch_vccz .LBB17_146
; %bb.34:
	s_cmp_eq_u32 s0, 44
	s_cbranch_scc0 .LBB17_145
; %bb.35:
	global_load_u8 v2, v[0:1], off
	s_mov_b32 s13, 0
	s_mov_b32 s11, -1
	s_wait_loadcnt 0x0
	v_lshlrev_b32_e32 v3, 23, v2
	v_cmp_ne_u32_e32 vcc_lo, 0xff, v2
	s_delay_alu instid0(VALU_DEP_2) | instskip(SKIP_1) | instid1(VALU_DEP_2)
	v_cndmask_b32_e32 v3, 0x7f800001, v3, vcc_lo
	v_cmp_ne_u32_e32 vcc_lo, 0, v2
	v_cndmask_b32_e32 v2, 0x400000, v3, vcc_lo
	s_branch .LBB17_146
.LBB17_36:
	s_mov_b32 s18, -1
	s_mov_b32 s0, 0
	s_mov_b32 s17, 0
.LBB17_37:
	s_and_b32 vcc_lo, exec_lo, s18
	s_cbranch_vccz .LBB17_42
; %bb.38:
	s_cmp_eq_u32 s16, 44
	s_mov_b32 s0, -1
	s_cbranch_scc0 .LBB17_42
; %bb.39:
	v_bfe_u32 v4, v0, 23, 8
	s_wait_xcnt 0x0
	v_mov_b32_e32 v1, 0xff
	s_mov_b32 s17, exec_lo
	s_delay_alu instid0(VALU_DEP_2)
	v_cmpx_ne_u32_e32 0xff, v4
	s_cbranch_execz .LBB17_41
; %bb.40:
	v_and_b32_e32 v1, 0x400000, v0
	v_and_or_b32 v4, 0x3fffff, v0, v4
	s_delay_alu instid0(VALU_DEP_2) | instskip(NEXT) | instid1(VALU_DEP_2)
	v_cmp_ne_u32_e32 vcc_lo, 0, v1
	v_cmp_ne_u32_e64 s0, 0, v4
	v_lshrrev_b32_e32 v1, 23, v0
	s_and_b32 s0, vcc_lo, s0
	s_delay_alu instid0(SALU_CYCLE_1) | instskip(NEXT) | instid1(VALU_DEP_1)
	v_cndmask_b32_e64 v4, 0, 1, s0
	v_add_nc_u32_e32 v1, v1, v4
.LBB17_41:
	s_or_b32 exec_lo, exec_lo, s17
	s_mov_b32 s17, -1
	s_mov_b32 s0, 0
	global_store_b8 v[2:3], v1, off
.LBB17_42:
	s_mov_b32 s18, 0
.LBB17_43:
	s_delay_alu instid0(SALU_CYCLE_1)
	s_and_b32 vcc_lo, exec_lo, s18
	s_cbranch_vccz .LBB17_46
; %bb.44:
	s_cmp_eq_u32 s16, 29
	s_mov_b32 s0, -1
	s_cbranch_scc0 .LBB17_46
; %bb.45:
	s_wait_xcnt 0x0
	v_trunc_f32_e32 v1, v0
	s_mov_b32 s17, -1
	s_mov_b32 s0, 0
	s_mov_b32 s18, 0
	s_delay_alu instid0(VALU_DEP_1) | instskip(NEXT) | instid1(VALU_DEP_1)
	v_mul_f32_e32 v4, 0x2f800000, v1
	v_floor_f32_e32 v4, v4
	s_delay_alu instid0(VALU_DEP_1) | instskip(SKIP_1) | instid1(VALU_DEP_2)
	v_fmamk_f32 v1, v4, 0xcf800000, v1
	v_cvt_u32_f32_e32 v5, v4
	v_cvt_u32_f32_e32 v4, v1
	global_store_b64 v[2:3], v[4:5], off
	s_branch .LBB17_47
.LBB17_46:
	s_mov_b32 s18, 0
.LBB17_47:
	s_delay_alu instid0(SALU_CYCLE_1)
	s_and_b32 vcc_lo, exec_lo, s18
	s_cbranch_vccz .LBB17_63
; %bb.48:
	s_cmp_lt_i32 s16, 27
	s_mov_b32 s17, -1
	s_cbranch_scc1 .LBB17_54
; %bb.49:
	s_wait_xcnt 0x0
	v_cvt_u32_f32_e32 v1, v0
	s_cmp_gt_i32 s16, 27
	s_cbranch_scc0 .LBB17_51
; %bb.50:
	s_mov_b32 s17, 0
	global_store_b32 v[2:3], v1, off
.LBB17_51:
	s_and_not1_b32 vcc_lo, exec_lo, s17
	s_cbranch_vccnz .LBB17_53
; %bb.52:
	global_store_b16 v[2:3], v1, off
.LBB17_53:
	s_mov_b32 s17, 0
.LBB17_54:
	s_delay_alu instid0(SALU_CYCLE_1)
	s_and_not1_b32 vcc_lo, exec_lo, s17
	s_cbranch_vccnz .LBB17_62
; %bb.55:
	s_wait_xcnt 0x0
	v_and_b32_e32 v1, 0x7fffffff, v0
	v_mov_b32_e32 v4, 0x80
	s_mov_b32 s17, exec_lo
	s_delay_alu instid0(VALU_DEP_2)
	v_cmpx_gt_u32_e32 0x43800000, v1
	s_cbranch_execz .LBB17_61
; %bb.56:
	v_cmp_lt_u32_e32 vcc_lo, 0x3bffffff, v1
	s_mov_b32 s18, 0
                                        ; implicit-def: $vgpr1
	s_and_saveexec_b32 s19, vcc_lo
	s_delay_alu instid0(SALU_CYCLE_1)
	s_xor_b32 s19, exec_lo, s19
	s_cbranch_execz .LBB17_287
; %bb.57:
	v_bfe_u32 v1, v0, 20, 1
	s_mov_b32 s18, exec_lo
	s_delay_alu instid0(VALU_DEP_1) | instskip(NEXT) | instid1(VALU_DEP_1)
	v_add3_u32 v1, v0, v1, 0x487ffff
	v_lshrrev_b32_e32 v1, 20, v1
	s_and_not1_saveexec_b32 s19, s19
	s_cbranch_execnz .LBB17_288
.LBB17_58:
	s_or_b32 exec_lo, exec_lo, s19
	v_mov_b32_e32 v4, 0
	s_and_saveexec_b32 s19, s18
.LBB17_59:
	v_lshrrev_b32_e32 v4, 24, v0
	s_delay_alu instid0(VALU_DEP_1)
	v_and_or_b32 v4, 0x80, v4, v1
.LBB17_60:
	s_or_b32 exec_lo, exec_lo, s19
.LBB17_61:
	s_delay_alu instid0(SALU_CYCLE_1)
	s_or_b32 exec_lo, exec_lo, s17
	global_store_b8 v[2:3], v4, off
.LBB17_62:
	s_mov_b32 s17, -1
.LBB17_63:
	s_mov_b32 s18, 0
.LBB17_64:
	s_delay_alu instid0(SALU_CYCLE_1)
	s_and_b32 vcc_lo, exec_lo, s18
	s_cbranch_vccz .LBB17_105
; %bb.65:
	s_cmp_gt_i32 s16, 22
	s_mov_b32 s18, -1
	s_cbranch_scc0 .LBB17_97
; %bb.66:
	s_cmp_lt_i32 s16, 24
	s_mov_b32 s17, -1
	s_cbranch_scc1 .LBB17_86
; %bb.67:
	s_cmp_gt_i32 s16, 24
	s_cbranch_scc0 .LBB17_75
; %bb.68:
	s_wait_xcnt 0x0
	v_and_b32_e32 v1, 0x7fffffff, v0
	v_mov_b32_e32 v4, 0x80
	s_mov_b32 s17, exec_lo
	s_delay_alu instid0(VALU_DEP_2)
	v_cmpx_gt_u32_e32 0x47800000, v1
	s_cbranch_execz .LBB17_74
; %bb.69:
	v_cmp_lt_u32_e32 vcc_lo, 0x37ffffff, v1
	s_mov_b32 s18, 0
                                        ; implicit-def: $vgpr1
	s_and_saveexec_b32 s19, vcc_lo
	s_delay_alu instid0(SALU_CYCLE_1)
	s_xor_b32 s19, exec_lo, s19
	s_cbranch_execz .LBB17_291
; %bb.70:
	v_bfe_u32 v1, v0, 21, 1
	s_mov_b32 s18, exec_lo
	s_delay_alu instid0(VALU_DEP_1) | instskip(NEXT) | instid1(VALU_DEP_1)
	v_add3_u32 v1, v0, v1, 0x88fffff
	v_lshrrev_b32_e32 v1, 21, v1
	s_and_not1_saveexec_b32 s19, s19
	s_cbranch_execnz .LBB17_292
.LBB17_71:
	s_or_b32 exec_lo, exec_lo, s19
	v_mov_b32_e32 v4, 0
	s_and_saveexec_b32 s19, s18
.LBB17_72:
	v_lshrrev_b32_e32 v4, 24, v0
	s_delay_alu instid0(VALU_DEP_1)
	v_and_or_b32 v4, 0x80, v4, v1
.LBB17_73:
	s_or_b32 exec_lo, exec_lo, s19
.LBB17_74:
	s_delay_alu instid0(SALU_CYCLE_1)
	s_or_b32 exec_lo, exec_lo, s17
	s_mov_b32 s17, 0
	global_store_b8 v[2:3], v4, off
.LBB17_75:
	s_and_b32 vcc_lo, exec_lo, s17
	s_cbranch_vccz .LBB17_85
; %bb.76:
	s_wait_xcnt 0x0
	v_and_b32_e32 v4, 0x7fffffff, v0
	s_mov_b32 s17, exec_lo
                                        ; implicit-def: $vgpr1
	s_delay_alu instid0(VALU_DEP_1)
	v_cmpx_gt_u32_e32 0x43f00000, v4
	s_xor_b32 s17, exec_lo, s17
	s_cbranch_execz .LBB17_82
; %bb.77:
	s_mov_b32 s18, exec_lo
                                        ; implicit-def: $vgpr1
	v_cmpx_lt_u32_e32 0x3c7fffff, v4
	s_xor_b32 s18, exec_lo, s18
; %bb.78:
	v_bfe_u32 v1, v0, 20, 1
	s_delay_alu instid0(VALU_DEP_1) | instskip(NEXT) | instid1(VALU_DEP_1)
	v_add3_u32 v1, v0, v1, 0x407ffff
	v_and_b32_e32 v4, 0xff00000, v1
	v_lshrrev_b32_e32 v1, 20, v1
	s_delay_alu instid0(VALU_DEP_2) | instskip(NEXT) | instid1(VALU_DEP_2)
	v_cmp_ne_u32_e32 vcc_lo, 0x7f00000, v4
	v_cndmask_b32_e32 v1, 0x7e, v1, vcc_lo
; %bb.79:
	s_and_not1_saveexec_b32 s18, s18
; %bb.80:
	v_add_f32_e64 v1, 0x46800000, |v0|
; %bb.81:
	s_or_b32 exec_lo, exec_lo, s18
                                        ; implicit-def: $vgpr4
.LBB17_82:
	s_and_not1_saveexec_b32 s17, s17
; %bb.83:
	v_mov_b32_e32 v1, 0x7f
	v_cmp_lt_u32_e32 vcc_lo, 0x7f800000, v4
	s_delay_alu instid0(VALU_DEP_2)
	v_cndmask_b32_e32 v1, 0x7e, v1, vcc_lo
; %bb.84:
	s_or_b32 exec_lo, exec_lo, s17
	v_lshrrev_b32_e32 v4, 24, v0
	s_delay_alu instid0(VALU_DEP_1)
	v_and_or_b32 v1, 0x80, v4, v1
	global_store_b8 v[2:3], v1, off
.LBB17_85:
	s_mov_b32 s17, 0
.LBB17_86:
	s_delay_alu instid0(SALU_CYCLE_1)
	s_and_not1_b32 vcc_lo, exec_lo, s17
	s_cbranch_vccnz .LBB17_96
; %bb.87:
	s_wait_xcnt 0x0
	v_and_b32_e32 v4, 0x7fffffff, v0
	s_mov_b32 s17, exec_lo
                                        ; implicit-def: $vgpr1
	s_delay_alu instid0(VALU_DEP_1)
	v_cmpx_gt_u32_e32 0x47800000, v4
	s_xor_b32 s17, exec_lo, s17
	s_cbranch_execz .LBB17_93
; %bb.88:
	s_mov_b32 s18, exec_lo
                                        ; implicit-def: $vgpr1
	v_cmpx_lt_u32_e32 0x387fffff, v4
	s_xor_b32 s18, exec_lo, s18
; %bb.89:
	v_bfe_u32 v1, v0, 21, 1
	s_delay_alu instid0(VALU_DEP_1) | instskip(NEXT) | instid1(VALU_DEP_1)
	v_add3_u32 v1, v0, v1, 0x80fffff
	v_lshrrev_b32_e32 v1, 21, v1
; %bb.90:
	s_and_not1_saveexec_b32 s18, s18
; %bb.91:
	v_add_f32_e64 v1, 0x43000000, |v0|
; %bb.92:
	s_or_b32 exec_lo, exec_lo, s18
                                        ; implicit-def: $vgpr4
.LBB17_93:
	s_and_not1_saveexec_b32 s17, s17
; %bb.94:
	v_mov_b32_e32 v1, 0x7f
	v_cmp_lt_u32_e32 vcc_lo, 0x7f800000, v4
	s_delay_alu instid0(VALU_DEP_2)
	v_cndmask_b32_e32 v1, 0x7c, v1, vcc_lo
; %bb.95:
	s_or_b32 exec_lo, exec_lo, s17
	v_lshrrev_b32_e32 v4, 24, v0
	s_delay_alu instid0(VALU_DEP_1)
	v_and_or_b32 v1, 0x80, v4, v1
	global_store_b8 v[2:3], v1, off
.LBB17_96:
	s_mov_b32 s18, 0
	s_mov_b32 s17, -1
.LBB17_97:
	s_and_not1_b32 vcc_lo, exec_lo, s18
	s_cbranch_vccnz .LBB17_105
; %bb.98:
	s_cmp_gt_i32 s16, 14
	s_mov_b32 s18, -1
	s_cbranch_scc0 .LBB17_102
; %bb.99:
	s_cmp_eq_u32 s16, 15
	s_mov_b32 s0, -1
	s_cbranch_scc0 .LBB17_101
; %bb.100:
	s_wait_xcnt 0x0
	v_bfe_u32 v1, v0, 16, 1
	v_cmp_o_f32_e32 vcc_lo, v0, v0
	s_mov_b32 s17, -1
	s_mov_b32 s0, 0
	s_delay_alu instid0(VALU_DEP_2) | instskip(NEXT) | instid1(VALU_DEP_1)
	v_add3_u32 v1, v0, v1, 0x7fff
	v_lshrrev_b32_e32 v1, 16, v1
	s_delay_alu instid0(VALU_DEP_1)
	v_cndmask_b32_e32 v1, 0x7fc0, v1, vcc_lo
	global_store_b16 v[2:3], v1, off
.LBB17_101:
	s_mov_b32 s18, 0
.LBB17_102:
	s_delay_alu instid0(SALU_CYCLE_1)
	s_and_b32 vcc_lo, exec_lo, s18
	s_cbranch_vccz .LBB17_105
; %bb.103:
	s_cmp_eq_u32 s16, 11
	s_mov_b32 s0, -1
	s_cbranch_scc0 .LBB17_105
; %bb.104:
	v_cmp_neq_f32_e32 vcc_lo, 0, v0
	s_mov_b32 s0, 0
	s_mov_b32 s17, -1
	s_wait_xcnt 0x0
	v_cndmask_b32_e64 v1, 0, 1, vcc_lo
	global_store_b8 v[2:3], v1, off
.LBB17_105:
	s_branch .LBB17_24
.LBB17_106:
	s_and_b32 s11, 0xffff, s11
	s_mov_b32 s16, -1
	s_cmp_lt_i32 s11, 5
	s_cbranch_scc1 .LBB17_127
; %bb.107:
	s_cmp_lt_i32 s11, 8
	s_cbranch_scc1 .LBB17_117
; %bb.108:
	s_cmp_lt_i32 s11, 9
	s_cbranch_scc1 .LBB17_114
; %bb.109:
	s_cmp_gt_i32 s11, 9
	s_cbranch_scc0 .LBB17_111
; %bb.110:
	s_wait_xcnt 0x0
	v_cvt_f64_f32_e32 v[4:5], v0
	v_mov_b32_e32 v6, 0
	s_mov_b32 s16, 0
	s_delay_alu instid0(VALU_DEP_1)
	v_mov_b32_e32 v7, v6
	global_store_b128 v[2:3], v[4:7], off
.LBB17_111:
	s_and_not1_b32 vcc_lo, exec_lo, s16
	s_cbranch_vccnz .LBB17_113
; %bb.112:
	s_wait_xcnt 0x0
	v_mov_b32_e32 v1, 0
	global_store_b64 v[2:3], v[0:1], off
.LBB17_113:
	s_mov_b32 s16, 0
.LBB17_114:
	s_delay_alu instid0(SALU_CYCLE_1)
	s_and_not1_b32 vcc_lo, exec_lo, s16
	s_cbranch_vccnz .LBB17_116
; %bb.115:
	s_wait_xcnt 0x0
	v_cvt_f16_f32_e32 v1, v0
	s_delay_alu instid0(VALU_DEP_1)
	v_and_b32_e32 v1, 0xffff, v1
	global_store_b32 v[2:3], v1, off
.LBB17_116:
	s_mov_b32 s16, 0
.LBB17_117:
	s_delay_alu instid0(SALU_CYCLE_1)
	s_and_not1_b32 vcc_lo, exec_lo, s16
	s_cbranch_vccnz .LBB17_126
; %bb.118:
	s_cmp_lt_i32 s11, 6
	s_mov_b32 s16, -1
	s_cbranch_scc1 .LBB17_124
; %bb.119:
	s_cmp_gt_i32 s11, 6
	s_cbranch_scc0 .LBB17_121
; %bb.120:
	s_wait_xcnt 0x0
	v_cvt_f64_f32_e32 v[4:5], v0
	s_mov_b32 s16, 0
	global_store_b64 v[2:3], v[4:5], off
.LBB17_121:
	s_and_not1_b32 vcc_lo, exec_lo, s16
	s_cbranch_vccnz .LBB17_123
; %bb.122:
	global_store_b32 v[2:3], v0, off
.LBB17_123:
	s_mov_b32 s16, 0
.LBB17_124:
	s_delay_alu instid0(SALU_CYCLE_1)
	s_and_not1_b32 vcc_lo, exec_lo, s16
	s_cbranch_vccnz .LBB17_126
; %bb.125:
	s_wait_xcnt 0x0
	v_cvt_f16_f32_e32 v1, v0
	global_store_b16 v[2:3], v1, off
.LBB17_126:
	s_mov_b32 s16, 0
.LBB17_127:
	s_delay_alu instid0(SALU_CYCLE_1)
	s_and_not1_b32 vcc_lo, exec_lo, s16
	s_cbranch_vccnz .LBB17_143
; %bb.128:
	s_cmp_lt_i32 s11, 2
	s_mov_b32 s16, -1
	s_cbranch_scc1 .LBB17_138
; %bb.129:
	s_cmp_lt_i32 s11, 3
	s_cbranch_scc1 .LBB17_135
; %bb.130:
	s_cmp_gt_i32 s11, 3
	s_cbranch_scc0 .LBB17_132
; %bb.131:
	s_wait_xcnt 0x0
	v_trunc_f32_e32 v1, v0
	s_mov_b32 s16, 0
	s_delay_alu instid0(VALU_DEP_1) | instskip(NEXT) | instid1(VALU_DEP_1)
	v_mul_f32_e64 v4, 0x2f800000, |v1|
	v_floor_f32_e32 v5, v4
	v_ashrrev_i32_e32 v4, 31, v1
	s_delay_alu instid0(VALU_DEP_2) | instskip(SKIP_1) | instid1(VALU_DEP_3)
	v_fma_f32 v6, 0xcf800000, v5, |v1|
	v_cvt_u32_f32_e32 v1, v5
	v_mov_b32_e32 v5, v4
	s_delay_alu instid0(VALU_DEP_3) | instskip(NEXT) | instid1(VALU_DEP_3)
	v_cvt_u32_f32_e32 v6, v6
	v_xor_b32_e32 v7, v1, v4
	s_delay_alu instid0(VALU_DEP_2) | instskip(NEXT) | instid1(VALU_DEP_1)
	v_xor_b32_e32 v6, v6, v4
	v_sub_nc_u64_e32 v[4:5], v[6:7], v[4:5]
	global_store_b64 v[2:3], v[4:5], off
.LBB17_132:
	s_and_not1_b32 vcc_lo, exec_lo, s16
	s_cbranch_vccnz .LBB17_134
; %bb.133:
	s_wait_xcnt 0x0
	v_cvt_i32_f32_e32 v1, v0
	global_store_b32 v[2:3], v1, off
.LBB17_134:
	s_mov_b32 s16, 0
.LBB17_135:
	s_delay_alu instid0(SALU_CYCLE_1)
	s_and_not1_b32 vcc_lo, exec_lo, s16
	s_cbranch_vccnz .LBB17_137
; %bb.136:
	s_wait_xcnt 0x0
	v_cvt_i32_f32_e32 v1, v0
	global_store_b16 v[2:3], v1, off
.LBB17_137:
	s_mov_b32 s16, 0
.LBB17_138:
	s_delay_alu instid0(SALU_CYCLE_1)
	s_and_not1_b32 vcc_lo, exec_lo, s16
	s_cbranch_vccnz .LBB17_143
; %bb.139:
	s_cmp_gt_i32 s11, 0
	s_mov_b32 s11, -1
	s_cbranch_scc0 .LBB17_141
; %bb.140:
	s_wait_xcnt 0x0
	v_cvt_i32_f32_e32 v1, v0
	s_mov_b32 s11, 0
	global_store_b8 v[2:3], v1, off
.LBB17_141:
	s_and_not1_b32 vcc_lo, exec_lo, s11
	s_cbranch_vccnz .LBB17_143
; %bb.142:
	s_wait_xcnt 0x0
	v_trunc_f32_e32 v0, v0
	s_delay_alu instid0(VALU_DEP_1) | instskip(NEXT) | instid1(VALU_DEP_1)
	v_mul_f32_e64 v1, 0x2f800000, |v0|
	v_floor_f32_e32 v1, v1
	s_delay_alu instid0(VALU_DEP_1) | instskip(SKIP_1) | instid1(VALU_DEP_2)
	v_fma_f32 v1, 0xcf800000, v1, |v0|
	v_ashrrev_i32_e32 v0, 31, v0
	v_cvt_u32_f32_e32 v1, v1
	s_delay_alu instid0(VALU_DEP_1) | instskip(NEXT) | instid1(VALU_DEP_1)
	v_xor_b32_e32 v1, v1, v0
	v_sub_nc_u32_e32 v0, v1, v0
	global_store_b8 v[2:3], v0, off
.LBB17_143:
.LBB17_144:
	v_add_nc_u32_e32 v8, 0x80, v8
	s_mov_b32 s16, -1
	s_branch .LBB17_255
.LBB17_145:
	s_mov_b32 s13, -1
                                        ; implicit-def: $vgpr2
.LBB17_146:
	s_mov_b32 s16, 0
.LBB17_147:
	s_delay_alu instid0(SALU_CYCLE_1)
	s_and_b32 vcc_lo, exec_lo, s16
	s_cbranch_vccz .LBB17_151
; %bb.148:
	s_cmp_eq_u32 s0, 29
	s_cbranch_scc0 .LBB17_150
; %bb.149:
	global_load_b64 v[2:3], v[0:1], off
	s_mov_b32 s11, -1
	s_mov_b32 s13, 0
	s_mov_b32 s16, 0
	s_wait_loadcnt 0x0
	v_clz_i32_u32_e32 v4, v3
	s_delay_alu instid0(VALU_DEP_1) | instskip(NEXT) | instid1(VALU_DEP_1)
	v_min_u32_e32 v4, 32, v4
	v_lshlrev_b64_e32 v[2:3], v4, v[2:3]
	s_delay_alu instid0(VALU_DEP_1) | instskip(NEXT) | instid1(VALU_DEP_1)
	v_min_u32_e32 v2, 1, v2
	v_dual_sub_nc_u32 v3, 32, v4 :: v_dual_bitop2_b32 v2, v3, v2 bitop3:0x54
	s_delay_alu instid0(VALU_DEP_1) | instskip(NEXT) | instid1(VALU_DEP_1)
	v_cvt_f32_u32_e32 v2, v2
	v_ldexp_f32 v2, v2, v3
	s_branch .LBB17_152
.LBB17_150:
	s_mov_b32 s13, -1
                                        ; implicit-def: $vgpr2
.LBB17_151:
	s_mov_b32 s16, 0
.LBB17_152:
	s_delay_alu instid0(SALU_CYCLE_1)
	s_and_b32 vcc_lo, exec_lo, s16
	s_cbranch_vccz .LBB17_170
; %bb.153:
	s_cmp_lt_i32 s0, 27
	s_cbranch_scc1 .LBB17_156
; %bb.154:
	s_cmp_gt_i32 s0, 27
	s_cbranch_scc0 .LBB17_157
; %bb.155:
	global_load_b32 v2, v[0:1], off
	s_mov_b32 s11, 0
	s_wait_loadcnt 0x0
	v_cvt_f32_u32_e32 v2, v2
	s_branch .LBB17_158
.LBB17_156:
	s_mov_b32 s11, -1
                                        ; implicit-def: $vgpr2
	s_branch .LBB17_161
.LBB17_157:
	s_mov_b32 s11, -1
                                        ; implicit-def: $vgpr2
.LBB17_158:
	s_delay_alu instid0(SALU_CYCLE_1)
	s_and_not1_b32 vcc_lo, exec_lo, s11
	s_cbranch_vccnz .LBB17_160
; %bb.159:
	global_load_u16 v2, v[0:1], off
	s_wait_loadcnt 0x0
	v_cvt_f32_u32_e32 v2, v2
.LBB17_160:
	s_mov_b32 s11, 0
.LBB17_161:
	s_delay_alu instid0(SALU_CYCLE_1)
	s_and_not1_b32 vcc_lo, exec_lo, s11
	s_cbranch_vccnz .LBB17_169
; %bb.162:
	global_load_u8 v3, v[0:1], off
	s_mov_b32 s11, 0
	s_mov_b32 s16, exec_lo
	s_wait_loadcnt 0x0
	v_cmpx_lt_i16_e32 0x7f, v3
	s_xor_b32 s16, exec_lo, s16
	s_cbranch_execz .LBB17_182
; %bb.163:
	s_mov_b32 s11, -1
	s_mov_b32 s17, exec_lo
	v_cmpx_eq_u16_e32 0x80, v3
; %bb.164:
	s_xor_b32 s11, exec_lo, -1
; %bb.165:
	s_or_b32 exec_lo, exec_lo, s17
	s_delay_alu instid0(SALU_CYCLE_1)
	s_and_b32 s11, s11, exec_lo
	s_or_saveexec_b32 s16, s16
	v_mov_b32_e32 v2, 0x7f800001
	s_xor_b32 exec_lo, exec_lo, s16
	s_cbranch_execnz .LBB17_183
.LBB17_166:
	s_or_b32 exec_lo, exec_lo, s16
	s_and_saveexec_b32 s16, s11
	s_cbranch_execz .LBB17_168
.LBB17_167:
	v_and_b32_e32 v2, 0xffff, v3
	s_delay_alu instid0(VALU_DEP_1) | instskip(SKIP_1) | instid1(VALU_DEP_2)
	v_and_b32_e32 v4, 7, v2
	v_bfe_u32 v7, v2, 3, 4
	v_clz_i32_u32_e32 v5, v4
	s_delay_alu instid0(VALU_DEP_2) | instskip(NEXT) | instid1(VALU_DEP_2)
	v_cmp_eq_u32_e32 vcc_lo, 0, v7
	v_min_u32_e32 v5, 32, v5
	s_delay_alu instid0(VALU_DEP_1) | instskip(NEXT) | instid1(VALU_DEP_1)
	v_subrev_nc_u32_e32 v6, 28, v5
	v_dual_lshlrev_b32 v2, v6, v2 :: v_dual_sub_nc_u32 v5, 29, v5
	s_delay_alu instid0(VALU_DEP_1) | instskip(NEXT) | instid1(VALU_DEP_1)
	v_dual_lshlrev_b32 v3, 24, v3 :: v_dual_bitop2_b32 v2, 7, v2 bitop3:0x40
	v_dual_cndmask_b32 v5, v7, v5 :: v_dual_cndmask_b32 v2, v4, v2
	s_delay_alu instid0(VALU_DEP_2) | instskip(NEXT) | instid1(VALU_DEP_2)
	v_and_b32_e32 v3, 0x80000000, v3
	v_lshl_add_u32 v4, v5, 23, 0x3b800000
	s_delay_alu instid0(VALU_DEP_3) | instskip(NEXT) | instid1(VALU_DEP_1)
	v_lshlrev_b32_e32 v2, 20, v2
	v_or3_b32 v2, v3, v4, v2
.LBB17_168:
	s_or_b32 exec_lo, exec_lo, s16
.LBB17_169:
	s_mov_b32 s11, -1
.LBB17_170:
	s_branch .LBB17_205
.LBB17_171:
	s_cmp_gt_i32 s0, 22
	s_cbranch_scc0 .LBB17_181
; %bb.172:
	s_cmp_lt_i32 s0, 24
	s_cbranch_scc1 .LBB17_184
; %bb.173:
	s_cmp_gt_i32 s0, 24
	s_cbranch_scc0 .LBB17_185
; %bb.174:
	global_load_u8 v3, v[0:1], off
	s_mov_b32 s11, 0
	s_mov_b32 s16, exec_lo
	s_wait_loadcnt 0x0
	v_cmpx_lt_i16_e32 0x7f, v3
	s_xor_b32 s16, exec_lo, s16
	s_cbranch_execz .LBB17_197
; %bb.175:
	s_mov_b32 s11, -1
	s_mov_b32 s17, exec_lo
	v_cmpx_eq_u16_e32 0x80, v3
; %bb.176:
	s_xor_b32 s11, exec_lo, -1
; %bb.177:
	s_or_b32 exec_lo, exec_lo, s17
	s_delay_alu instid0(SALU_CYCLE_1)
	s_and_b32 s11, s11, exec_lo
	s_or_saveexec_b32 s16, s16
	v_mov_b32_e32 v2, 0x7f800001
	s_xor_b32 exec_lo, exec_lo, s16
	s_cbranch_execnz .LBB17_198
.LBB17_178:
	s_or_b32 exec_lo, exec_lo, s16
	s_and_saveexec_b32 s16, s11
	s_cbranch_execz .LBB17_180
.LBB17_179:
	v_and_b32_e32 v2, 0xffff, v3
	s_delay_alu instid0(VALU_DEP_1) | instskip(SKIP_1) | instid1(VALU_DEP_2)
	v_and_b32_e32 v4, 3, v2
	v_bfe_u32 v7, v2, 2, 5
	v_clz_i32_u32_e32 v5, v4
	s_delay_alu instid0(VALU_DEP_2) | instskip(NEXT) | instid1(VALU_DEP_2)
	v_cmp_eq_u32_e32 vcc_lo, 0, v7
	v_min_u32_e32 v5, 32, v5
	s_delay_alu instid0(VALU_DEP_1) | instskip(NEXT) | instid1(VALU_DEP_1)
	v_subrev_nc_u32_e32 v6, 29, v5
	v_dual_lshlrev_b32 v2, v6, v2 :: v_dual_sub_nc_u32 v5, 30, v5
	s_delay_alu instid0(VALU_DEP_1) | instskip(NEXT) | instid1(VALU_DEP_1)
	v_dual_lshlrev_b32 v3, 24, v3 :: v_dual_bitop2_b32 v2, 3, v2 bitop3:0x40
	v_dual_cndmask_b32 v5, v7, v5 :: v_dual_cndmask_b32 v2, v4, v2
	s_delay_alu instid0(VALU_DEP_2) | instskip(NEXT) | instid1(VALU_DEP_2)
	v_and_b32_e32 v3, 0x80000000, v3
	v_lshl_add_u32 v4, v5, 23, 0x37800000
	s_delay_alu instid0(VALU_DEP_3) | instskip(NEXT) | instid1(VALU_DEP_1)
	v_lshlrev_b32_e32 v2, 21, v2
	v_or3_b32 v2, v3, v4, v2
.LBB17_180:
	s_or_b32 exec_lo, exec_lo, s16
	s_mov_b32 s11, 0
	s_branch .LBB17_186
.LBB17_181:
	s_mov_b32 s16, -1
                                        ; implicit-def: $vgpr2
	s_branch .LBB17_192
.LBB17_182:
	s_or_saveexec_b32 s16, s16
	v_mov_b32_e32 v2, 0x7f800001
	s_xor_b32 exec_lo, exec_lo, s16
	s_cbranch_execz .LBB17_166
.LBB17_183:
	v_cmp_ne_u16_e32 vcc_lo, 0, v3
	v_mov_b32_e32 v2, 0
	s_and_not1_b32 s11, s11, exec_lo
	s_and_b32 s17, vcc_lo, exec_lo
	s_delay_alu instid0(SALU_CYCLE_1)
	s_or_b32 s11, s11, s17
	s_or_b32 exec_lo, exec_lo, s16
	s_and_saveexec_b32 s16, s11
	s_cbranch_execnz .LBB17_167
	s_branch .LBB17_168
.LBB17_184:
	s_mov_b32 s11, -1
                                        ; implicit-def: $vgpr2
	s_branch .LBB17_189
.LBB17_185:
	s_mov_b32 s11, -1
                                        ; implicit-def: $vgpr2
.LBB17_186:
	s_delay_alu instid0(SALU_CYCLE_1)
	s_and_b32 vcc_lo, exec_lo, s11
	s_cbranch_vccz .LBB17_188
; %bb.187:
	global_load_u8 v2, v[0:1], off
	s_wait_loadcnt 0x0
	v_lshlrev_b32_e32 v2, 24, v2
	s_delay_alu instid0(VALU_DEP_1) | instskip(NEXT) | instid1(VALU_DEP_1)
	v_and_b32_e32 v3, 0x7f000000, v2
	v_clz_i32_u32_e32 v4, v3
	v_cmp_ne_u32_e32 vcc_lo, 0, v3
	v_add_nc_u32_e32 v6, 0x1000000, v3
	s_delay_alu instid0(VALU_DEP_3) | instskip(NEXT) | instid1(VALU_DEP_1)
	v_min_u32_e32 v4, 32, v4
	v_sub_nc_u32_e64 v4, v4, 4 clamp
	s_delay_alu instid0(VALU_DEP_1) | instskip(NEXT) | instid1(VALU_DEP_1)
	v_dual_lshlrev_b32 v5, v4, v3 :: v_dual_lshlrev_b32 v4, 23, v4
	v_lshrrev_b32_e32 v5, 4, v5
	s_delay_alu instid0(VALU_DEP_1) | instskip(NEXT) | instid1(VALU_DEP_1)
	v_dual_sub_nc_u32 v4, v5, v4 :: v_dual_ashrrev_i32 v5, 8, v6
	v_add_nc_u32_e32 v4, 0x3c000000, v4
	s_delay_alu instid0(VALU_DEP_1) | instskip(NEXT) | instid1(VALU_DEP_1)
	v_and_or_b32 v4, 0x7f800000, v5, v4
	v_cndmask_b32_e32 v3, 0, v4, vcc_lo
	s_delay_alu instid0(VALU_DEP_1)
	v_and_or_b32 v2, 0x80000000, v2, v3
.LBB17_188:
	s_mov_b32 s11, 0
.LBB17_189:
	s_delay_alu instid0(SALU_CYCLE_1)
	s_and_not1_b32 vcc_lo, exec_lo, s11
	s_cbranch_vccnz .LBB17_191
; %bb.190:
	global_load_u8 v2, v[0:1], off
	s_wait_loadcnt 0x0
	v_lshlrev_b32_e32 v3, 25, v2
	v_lshlrev_b16 v2, 8, v2
	s_delay_alu instid0(VALU_DEP_1) | instskip(SKIP_1) | instid1(VALU_DEP_2)
	v_and_or_b32 v5, 0x7f00, v2, 0.5
	v_bfe_i32 v2, v2, 0, 16
	v_dual_add_f32 v5, -0.5, v5 :: v_dual_lshrrev_b32 v4, 4, v3
	v_cmp_gt_u32_e32 vcc_lo, 0x8000000, v3
	s_delay_alu instid0(VALU_DEP_2) | instskip(NEXT) | instid1(VALU_DEP_1)
	v_or_b32_e32 v4, 0x70000000, v4
	v_mul_f32_e32 v4, 0x7800000, v4
	s_delay_alu instid0(VALU_DEP_1) | instskip(NEXT) | instid1(VALU_DEP_1)
	v_cndmask_b32_e32 v3, v4, v5, vcc_lo
	v_and_or_b32 v2, 0x80000000, v2, v3
.LBB17_191:
	s_mov_b32 s16, 0
	s_mov_b32 s11, -1
.LBB17_192:
	s_and_not1_b32 vcc_lo, exec_lo, s16
	s_cbranch_vccnz .LBB17_205
; %bb.193:
	s_cmp_gt_i32 s0, 14
	s_cbranch_scc0 .LBB17_196
; %bb.194:
	s_cmp_eq_u32 s0, 15
	s_cbranch_scc0 .LBB17_199
; %bb.195:
	global_load_u16 v2, v[0:1], off
	s_mov_b32 s11, -1
	s_mov_b32 s13, 0
	s_wait_loadcnt 0x0
	v_lshlrev_b32_e32 v2, 16, v2
	s_branch .LBB17_200
.LBB17_196:
	s_mov_b32 s16, -1
                                        ; implicit-def: $vgpr2
	s_branch .LBB17_201
.LBB17_197:
	s_or_saveexec_b32 s16, s16
	v_mov_b32_e32 v2, 0x7f800001
	s_xor_b32 exec_lo, exec_lo, s16
	s_cbranch_execz .LBB17_178
.LBB17_198:
	v_cmp_ne_u16_e32 vcc_lo, 0, v3
	v_mov_b32_e32 v2, 0
	s_and_not1_b32 s11, s11, exec_lo
	s_and_b32 s17, vcc_lo, exec_lo
	s_delay_alu instid0(SALU_CYCLE_1)
	s_or_b32 s11, s11, s17
	s_or_b32 exec_lo, exec_lo, s16
	s_and_saveexec_b32 s16, s11
	s_cbranch_execnz .LBB17_179
	s_branch .LBB17_180
.LBB17_199:
	s_mov_b32 s13, -1
                                        ; implicit-def: $vgpr2
.LBB17_200:
	s_mov_b32 s16, 0
.LBB17_201:
	s_delay_alu instid0(SALU_CYCLE_1)
	s_and_b32 vcc_lo, exec_lo, s16
	s_cbranch_vccz .LBB17_205
; %bb.202:
	s_cmp_eq_u32 s0, 11
	s_cbranch_scc0 .LBB17_204
; %bb.203:
	global_load_u8 v2, v[0:1], off
	s_mov_b32 s13, 0
	s_mov_b32 s11, -1
	s_wait_loadcnt 0x0
	v_cmp_ne_u16_e32 vcc_lo, 0, v2
	v_cndmask_b32_e64 v2, 0, 1.0, vcc_lo
	s_branch .LBB17_205
.LBB17_204:
	s_mov_b32 s13, -1
                                        ; implicit-def: $vgpr2
.LBB17_205:
	s_branch .LBB17_10
.LBB17_206:
	s_cmp_lt_i32 s0, 5
	s_cbranch_scc1 .LBB17_211
; %bb.207:
	s_cmp_lt_i32 s0, 8
	s_cbranch_scc1 .LBB17_212
; %bb.208:
	;; [unrolled: 3-line block ×3, first 2 shown]
	s_cmp_gt_i32 s0, 9
	s_cbranch_scc0 .LBB17_214
; %bb.210:
	global_load_b64 v[2:3], v[0:1], off
	s_mov_b32 s11, 0
	s_wait_loadcnt 0x0
	v_cvt_f32_f64_e32 v2, v[2:3]
	s_branch .LBB17_215
.LBB17_211:
                                        ; implicit-def: $vgpr2
	s_branch .LBB17_233
.LBB17_212:
	s_mov_b32 s11, -1
                                        ; implicit-def: $vgpr2
	s_branch .LBB17_221
.LBB17_213:
	s_mov_b32 s11, -1
                                        ; implicit-def: $vgpr2
	s_branch .LBB17_218
.LBB17_214:
	s_mov_b32 s11, -1
                                        ; implicit-def: $vgpr2
.LBB17_215:
	s_delay_alu instid0(SALU_CYCLE_1)
	s_and_not1_b32 vcc_lo, exec_lo, s11
	s_cbranch_vccnz .LBB17_217
; %bb.216:
	global_load_b32 v2, v[0:1], off
.LBB17_217:
	s_mov_b32 s11, 0
.LBB17_218:
	s_delay_alu instid0(SALU_CYCLE_1)
	s_and_not1_b32 vcc_lo, exec_lo, s11
	s_cbranch_vccnz .LBB17_220
; %bb.219:
	s_wait_loadcnt 0x0
	global_load_b32 v2, v[0:1], off
	s_wait_loadcnt 0x0
	v_cvt_f32_f16_e32 v2, v2
.LBB17_220:
	s_mov_b32 s11, 0
.LBB17_221:
	s_delay_alu instid0(SALU_CYCLE_1)
	s_and_not1_b32 vcc_lo, exec_lo, s11
	s_cbranch_vccnz .LBB17_232
; %bb.222:
	s_cmp_lt_i32 s0, 6
	s_cbranch_scc1 .LBB17_225
; %bb.223:
	s_cmp_gt_i32 s0, 6
	s_cbranch_scc0 .LBB17_226
; %bb.224:
	s_wait_loadcnt 0x0
	global_load_b64 v[2:3], v[0:1], off
	s_mov_b32 s11, 0
	s_wait_loadcnt 0x0
	v_cvt_f32_f64_e32 v2, v[2:3]
	s_branch .LBB17_227
.LBB17_225:
	s_mov_b32 s11, -1
                                        ; implicit-def: $vgpr2
	s_branch .LBB17_230
.LBB17_226:
	s_mov_b32 s11, -1
                                        ; implicit-def: $vgpr2
.LBB17_227:
	s_delay_alu instid0(SALU_CYCLE_1)
	s_and_not1_b32 vcc_lo, exec_lo, s11
	s_cbranch_vccnz .LBB17_229
; %bb.228:
	s_wait_loadcnt 0x0
	global_load_b32 v2, v[0:1], off
.LBB17_229:
	s_mov_b32 s11, 0
.LBB17_230:
	s_delay_alu instid0(SALU_CYCLE_1)
	s_and_not1_b32 vcc_lo, exec_lo, s11
	s_cbranch_vccnz .LBB17_232
; %bb.231:
	s_wait_loadcnt 0x0
	global_load_u16 v2, v[0:1], off
	s_wait_loadcnt 0x0
	v_cvt_f32_f16_e32 v2, v2
.LBB17_232:
	s_cbranch_execnz .LBB17_252
.LBB17_233:
	s_cmp_lt_i32 s0, 2
	s_cbranch_scc1 .LBB17_237
; %bb.234:
	s_cmp_lt_i32 s0, 3
	s_cbranch_scc1 .LBB17_238
; %bb.235:
	s_cmp_gt_i32 s0, 3
	s_cbranch_scc0 .LBB17_239
; %bb.236:
	s_wait_loadcnt 0x0
	global_load_b64 v[2:3], v[0:1], off
	s_mov_b32 s11, 0
	s_wait_loadcnt 0x0
	v_xor_b32_e32 v4, v2, v3
	v_cls_i32_e32 v5, v3
	s_delay_alu instid0(VALU_DEP_2) | instskip(NEXT) | instid1(VALU_DEP_1)
	v_ashrrev_i32_e32 v4, 31, v4
	v_add_nc_u32_e32 v4, 32, v4
	s_delay_alu instid0(VALU_DEP_1) | instskip(NEXT) | instid1(VALU_DEP_1)
	v_add_min_u32_e64 v4, v5, -1, v4
	v_lshlrev_b64_e32 v[2:3], v4, v[2:3]
	s_delay_alu instid0(VALU_DEP_1) | instskip(NEXT) | instid1(VALU_DEP_1)
	v_min_u32_e32 v2, 1, v2
	v_dual_sub_nc_u32 v3, 32, v4 :: v_dual_bitop2_b32 v2, v3, v2 bitop3:0x54
	s_delay_alu instid0(VALU_DEP_1) | instskip(NEXT) | instid1(VALU_DEP_1)
	v_cvt_f32_i32_e32 v2, v2
	v_ldexp_f32 v2, v2, v3
	s_branch .LBB17_240
.LBB17_237:
	s_mov_b32 s11, -1
                                        ; implicit-def: $vgpr2
	s_branch .LBB17_246
.LBB17_238:
	s_mov_b32 s11, -1
                                        ; implicit-def: $vgpr2
	s_branch .LBB17_243
.LBB17_239:
	s_mov_b32 s11, -1
                                        ; implicit-def: $vgpr2
.LBB17_240:
	s_delay_alu instid0(SALU_CYCLE_1)
	s_and_not1_b32 vcc_lo, exec_lo, s11
	s_cbranch_vccnz .LBB17_242
; %bb.241:
	s_wait_loadcnt 0x0
	global_load_b32 v2, v[0:1], off
	s_wait_loadcnt 0x0
	v_cvt_f32_i32_e32 v2, v2
.LBB17_242:
	s_mov_b32 s11, 0
.LBB17_243:
	s_delay_alu instid0(SALU_CYCLE_1)
	s_and_not1_b32 vcc_lo, exec_lo, s11
	s_cbranch_vccnz .LBB17_245
; %bb.244:
	s_wait_loadcnt 0x0
	global_load_i16 v2, v[0:1], off
	s_wait_loadcnt 0x0
	v_cvt_f32_i32_e32 v2, v2
.LBB17_245:
	s_mov_b32 s11, 0
.LBB17_246:
	s_delay_alu instid0(SALU_CYCLE_1)
	s_and_not1_b32 vcc_lo, exec_lo, s11
	s_cbranch_vccnz .LBB17_252
; %bb.247:
	s_cmp_gt_i32 s0, 0
	s_mov_b32 s0, 0
	s_cbranch_scc0 .LBB17_249
; %bb.248:
	s_wait_loadcnt 0x0
	global_load_i8 v2, v[0:1], off
	s_wait_loadcnt 0x0
	v_cvt_f32_i32_e32 v2, v2
	s_branch .LBB17_250
.LBB17_249:
	s_mov_b32 s0, -1
                                        ; implicit-def: $vgpr2
.LBB17_250:
	s_delay_alu instid0(SALU_CYCLE_1)
	s_and_not1_b32 vcc_lo, exec_lo, s0
	s_cbranch_vccnz .LBB17_252
; %bb.251:
	global_load_u8 v0, v[0:1], off
	s_wait_loadcnt 0x0
	v_cvt_f32_ubyte0_e32 v2, v0
.LBB17_252:
	s_branch .LBB17_11
.LBB17_253:
	s_mov_b32 s0, 0
.LBB17_254:
	s_mov_b32 s16, 0
                                        ; implicit-def: $vgpr8
.LBB17_255:
	s_and_b32 s11, s0, exec_lo
	s_and_b32 s13, s13, exec_lo
	s_or_not1_b32 s17, s16, exec_lo
.LBB17_256:
	s_wait_xcnt 0x0
	s_or_b32 exec_lo, exec_lo, s14
	s_mov_b32 s16, 0
	s_mov_b32 s0, 0
                                        ; implicit-def: $vgpr0_vgpr1
                                        ; implicit-def: $vgpr4
	s_and_saveexec_b32 s14, s17
	s_cbranch_execz .LBB17_265
; %bb.257:
	s_mov_b32 s0, -1
	s_mov_b32 s15, s13
	s_mov_b32 s16, s11
	s_mov_b32 s17, exec_lo
	v_cmpx_gt_i32_e64 s12, v8
	s_cbranch_execz .LBB17_523
; %bb.258:
	v_mul_lo_u32 v0, v8, s3
	s_and_b32 s0, 0xffff, s9
	s_delay_alu instid0(SALU_CYCLE_1) | instskip(NEXT) | instid1(VALU_DEP_1)
	s_cmp_lt_i32 s0, 11
	v_ashrrev_i32_e32 v1, 31, v0
	s_delay_alu instid0(VALU_DEP_1)
	v_add_nc_u64_e32 v[0:1], s[6:7], v[0:1]
	s_cbranch_scc1 .LBB17_268
; %bb.259:
	s_cmp_gt_i32 s0, 25
	s_cbranch_scc0 .LBB17_281
; %bb.260:
	s_cmp_gt_i32 s0, 28
	s_cbranch_scc0 .LBB17_283
; %bb.261:
	s_cmp_gt_i32 s0, 43
	s_cbranch_scc0 .LBB17_285
; %bb.262:
	s_cmp_gt_i32 s0, 45
	s_cbranch_scc0 .LBB17_289
; %bb.263:
	s_cmp_eq_u32 s0, 46
	s_mov_b32 s18, 0
	s_cbranch_scc0 .LBB17_293
; %bb.264:
	s_wait_loadcnt 0x0
	global_load_b32 v2, v[0:1], off
	s_mov_b32 s16, -1
	s_mov_b32 s15, 0
	s_wait_loadcnt 0x0
	v_lshlrev_b32_e32 v2, 16, v2
	s_branch .LBB17_295
.LBB17_265:
	s_or_b32 exec_lo, exec_lo, s14
	s_mov_b32 s12, 0
	s_and_saveexec_b32 s14, s13
	s_cbranch_execnz .LBB17_875
.LBB17_266:
	s_or_b32 exec_lo, exec_lo, s14
	s_and_saveexec_b32 s13, s15
	s_delay_alu instid0(SALU_CYCLE_1)
	s_xor_b32 s13, exec_lo, s13
	s_cbranch_execz .LBB17_876
.LBB17_267:
	s_wait_loadcnt 0x0
	global_load_u8 v2, v[0:1], off
	s_or_b32 s0, s0, exec_lo
	s_wait_loadcnt 0x0
	v_cmp_ne_u16_e32 vcc_lo, 0, v2
	v_cndmask_b32_e64 v4, 0, 1.0, vcc_lo
	s_wait_xcnt 0x0
	s_or_b32 exec_lo, exec_lo, s13
	s_and_saveexec_b32 s13, s16
	s_cbranch_execz .LBB17_922
	s_branch .LBB17_877
.LBB17_268:
	s_mov_b32 s16, 0
	s_mov_b32 s15, s13
                                        ; implicit-def: $vgpr2
	s_cbranch_execnz .LBB17_472
.LBB17_269:
	s_and_not1_b32 vcc_lo, exec_lo, s16
	s_cbranch_vccnz .LBB17_520
.LBB17_270:
	s_wait_loadcnt 0x0
	s_delay_alu instid0(VALU_DEP_1) | instskip(SKIP_3) | instid1(SALU_CYCLE_1)
	v_cmp_ge_f32_e64 s0, 0x41000000, |v2|
	s_wait_xcnt 0x0
	v_mul_f32_e64 v1, 0x3fb8aa3b, |v2|
                                        ; implicit-def: $vgpr0
	s_and_saveexec_b32 s16, s0
	s_xor_b32 s0, exec_lo, s16
	s_cbranch_execz .LBB17_272
; %bb.271:
	v_fma_f32 v0, |v2|, 0.5, -2.0
	s_mov_b32 s16, 0xa2a2e5b9
	v_rndne_f32_e32 v5, v1
	v_fma_f32 v6, 0x3fb8aa3b, |v2|, -v1
	v_cmp_ngt_f32_e64 vcc_lo, 0xc2ce8ed0, |v2|
	v_fmaak_f32 v3, s16, v0, 0x24199b15
	s_delay_alu instid0(VALU_DEP_4) | instskip(NEXT) | instid1(VALU_DEP_4)
	v_sub_f32_e32 v1, v1, v5
	v_fma_f32 v6, 0x32a5705f, |v2|, v6
	v_cvt_i32_f32_e32 v5, v5
	s_delay_alu instid0(VALU_DEP_2) | instskip(NEXT) | instid1(VALU_DEP_1)
	v_dual_fmaak_f32 v4, v0, v3, 0x22a2e5b9 :: v_dual_add_f32 v1, v1, v6
	v_add_f32_e32 v4, 0xa58c275c, v4
	s_delay_alu instid0(VALU_DEP_2) | instskip(SKIP_1) | instid1(TRANS32_DEP_1)
	v_exp_f32_e32 v1, v1
	v_nop
	v_ldexp_f32 v1, v1, v5
	s_delay_alu instid0(VALU_DEP_1) | instskip(SKIP_1) | instid1(VALU_DEP_2)
	v_dual_fma_f32 v3, v0, v4, -v3 :: v_dual_cndmask_b32 v1, 0, v1, vcc_lo
	v_cmp_nlt_f32_e64 vcc_lo, 0x42b17218, |v2|
                                        ; implicit-def: $vgpr2
	v_cndmask_b32_e32 v1, 0x7f800000, v1, vcc_lo
	s_delay_alu instid0(VALU_DEP_3) | instskip(NEXT) | instid1(VALU_DEP_1)
	v_add_f32_e32 v3, 0x26f736c5, v3
	v_fma_f32 v4, v0, v3, -v4
	s_delay_alu instid0(VALU_DEP_1) | instskip(NEXT) | instid1(VALU_DEP_1)
	v_add_f32_e32 v4, 0xa8528116, v4
	v_fma_f32 v3, v0, v4, -v3
	s_delay_alu instid0(VALU_DEP_1) | instskip(NEXT) | instid1(VALU_DEP_1)
	;; [unrolled: 3-line block ×26, first 2 shown]
	v_add_f32_e32 v0, 0x3f2d4275, v0
	v_sub_f32_e32 v0, v0, v3
	s_delay_alu instid0(VALU_DEP_1) | instskip(NEXT) | instid1(VALU_DEP_1)
	v_mul_f32_e32 v0, 0.5, v0
	v_mul_f32_e32 v0, v1, v0
                                        ; implicit-def: $vgpr1
.LBB17_272:
	s_and_not1_saveexec_b32 s16, s0
	s_cbranch_execz .LBB17_274
; %bb.273:
	v_and_b32_e32 v0, 0x7fffffff, v2
	s_mov_b32 s0, 0xa3056dbb
	v_fma_f32 v7, 0x3fb8aa3b, |v2|, -v1
	s_delay_alu instid0(VALU_DEP_2) | instskip(SKIP_1) | instid1(VALU_DEP_3)
	v_div_scale_f32 v3, null, v0, v0, 0x42000000
	v_div_scale_f32 v0, vcc_lo, 0x42000000, v0, 0x42000000
	v_fma_f32 v7, 0x32a5705f, |v2|, v7
	s_delay_alu instid0(VALU_DEP_3) | instskip(SKIP_1) | instid1(TRANS32_DEP_1)
	v_rcp_f32_e32 v4, v3
	v_nop
	v_fma_f32 v5, -v3, v4, 1.0
	s_delay_alu instid0(VALU_DEP_1) | instskip(NEXT) | instid1(VALU_DEP_1)
	v_fmac_f32_e32 v4, v5, v4
	v_mul_f32_e32 v5, v0, v4
	s_delay_alu instid0(VALU_DEP_1) | instskip(NEXT) | instid1(VALU_DEP_1)
	v_fma_f32 v6, -v3, v5, v0
	v_fmac_f32_e32 v5, v6, v4
	v_rndne_f32_e32 v6, v1
	s_delay_alu instid0(VALU_DEP_1) | instskip(SKIP_1) | instid1(VALU_DEP_2)
	v_dual_fma_f32 v0, -v3, v5, v0 :: v_dual_sub_f32 v1, v1, v6
	v_cvt_i32_f32_e32 v6, v6
	v_div_fmas_f32 v0, v0, v4, v5
	v_mul_f32_e64 v5, 0x4f800000, |v2|
	v_cmp_gt_f32_e64 vcc_lo, 0xf800000, |v2|
	s_delay_alu instid0(VALU_DEP_3) | instskip(NEXT) | instid1(VALU_DEP_2)
	v_div_fixup_f32 v0, v0, |v2|, 0x42000000
	v_cndmask_b32_e64 v5, |v2|, v5, vcc_lo
	s_delay_alu instid0(VALU_DEP_2) | instskip(NEXT) | instid1(VALU_DEP_2)
	v_dual_add_f32 v0, -2.0, v0 :: v_dual_add_f32 v1, v1, v7
	v_sqrt_f32_e32 v9, v5
	s_delay_alu instid0(VALU_DEP_1) | instskip(NEXT) | instid1(VALU_DEP_2)
	v_fmaak_f32 v3, s0, v0, 0xa2b236d3
	v_exp_f32_e32 v1, v1
	s_delay_alu instid0(TRANS32_DEP_2) | instskip(NEXT) | instid1(VALU_DEP_2)
	v_add_nc_u32_e32 v10, -1, v9
	v_dual_fmaak_f32 v4, v0, v3, 0x23056dbb :: v_dual_add_nc_u32 v7, 1, v9
	s_delay_alu instid0(TRANS32_DEP_1) | instskip(NEXT) | instid1(VALU_DEP_3)
	v_ldexp_f32 v1, v1, v6
	v_fma_f32 v11, -v10, v9, v5
	s_delay_alu instid0(VALU_DEP_3) | instskip(NEXT) | instid1(VALU_DEP_4)
	v_add_f32_e32 v4, 0x244df0c1, v4
	v_fma_f32 v12, -v7, v9, v5
	s_delay_alu instid0(VALU_DEP_3) | instskip(NEXT) | instid1(VALU_DEP_1)
	v_cmp_ge_f32_e64 s0, 0, v11
	v_dual_fma_f32 v3, v0, v4, -v3 :: v_dual_cndmask_b32 v9, v9, v10, s0
	s_delay_alu instid0(VALU_DEP_1) | instskip(NEXT) | instid1(VALU_DEP_4)
	v_add_f32_e32 v3, 0x241f9ee8, v3
	v_cmp_lt_f32_e64 s0, 0, v12
	s_delay_alu instid0(VALU_DEP_2) | instskip(NEXT) | instid1(VALU_DEP_1)
	v_fma_f32 v4, v0, v3, -v4
	v_add_f32_e32 v4, 0xa5a3005d, v4
	s_delay_alu instid0(VALU_DEP_1) | instskip(NEXT) | instid1(VALU_DEP_1)
	v_fma_f32 v3, v0, v4, -v3
	v_add_f32_e32 v3, 0xa5c5773f, v3
	s_delay_alu instid0(VALU_DEP_1) | instskip(NEXT) | instid1(VALU_DEP_1)
	;; [unrolled: 3-line block ×19, first 2 shown]
	v_fma_f32 v3, v0, v4, -v3
	v_add_f32_e32 v3, 0x3b5ccc65, v3
	s_delay_alu instid0(VALU_DEP_1) | instskip(SKIP_2) | instid1(VALU_DEP_3)
	v_fma_f32 v0, v0, v3, -v4
	v_cndmask_b32_e64 v3, v9, v7, s0
	v_cmp_ngt_f32_e64 s0, 0xc2ce8ed0, |v2|
	v_add_f32_e32 v0, 0x3f4df315, v0
	s_delay_alu instid0(VALU_DEP_3) | instskip(NEXT) | instid1(VALU_DEP_3)
	v_mul_f32_e32 v6, 0x37800000, v3
	v_cndmask_b32_e64 v1, 0, v1, s0
	v_cmp_nlt_f32_e64 s0, 0x42b17218, |v2|
	s_delay_alu instid0(VALU_DEP_3) | instskip(SKIP_1) | instid1(VALU_DEP_3)
	v_dual_sub_f32 v0, v0, v4 :: v_dual_cndmask_b32 v2, v3, v6, vcc_lo
	v_cmp_class_f32_e64 vcc_lo, v5, 0x260
	v_cndmask_b32_e64 v1, 0x7f800000, v1, s0
	s_delay_alu instid0(VALU_DEP_2) | instskip(NEXT) | instid1(VALU_DEP_1)
	v_dual_mul_f32 v0, 0.5, v0 :: v_dual_cndmask_b32 v2, v2, v5, vcc_lo
	v_mul_f32_e32 v0, v1, v0
	s_delay_alu instid0(VALU_DEP_1) | instskip(NEXT) | instid1(VALU_DEP_1)
	v_div_scale_f32 v1, null, v2, v2, v0
	v_rcp_f32_e32 v3, v1
	v_nop
	s_delay_alu instid0(TRANS32_DEP_1) | instskip(NEXT) | instid1(VALU_DEP_1)
	v_fma_f32 v4, -v1, v3, 1.0
	v_fmac_f32_e32 v3, v4, v3
	v_div_scale_f32 v4, vcc_lo, v0, v2, v0
	s_delay_alu instid0(VALU_DEP_1) | instskip(NEXT) | instid1(VALU_DEP_1)
	v_mul_f32_e32 v5, v4, v3
	v_fma_f32 v6, -v1, v5, v4
	s_delay_alu instid0(VALU_DEP_1) | instskip(NEXT) | instid1(VALU_DEP_1)
	v_fmac_f32_e32 v5, v6, v3
	v_fma_f32 v1, -v1, v5, v4
	s_delay_alu instid0(VALU_DEP_1) | instskip(NEXT) | instid1(VALU_DEP_1)
	v_div_fmas_f32 v1, v1, v3, v5
	v_div_fixup_f32 v0, v1, v2, v0
.LBB17_274:
	s_or_b32 exec_lo, exec_lo, s16
	v_mul_lo_u32 v2, v8, s2
	s_and_b32 s16, s8, 0xff
	s_delay_alu instid0(SALU_CYCLE_1) | instskip(NEXT) | instid1(VALU_DEP_1)
	s_cmp_lt_i32 s16, 11
	v_ashrrev_i32_e32 v3, 31, v2
	s_delay_alu instid0(VALU_DEP_1)
	v_add_nc_u64_e32 v[2:3], s[4:5], v[2:3]
	s_cbranch_scc1 .LBB17_282
; %bb.275:
	s_and_b32 s18, 0xffff, s16
	s_delay_alu instid0(SALU_CYCLE_1)
	s_cmp_gt_i32 s18, 25
	s_cbranch_scc0 .LBB17_284
; %bb.276:
	s_cmp_gt_i32 s18, 28
	s_cbranch_scc0 .LBB17_286
; %bb.277:
	;; [unrolled: 3-line block ×4, first 2 shown]
	s_mov_b32 s20, 0
	s_mov_b32 s0, -1
	s_cmp_eq_u32 s18, 46
	s_mov_b32 s19, 0
	s_cbranch_scc0 .LBB17_299
; %bb.280:
	v_bfe_u32 v1, v0, 16, 1
	v_cmp_o_f32_e32 vcc_lo, v0, v0
	s_mov_b32 s19, -1
	s_mov_b32 s0, 0
	s_delay_alu instid0(VALU_DEP_2) | instskip(NEXT) | instid1(VALU_DEP_1)
	v_add3_u32 v1, v0, v1, 0x7fff
	v_lshrrev_b32_e32 v1, 16, v1
	s_delay_alu instid0(VALU_DEP_1)
	v_cndmask_b32_e32 v1, 0x7fc0, v1, vcc_lo
	global_store_b32 v[2:3], v1, off
	s_branch .LBB17_299
.LBB17_281:
	s_mov_b32 s18, -1
	s_mov_b32 s16, 0
	s_mov_b32 s15, s13
                                        ; implicit-def: $vgpr2
	s_branch .LBB17_436
.LBB17_282:
	s_mov_b32 s18, -1
	s_mov_b32 s19, 0
	s_mov_b32 s0, s11
	s_branch .LBB17_368
.LBB17_283:
	s_mov_b32 s18, -1
	s_mov_b32 s16, 0
	s_mov_b32 s15, s13
                                        ; implicit-def: $vgpr2
	s_branch .LBB17_417
.LBB17_284:
	s_mov_b32 s20, -1
	s_mov_b32 s19, 0
	s_mov_b32 s0, s11
	s_branch .LBB17_326
.LBB17_285:
	s_mov_b32 s18, -1
	s_mov_b32 s16, 0
	s_mov_b32 s15, s13
                                        ; implicit-def: $vgpr2
	s_branch .LBB17_412
.LBB17_286:
	s_mov_b32 s20, -1
	s_mov_b32 s19, 0
	s_mov_b32 s0, s11
	s_branch .LBB17_309
.LBB17_287:
	s_and_not1_saveexec_b32 s19, s19
	s_cbranch_execz .LBB17_58
.LBB17_288:
	v_add_f32_e64 v1, 0x46000000, |v0|
	s_and_not1_b32 s18, s18, exec_lo
	s_delay_alu instid0(VALU_DEP_1) | instskip(NEXT) | instid1(VALU_DEP_1)
	v_and_b32_e32 v1, 0xff, v1
	v_cmp_ne_u32_e32 vcc_lo, 0, v1
	s_and_b32 s20, vcc_lo, exec_lo
	s_delay_alu instid0(SALU_CYCLE_1)
	s_or_b32 s18, s18, s20
	s_or_b32 exec_lo, exec_lo, s19
	v_mov_b32_e32 v4, 0
	s_and_saveexec_b32 s19, s18
	s_cbranch_execnz .LBB17_59
	s_branch .LBB17_60
.LBB17_289:
	s_mov_b32 s18, -1
	s_mov_b32 s16, 0
	s_mov_b32 s15, s13
	s_branch .LBB17_294
.LBB17_290:
	s_mov_b32 s20, -1
	s_mov_b32 s19, 0
	s_mov_b32 s0, s11
	s_branch .LBB17_305
.LBB17_291:
	s_and_not1_saveexec_b32 s19, s19
	s_cbranch_execz .LBB17_71
.LBB17_292:
	v_add_f32_e64 v1, 0x42800000, |v0|
	s_and_not1_b32 s18, s18, exec_lo
	s_delay_alu instid0(VALU_DEP_1) | instskip(NEXT) | instid1(VALU_DEP_1)
	v_and_b32_e32 v1, 0xff, v1
	v_cmp_ne_u32_e32 vcc_lo, 0, v1
	s_and_b32 s20, vcc_lo, exec_lo
	s_delay_alu instid0(SALU_CYCLE_1)
	s_or_b32 s18, s18, s20
	s_or_b32 exec_lo, exec_lo, s19
	v_mov_b32_e32 v4, 0
	s_and_saveexec_b32 s19, s18
	s_cbranch_execnz .LBB17_72
	s_branch .LBB17_73
.LBB17_293:
	s_mov_b32 s15, -1
	s_mov_b32 s16, 0
.LBB17_294:
                                        ; implicit-def: $vgpr2
.LBB17_295:
	s_and_b32 vcc_lo, exec_lo, s18
	s_cbranch_vccz .LBB17_411
; %bb.296:
	s_cmp_eq_u32 s0, 44
	s_cbranch_scc0 .LBB17_410
; %bb.297:
	s_wait_loadcnt 0x0
	global_load_u8 v2, v[0:1], off
	s_mov_b32 s15, 0
	s_mov_b32 s16, -1
	s_wait_loadcnt 0x0
	v_lshlrev_b32_e32 v3, 23, v2
	v_cmp_ne_u32_e32 vcc_lo, 0xff, v2
	s_delay_alu instid0(VALU_DEP_2) | instskip(SKIP_1) | instid1(VALU_DEP_2)
	v_cndmask_b32_e32 v3, 0x7f800001, v3, vcc_lo
	v_cmp_ne_u32_e32 vcc_lo, 0, v2
	v_cndmask_b32_e32 v2, 0x400000, v3, vcc_lo
	s_branch .LBB17_411
.LBB17_298:
	s_mov_b32 s20, -1
	s_mov_b32 s19, 0
	s_mov_b32 s0, s11
.LBB17_299:
	s_and_b32 vcc_lo, exec_lo, s20
	s_cbranch_vccz .LBB17_304
; %bb.300:
	s_cmp_eq_u32 s18, 44
	s_mov_b32 s0, -1
	s_cbranch_scc0 .LBB17_304
; %bb.301:
	v_bfe_u32 v4, v0, 23, 8
	s_wait_xcnt 0x0
	v_mov_b32_e32 v1, 0xff
	s_mov_b32 s19, exec_lo
	s_delay_alu instid0(VALU_DEP_2)
	v_cmpx_ne_u32_e32 0xff, v4
	s_cbranch_execz .LBB17_303
; %bb.302:
	v_and_b32_e32 v1, 0x400000, v0
	v_and_or_b32 v4, 0x3fffff, v0, v4
	s_delay_alu instid0(VALU_DEP_2) | instskip(NEXT) | instid1(VALU_DEP_2)
	v_cmp_ne_u32_e32 vcc_lo, 0, v1
	v_cmp_ne_u32_e64 s0, 0, v4
	v_lshrrev_b32_e32 v1, 23, v0
	s_and_b32 s0, vcc_lo, s0
	s_delay_alu instid0(SALU_CYCLE_1) | instskip(NEXT) | instid1(VALU_DEP_1)
	v_cndmask_b32_e64 v4, 0, 1, s0
	v_add_nc_u32_e32 v1, v1, v4
.LBB17_303:
	s_or_b32 exec_lo, exec_lo, s19
	s_mov_b32 s19, -1
	s_mov_b32 s0, 0
	global_store_b8 v[2:3], v1, off
.LBB17_304:
	s_mov_b32 s20, 0
.LBB17_305:
	s_delay_alu instid0(SALU_CYCLE_1)
	s_and_b32 vcc_lo, exec_lo, s20
	s_cbranch_vccz .LBB17_308
; %bb.306:
	s_cmp_eq_u32 s18, 29
	s_mov_b32 s0, -1
	s_cbranch_scc0 .LBB17_308
; %bb.307:
	s_wait_xcnt 0x0
	v_trunc_f32_e32 v1, v0
	s_mov_b32 s19, -1
	s_mov_b32 s0, 0
	s_mov_b32 s20, 0
	s_delay_alu instid0(VALU_DEP_1) | instskip(NEXT) | instid1(VALU_DEP_1)
	v_mul_f32_e32 v4, 0x2f800000, v1
	v_floor_f32_e32 v4, v4
	s_delay_alu instid0(VALU_DEP_1) | instskip(SKIP_1) | instid1(VALU_DEP_2)
	v_fmamk_f32 v1, v4, 0xcf800000, v1
	v_cvt_u32_f32_e32 v5, v4
	v_cvt_u32_f32_e32 v4, v1
	global_store_b64 v[2:3], v[4:5], off
	s_branch .LBB17_309
.LBB17_308:
	s_mov_b32 s20, 0
.LBB17_309:
	s_delay_alu instid0(SALU_CYCLE_1)
	s_and_b32 vcc_lo, exec_lo, s20
	s_cbranch_vccz .LBB17_325
; %bb.310:
	s_cmp_lt_i32 s18, 27
	s_mov_b32 s19, -1
	s_cbranch_scc1 .LBB17_316
; %bb.311:
	s_wait_xcnt 0x0
	v_cvt_u32_f32_e32 v1, v0
	s_cmp_gt_i32 s18, 27
	s_cbranch_scc0 .LBB17_313
; %bb.312:
	s_mov_b32 s19, 0
	global_store_b32 v[2:3], v1, off
.LBB17_313:
	s_and_not1_b32 vcc_lo, exec_lo, s19
	s_cbranch_vccnz .LBB17_315
; %bb.314:
	global_store_b16 v[2:3], v1, off
.LBB17_315:
	s_mov_b32 s19, 0
.LBB17_316:
	s_delay_alu instid0(SALU_CYCLE_1)
	s_and_not1_b32 vcc_lo, exec_lo, s19
	s_cbranch_vccnz .LBB17_324
; %bb.317:
	s_wait_xcnt 0x0
	v_and_b32_e32 v1, 0x7fffffff, v0
	v_mov_b32_e32 v4, 0x80
	s_mov_b32 s19, exec_lo
	s_delay_alu instid0(VALU_DEP_2)
	v_cmpx_gt_u32_e32 0x43800000, v1
	s_cbranch_execz .LBB17_323
; %bb.318:
	v_cmp_lt_u32_e32 vcc_lo, 0x3bffffff, v1
	s_mov_b32 s20, 0
                                        ; implicit-def: $vgpr1
	s_and_saveexec_b32 s21, vcc_lo
	s_delay_alu instid0(SALU_CYCLE_1)
	s_xor_b32 s21, exec_lo, s21
	s_cbranch_execz .LBB17_536
; %bb.319:
	v_bfe_u32 v1, v0, 20, 1
	s_mov_b32 s20, exec_lo
	s_delay_alu instid0(VALU_DEP_1) | instskip(NEXT) | instid1(VALU_DEP_1)
	v_add3_u32 v1, v0, v1, 0x487ffff
	v_lshrrev_b32_e32 v1, 20, v1
	s_and_not1_saveexec_b32 s21, s21
	s_cbranch_execnz .LBB17_537
.LBB17_320:
	s_or_b32 exec_lo, exec_lo, s21
	v_mov_b32_e32 v4, 0
	s_and_saveexec_b32 s21, s20
.LBB17_321:
	v_lshrrev_b32_e32 v4, 24, v0
	s_delay_alu instid0(VALU_DEP_1)
	v_and_or_b32 v4, 0x80, v4, v1
.LBB17_322:
	s_or_b32 exec_lo, exec_lo, s21
.LBB17_323:
	s_delay_alu instid0(SALU_CYCLE_1)
	s_or_b32 exec_lo, exec_lo, s19
	global_store_b8 v[2:3], v4, off
.LBB17_324:
	s_mov_b32 s19, -1
.LBB17_325:
	s_mov_b32 s20, 0
.LBB17_326:
	s_delay_alu instid0(SALU_CYCLE_1)
	s_and_b32 vcc_lo, exec_lo, s20
	s_cbranch_vccz .LBB17_367
; %bb.327:
	s_cmp_gt_i32 s18, 22
	s_mov_b32 s20, -1
	s_cbranch_scc0 .LBB17_359
; %bb.328:
	s_cmp_lt_i32 s18, 24
	s_mov_b32 s19, -1
	s_cbranch_scc1 .LBB17_348
; %bb.329:
	s_cmp_gt_i32 s18, 24
	s_cbranch_scc0 .LBB17_337
; %bb.330:
	s_wait_xcnt 0x0
	v_and_b32_e32 v1, 0x7fffffff, v0
	v_mov_b32_e32 v4, 0x80
	s_mov_b32 s19, exec_lo
	s_delay_alu instid0(VALU_DEP_2)
	v_cmpx_gt_u32_e32 0x47800000, v1
	s_cbranch_execz .LBB17_336
; %bb.331:
	v_cmp_lt_u32_e32 vcc_lo, 0x37ffffff, v1
	s_mov_b32 s20, 0
                                        ; implicit-def: $vgpr1
	s_and_saveexec_b32 s21, vcc_lo
	s_delay_alu instid0(SALU_CYCLE_1)
	s_xor_b32 s21, exec_lo, s21
	s_cbranch_execz .LBB17_539
; %bb.332:
	v_bfe_u32 v1, v0, 21, 1
	s_mov_b32 s20, exec_lo
	s_delay_alu instid0(VALU_DEP_1) | instskip(NEXT) | instid1(VALU_DEP_1)
	v_add3_u32 v1, v0, v1, 0x88fffff
	v_lshrrev_b32_e32 v1, 21, v1
	s_and_not1_saveexec_b32 s21, s21
	s_cbranch_execnz .LBB17_540
.LBB17_333:
	s_or_b32 exec_lo, exec_lo, s21
	v_mov_b32_e32 v4, 0
	s_and_saveexec_b32 s21, s20
.LBB17_334:
	v_lshrrev_b32_e32 v4, 24, v0
	s_delay_alu instid0(VALU_DEP_1)
	v_and_or_b32 v4, 0x80, v4, v1
.LBB17_335:
	s_or_b32 exec_lo, exec_lo, s21
.LBB17_336:
	s_delay_alu instid0(SALU_CYCLE_1)
	s_or_b32 exec_lo, exec_lo, s19
	s_mov_b32 s19, 0
	global_store_b8 v[2:3], v4, off
.LBB17_337:
	s_and_b32 vcc_lo, exec_lo, s19
	s_cbranch_vccz .LBB17_347
; %bb.338:
	s_wait_xcnt 0x0
	v_and_b32_e32 v4, 0x7fffffff, v0
	s_mov_b32 s19, exec_lo
                                        ; implicit-def: $vgpr1
	s_delay_alu instid0(VALU_DEP_1)
	v_cmpx_gt_u32_e32 0x43f00000, v4
	s_xor_b32 s19, exec_lo, s19
	s_cbranch_execz .LBB17_344
; %bb.339:
	s_mov_b32 s20, exec_lo
                                        ; implicit-def: $vgpr1
	v_cmpx_lt_u32_e32 0x3c7fffff, v4
	s_xor_b32 s20, exec_lo, s20
; %bb.340:
	v_bfe_u32 v1, v0, 20, 1
	s_delay_alu instid0(VALU_DEP_1) | instskip(NEXT) | instid1(VALU_DEP_1)
	v_add3_u32 v1, v0, v1, 0x407ffff
	v_and_b32_e32 v4, 0xff00000, v1
	v_lshrrev_b32_e32 v1, 20, v1
	s_delay_alu instid0(VALU_DEP_2) | instskip(NEXT) | instid1(VALU_DEP_2)
	v_cmp_ne_u32_e32 vcc_lo, 0x7f00000, v4
	v_cndmask_b32_e32 v1, 0x7e, v1, vcc_lo
; %bb.341:
	s_and_not1_saveexec_b32 s20, s20
; %bb.342:
	v_add_f32_e64 v1, 0x46800000, |v0|
; %bb.343:
	s_or_b32 exec_lo, exec_lo, s20
                                        ; implicit-def: $vgpr4
.LBB17_344:
	s_and_not1_saveexec_b32 s19, s19
; %bb.345:
	v_mov_b32_e32 v1, 0x7f
	v_cmp_lt_u32_e32 vcc_lo, 0x7f800000, v4
	s_delay_alu instid0(VALU_DEP_2)
	v_cndmask_b32_e32 v1, 0x7e, v1, vcc_lo
; %bb.346:
	s_or_b32 exec_lo, exec_lo, s19
	v_lshrrev_b32_e32 v4, 24, v0
	s_delay_alu instid0(VALU_DEP_1)
	v_and_or_b32 v1, 0x80, v4, v1
	global_store_b8 v[2:3], v1, off
.LBB17_347:
	s_mov_b32 s19, 0
.LBB17_348:
	s_delay_alu instid0(SALU_CYCLE_1)
	s_and_not1_b32 vcc_lo, exec_lo, s19
	s_cbranch_vccnz .LBB17_358
; %bb.349:
	s_wait_xcnt 0x0
	v_and_b32_e32 v4, 0x7fffffff, v0
	s_mov_b32 s19, exec_lo
                                        ; implicit-def: $vgpr1
	s_delay_alu instid0(VALU_DEP_1)
	v_cmpx_gt_u32_e32 0x47800000, v4
	s_xor_b32 s19, exec_lo, s19
	s_cbranch_execz .LBB17_355
; %bb.350:
	s_mov_b32 s20, exec_lo
                                        ; implicit-def: $vgpr1
	v_cmpx_lt_u32_e32 0x387fffff, v4
	s_xor_b32 s20, exec_lo, s20
; %bb.351:
	v_bfe_u32 v1, v0, 21, 1
	s_delay_alu instid0(VALU_DEP_1) | instskip(NEXT) | instid1(VALU_DEP_1)
	v_add3_u32 v1, v0, v1, 0x80fffff
	v_lshrrev_b32_e32 v1, 21, v1
; %bb.352:
	s_and_not1_saveexec_b32 s20, s20
; %bb.353:
	v_add_f32_e64 v1, 0x43000000, |v0|
; %bb.354:
	s_or_b32 exec_lo, exec_lo, s20
                                        ; implicit-def: $vgpr4
.LBB17_355:
	s_and_not1_saveexec_b32 s19, s19
; %bb.356:
	v_mov_b32_e32 v1, 0x7f
	v_cmp_lt_u32_e32 vcc_lo, 0x7f800000, v4
	s_delay_alu instid0(VALU_DEP_2)
	v_cndmask_b32_e32 v1, 0x7c, v1, vcc_lo
; %bb.357:
	s_or_b32 exec_lo, exec_lo, s19
	v_lshrrev_b32_e32 v4, 24, v0
	s_delay_alu instid0(VALU_DEP_1)
	v_and_or_b32 v1, 0x80, v4, v1
	global_store_b8 v[2:3], v1, off
.LBB17_358:
	s_mov_b32 s20, 0
	s_mov_b32 s19, -1
.LBB17_359:
	s_and_not1_b32 vcc_lo, exec_lo, s20
	s_cbranch_vccnz .LBB17_367
; %bb.360:
	s_cmp_gt_i32 s18, 14
	s_mov_b32 s20, -1
	s_cbranch_scc0 .LBB17_364
; %bb.361:
	s_cmp_eq_u32 s18, 15
	s_mov_b32 s0, -1
	s_cbranch_scc0 .LBB17_363
; %bb.362:
	s_wait_xcnt 0x0
	v_bfe_u32 v1, v0, 16, 1
	v_cmp_o_f32_e32 vcc_lo, v0, v0
	s_mov_b32 s19, -1
	s_mov_b32 s0, 0
	s_delay_alu instid0(VALU_DEP_2) | instskip(NEXT) | instid1(VALU_DEP_1)
	v_add3_u32 v1, v0, v1, 0x7fff
	v_lshrrev_b32_e32 v1, 16, v1
	s_delay_alu instid0(VALU_DEP_1)
	v_cndmask_b32_e32 v1, 0x7fc0, v1, vcc_lo
	global_store_b16 v[2:3], v1, off
.LBB17_363:
	s_mov_b32 s20, 0
.LBB17_364:
	s_delay_alu instid0(SALU_CYCLE_1)
	s_and_b32 vcc_lo, exec_lo, s20
	s_cbranch_vccz .LBB17_367
; %bb.365:
	s_cmp_eq_u32 s18, 11
	s_mov_b32 s0, -1
	s_cbranch_scc0 .LBB17_367
; %bb.366:
	v_cmp_neq_f32_e32 vcc_lo, 0, v0
	s_mov_b32 s0, 0
	s_mov_b32 s19, -1
	s_wait_xcnt 0x0
	v_cndmask_b32_e64 v1, 0, 1, vcc_lo
	global_store_b8 v[2:3], v1, off
.LBB17_367:
	s_mov_b32 s18, 0
.LBB17_368:
	s_delay_alu instid0(SALU_CYCLE_1)
	s_and_b32 vcc_lo, exec_lo, s18
	s_cbranch_vccz .LBB17_407
; %bb.369:
	s_and_b32 s16, 0xffff, s16
	s_mov_b32 s18, -1
	s_cmp_lt_i32 s16, 5
	s_cbranch_scc1 .LBB17_390
; %bb.370:
	s_cmp_lt_i32 s16, 8
	s_cbranch_scc1 .LBB17_380
; %bb.371:
	;; [unrolled: 3-line block ×3, first 2 shown]
	s_cmp_gt_i32 s16, 9
	s_cbranch_scc0 .LBB17_374
; %bb.373:
	s_wait_xcnt 0x0
	v_cvt_f64_f32_e32 v[4:5], v0
	v_mov_b32_e32 v6, 0
	s_mov_b32 s18, 0
	s_delay_alu instid0(VALU_DEP_1)
	v_mov_b32_e32 v7, v6
	global_store_b128 v[2:3], v[4:7], off
.LBB17_374:
	s_and_not1_b32 vcc_lo, exec_lo, s18
	s_cbranch_vccnz .LBB17_376
; %bb.375:
	s_wait_xcnt 0x0
	v_mov_b32_e32 v1, 0
	global_store_b64 v[2:3], v[0:1], off
.LBB17_376:
	s_mov_b32 s18, 0
.LBB17_377:
	s_delay_alu instid0(SALU_CYCLE_1)
	s_and_not1_b32 vcc_lo, exec_lo, s18
	s_cbranch_vccnz .LBB17_379
; %bb.378:
	s_wait_xcnt 0x0
	v_cvt_f16_f32_e32 v1, v0
	s_delay_alu instid0(VALU_DEP_1)
	v_and_b32_e32 v1, 0xffff, v1
	global_store_b32 v[2:3], v1, off
.LBB17_379:
	s_mov_b32 s18, 0
.LBB17_380:
	s_delay_alu instid0(SALU_CYCLE_1)
	s_and_not1_b32 vcc_lo, exec_lo, s18
	s_cbranch_vccnz .LBB17_389
; %bb.381:
	s_cmp_lt_i32 s16, 6
	s_mov_b32 s18, -1
	s_cbranch_scc1 .LBB17_387
; %bb.382:
	s_cmp_gt_i32 s16, 6
	s_cbranch_scc0 .LBB17_384
; %bb.383:
	s_wait_xcnt 0x0
	v_cvt_f64_f32_e32 v[4:5], v0
	s_mov_b32 s18, 0
	global_store_b64 v[2:3], v[4:5], off
.LBB17_384:
	s_and_not1_b32 vcc_lo, exec_lo, s18
	s_cbranch_vccnz .LBB17_386
; %bb.385:
	global_store_b32 v[2:3], v0, off
.LBB17_386:
	s_mov_b32 s18, 0
.LBB17_387:
	s_delay_alu instid0(SALU_CYCLE_1)
	s_and_not1_b32 vcc_lo, exec_lo, s18
	s_cbranch_vccnz .LBB17_389
; %bb.388:
	s_wait_xcnt 0x0
	v_cvt_f16_f32_e32 v1, v0
	global_store_b16 v[2:3], v1, off
.LBB17_389:
	s_mov_b32 s18, 0
.LBB17_390:
	s_delay_alu instid0(SALU_CYCLE_1)
	s_and_not1_b32 vcc_lo, exec_lo, s18
	s_cbranch_vccnz .LBB17_406
; %bb.391:
	s_cmp_lt_i32 s16, 2
	s_mov_b32 s18, -1
	s_cbranch_scc1 .LBB17_401
; %bb.392:
	s_cmp_lt_i32 s16, 3
	s_cbranch_scc1 .LBB17_398
; %bb.393:
	s_cmp_gt_i32 s16, 3
	s_cbranch_scc0 .LBB17_395
; %bb.394:
	s_wait_xcnt 0x0
	v_trunc_f32_e32 v1, v0
	s_mov_b32 s18, 0
	s_delay_alu instid0(VALU_DEP_1) | instskip(NEXT) | instid1(VALU_DEP_1)
	v_mul_f32_e64 v4, 0x2f800000, |v1|
	v_floor_f32_e32 v5, v4
	v_ashrrev_i32_e32 v4, 31, v1
	s_delay_alu instid0(VALU_DEP_2) | instskip(SKIP_1) | instid1(VALU_DEP_3)
	v_fma_f32 v6, 0xcf800000, v5, |v1|
	v_cvt_u32_f32_e32 v1, v5
	v_mov_b32_e32 v5, v4
	s_delay_alu instid0(VALU_DEP_3) | instskip(NEXT) | instid1(VALU_DEP_3)
	v_cvt_u32_f32_e32 v6, v6
	v_xor_b32_e32 v7, v1, v4
	s_delay_alu instid0(VALU_DEP_2) | instskip(NEXT) | instid1(VALU_DEP_1)
	v_xor_b32_e32 v6, v6, v4
	v_sub_nc_u64_e32 v[4:5], v[6:7], v[4:5]
	global_store_b64 v[2:3], v[4:5], off
.LBB17_395:
	s_and_not1_b32 vcc_lo, exec_lo, s18
	s_cbranch_vccnz .LBB17_397
; %bb.396:
	s_wait_xcnt 0x0
	v_cvt_i32_f32_e32 v1, v0
	global_store_b32 v[2:3], v1, off
.LBB17_397:
	s_mov_b32 s18, 0
.LBB17_398:
	s_delay_alu instid0(SALU_CYCLE_1)
	s_and_not1_b32 vcc_lo, exec_lo, s18
	s_cbranch_vccnz .LBB17_400
; %bb.399:
	s_wait_xcnt 0x0
	v_cvt_i32_f32_e32 v1, v0
	global_store_b16 v[2:3], v1, off
.LBB17_400:
	s_mov_b32 s18, 0
.LBB17_401:
	s_delay_alu instid0(SALU_CYCLE_1)
	s_and_not1_b32 vcc_lo, exec_lo, s18
	s_cbranch_vccnz .LBB17_406
; %bb.402:
	s_cmp_gt_i32 s16, 0
	s_mov_b32 s16, -1
	s_cbranch_scc0 .LBB17_404
; %bb.403:
	s_wait_xcnt 0x0
	v_cvt_i32_f32_e32 v1, v0
	s_mov_b32 s16, 0
	global_store_b8 v[2:3], v1, off
.LBB17_404:
	s_and_not1_b32 vcc_lo, exec_lo, s16
	s_cbranch_vccnz .LBB17_406
; %bb.405:
	s_wait_xcnt 0x0
	v_trunc_f32_e32 v0, v0
	s_delay_alu instid0(VALU_DEP_1) | instskip(NEXT) | instid1(VALU_DEP_1)
	v_mul_f32_e64 v1, 0x2f800000, |v0|
	v_floor_f32_e32 v1, v1
	s_delay_alu instid0(VALU_DEP_1) | instskip(SKIP_1) | instid1(VALU_DEP_2)
	v_fma_f32 v1, 0xcf800000, v1, |v0|
	v_ashrrev_i32_e32 v0, 31, v0
	v_cvt_u32_f32_e32 v1, v1
	s_delay_alu instid0(VALU_DEP_1) | instskip(NEXT) | instid1(VALU_DEP_1)
	v_xor_b32_e32 v1, v1, v0
	v_sub_nc_u32_e32 v0, v1, v0
	global_store_b8 v[2:3], v0, off
.LBB17_406:
	s_mov_b32 s19, -1
.LBB17_407:
	s_delay_alu instid0(SALU_CYCLE_1)
	s_and_not1_b32 vcc_lo, exec_lo, s19
	s_cbranch_vccnz .LBB17_409
; %bb.408:
	v_add_nc_u32_e32 v8, 0x80, v8
	s_mov_b32 s18, -1
	s_branch .LBB17_522
.LBB17_409:
	s_mov_b32 s18, 0
	s_branch .LBB17_521
.LBB17_410:
	s_mov_b32 s15, -1
                                        ; implicit-def: $vgpr2
.LBB17_411:
	s_mov_b32 s18, 0
.LBB17_412:
	s_delay_alu instid0(SALU_CYCLE_1)
	s_and_b32 vcc_lo, exec_lo, s18
	s_cbranch_vccz .LBB17_416
; %bb.413:
	s_cmp_eq_u32 s0, 29
	s_cbranch_scc0 .LBB17_415
; %bb.414:
	s_wait_loadcnt 0x0
	global_load_b64 v[2:3], v[0:1], off
	s_mov_b32 s16, -1
	s_mov_b32 s15, 0
	s_mov_b32 s18, 0
	s_wait_loadcnt 0x0
	v_clz_i32_u32_e32 v4, v3
	s_delay_alu instid0(VALU_DEP_1) | instskip(NEXT) | instid1(VALU_DEP_1)
	v_min_u32_e32 v4, 32, v4
	v_lshlrev_b64_e32 v[2:3], v4, v[2:3]
	s_delay_alu instid0(VALU_DEP_1) | instskip(NEXT) | instid1(VALU_DEP_1)
	v_min_u32_e32 v2, 1, v2
	v_dual_sub_nc_u32 v3, 32, v4 :: v_dual_bitop2_b32 v2, v3, v2 bitop3:0x54
	s_delay_alu instid0(VALU_DEP_1) | instskip(NEXT) | instid1(VALU_DEP_1)
	v_cvt_f32_u32_e32 v2, v2
	v_ldexp_f32 v2, v2, v3
	s_branch .LBB17_417
.LBB17_415:
	s_mov_b32 s15, -1
                                        ; implicit-def: $vgpr2
.LBB17_416:
	s_mov_b32 s18, 0
.LBB17_417:
	s_delay_alu instid0(SALU_CYCLE_1)
	s_and_b32 vcc_lo, exec_lo, s18
	s_cbranch_vccz .LBB17_435
; %bb.418:
	s_cmp_lt_i32 s0, 27
	s_cbranch_scc1 .LBB17_421
; %bb.419:
	s_cmp_gt_i32 s0, 27
	s_cbranch_scc0 .LBB17_422
; %bb.420:
	s_wait_loadcnt 0x0
	global_load_b32 v2, v[0:1], off
	s_mov_b32 s16, 0
	s_wait_loadcnt 0x0
	v_cvt_f32_u32_e32 v2, v2
	s_branch .LBB17_423
.LBB17_421:
	s_mov_b32 s16, -1
                                        ; implicit-def: $vgpr2
	s_branch .LBB17_426
.LBB17_422:
	s_mov_b32 s16, -1
                                        ; implicit-def: $vgpr2
.LBB17_423:
	s_delay_alu instid0(SALU_CYCLE_1)
	s_and_not1_b32 vcc_lo, exec_lo, s16
	s_cbranch_vccnz .LBB17_425
; %bb.424:
	s_wait_loadcnt 0x0
	global_load_u16 v2, v[0:1], off
	s_wait_loadcnt 0x0
	v_cvt_f32_u32_e32 v2, v2
.LBB17_425:
	s_mov_b32 s16, 0
.LBB17_426:
	s_delay_alu instid0(SALU_CYCLE_1)
	s_and_not1_b32 vcc_lo, exec_lo, s16
	s_cbranch_vccnz .LBB17_434
; %bb.427:
	global_load_u8 v3, v[0:1], off
	s_mov_b32 s16, 0
	s_mov_b32 s18, exec_lo
	s_wait_loadcnt 0x0
	v_cmpx_lt_i16_e32 0x7f, v3
	s_xor_b32 s18, exec_lo, s18
	s_cbranch_execz .LBB17_448
; %bb.428:
	s_mov_b32 s16, -1
	s_mov_b32 s19, exec_lo
	v_cmpx_eq_u16_e32 0x80, v3
; %bb.429:
	s_xor_b32 s16, exec_lo, -1
; %bb.430:
	s_or_b32 exec_lo, exec_lo, s19
	s_delay_alu instid0(SALU_CYCLE_1)
	s_and_b32 s16, s16, exec_lo
	s_or_saveexec_b32 s18, s18
	v_mov_b32_e32 v2, 0x7f800001
	s_xor_b32 exec_lo, exec_lo, s18
	s_cbranch_execnz .LBB17_449
.LBB17_431:
	s_or_b32 exec_lo, exec_lo, s18
	s_and_saveexec_b32 s18, s16
	s_cbranch_execz .LBB17_433
.LBB17_432:
	v_and_b32_e32 v2, 0xffff, v3
	s_delay_alu instid0(VALU_DEP_1) | instskip(SKIP_1) | instid1(VALU_DEP_2)
	v_and_b32_e32 v4, 7, v2
	v_bfe_u32 v7, v2, 3, 4
	v_clz_i32_u32_e32 v5, v4
	s_delay_alu instid0(VALU_DEP_2) | instskip(NEXT) | instid1(VALU_DEP_2)
	v_cmp_eq_u32_e32 vcc_lo, 0, v7
	v_min_u32_e32 v5, 32, v5
	s_delay_alu instid0(VALU_DEP_1) | instskip(NEXT) | instid1(VALU_DEP_1)
	v_subrev_nc_u32_e32 v6, 28, v5
	v_dual_lshlrev_b32 v2, v6, v2 :: v_dual_sub_nc_u32 v5, 29, v5
	s_delay_alu instid0(VALU_DEP_1) | instskip(NEXT) | instid1(VALU_DEP_1)
	v_dual_lshlrev_b32 v3, 24, v3 :: v_dual_bitop2_b32 v2, 7, v2 bitop3:0x40
	v_dual_cndmask_b32 v5, v7, v5 :: v_dual_cndmask_b32 v2, v4, v2
	s_delay_alu instid0(VALU_DEP_2) | instskip(NEXT) | instid1(VALU_DEP_2)
	v_and_b32_e32 v3, 0x80000000, v3
	v_lshl_add_u32 v4, v5, 23, 0x3b800000
	s_delay_alu instid0(VALU_DEP_3) | instskip(NEXT) | instid1(VALU_DEP_1)
	v_lshlrev_b32_e32 v2, 20, v2
	v_or3_b32 v2, v3, v4, v2
.LBB17_433:
	s_or_b32 exec_lo, exec_lo, s18
.LBB17_434:
	s_mov_b32 s16, -1
.LBB17_435:
	s_mov_b32 s18, 0
.LBB17_436:
	s_delay_alu instid0(SALU_CYCLE_1)
	s_and_b32 vcc_lo, exec_lo, s18
	s_cbranch_vccz .LBB17_471
; %bb.437:
	s_cmp_gt_i32 s0, 22
	s_cbranch_scc0 .LBB17_447
; %bb.438:
	s_cmp_lt_i32 s0, 24
	s_cbranch_scc1 .LBB17_450
; %bb.439:
	s_cmp_gt_i32 s0, 24
	s_cbranch_scc0 .LBB17_451
; %bb.440:
	global_load_u8 v3, v[0:1], off
	s_mov_b32 s16, 0
	s_mov_b32 s18, exec_lo
	s_wait_loadcnt 0x0
	v_cmpx_lt_i16_e32 0x7f, v3
	s_xor_b32 s18, exec_lo, s18
	s_cbranch_execz .LBB17_463
; %bb.441:
	s_mov_b32 s16, -1
	s_mov_b32 s19, exec_lo
	v_cmpx_eq_u16_e32 0x80, v3
; %bb.442:
	s_xor_b32 s16, exec_lo, -1
; %bb.443:
	s_or_b32 exec_lo, exec_lo, s19
	s_delay_alu instid0(SALU_CYCLE_1)
	s_and_b32 s16, s16, exec_lo
	s_or_saveexec_b32 s18, s18
	v_mov_b32_e32 v2, 0x7f800001
	s_xor_b32 exec_lo, exec_lo, s18
	s_cbranch_execnz .LBB17_464
.LBB17_444:
	s_or_b32 exec_lo, exec_lo, s18
	s_and_saveexec_b32 s18, s16
	s_cbranch_execz .LBB17_446
.LBB17_445:
	v_and_b32_e32 v2, 0xffff, v3
	s_delay_alu instid0(VALU_DEP_1) | instskip(SKIP_1) | instid1(VALU_DEP_2)
	v_and_b32_e32 v4, 3, v2
	v_bfe_u32 v7, v2, 2, 5
	v_clz_i32_u32_e32 v5, v4
	s_delay_alu instid0(VALU_DEP_2) | instskip(NEXT) | instid1(VALU_DEP_2)
	v_cmp_eq_u32_e32 vcc_lo, 0, v7
	v_min_u32_e32 v5, 32, v5
	s_delay_alu instid0(VALU_DEP_1) | instskip(NEXT) | instid1(VALU_DEP_1)
	v_subrev_nc_u32_e32 v6, 29, v5
	v_dual_lshlrev_b32 v2, v6, v2 :: v_dual_sub_nc_u32 v5, 30, v5
	s_delay_alu instid0(VALU_DEP_1) | instskip(NEXT) | instid1(VALU_DEP_1)
	v_dual_lshlrev_b32 v3, 24, v3 :: v_dual_bitop2_b32 v2, 3, v2 bitop3:0x40
	v_dual_cndmask_b32 v5, v7, v5 :: v_dual_cndmask_b32 v2, v4, v2
	s_delay_alu instid0(VALU_DEP_2) | instskip(NEXT) | instid1(VALU_DEP_2)
	v_and_b32_e32 v3, 0x80000000, v3
	v_lshl_add_u32 v4, v5, 23, 0x37800000
	s_delay_alu instid0(VALU_DEP_3) | instskip(NEXT) | instid1(VALU_DEP_1)
	v_lshlrev_b32_e32 v2, 21, v2
	v_or3_b32 v2, v3, v4, v2
.LBB17_446:
	s_or_b32 exec_lo, exec_lo, s18
	s_mov_b32 s16, 0
	s_branch .LBB17_452
.LBB17_447:
	s_mov_b32 s18, -1
                                        ; implicit-def: $vgpr2
	s_branch .LBB17_458
.LBB17_448:
	s_or_saveexec_b32 s18, s18
	v_mov_b32_e32 v2, 0x7f800001
	s_xor_b32 exec_lo, exec_lo, s18
	s_cbranch_execz .LBB17_431
.LBB17_449:
	v_cmp_ne_u16_e32 vcc_lo, 0, v3
	v_mov_b32_e32 v2, 0
	s_and_not1_b32 s16, s16, exec_lo
	s_and_b32 s19, vcc_lo, exec_lo
	s_delay_alu instid0(SALU_CYCLE_1)
	s_or_b32 s16, s16, s19
	s_or_b32 exec_lo, exec_lo, s18
	s_and_saveexec_b32 s18, s16
	s_cbranch_execnz .LBB17_432
	s_branch .LBB17_433
.LBB17_450:
	s_mov_b32 s16, -1
                                        ; implicit-def: $vgpr2
	s_branch .LBB17_455
.LBB17_451:
	s_mov_b32 s16, -1
                                        ; implicit-def: $vgpr2
.LBB17_452:
	s_delay_alu instid0(SALU_CYCLE_1)
	s_and_b32 vcc_lo, exec_lo, s16
	s_cbranch_vccz .LBB17_454
; %bb.453:
	s_wait_loadcnt 0x0
	global_load_u8 v2, v[0:1], off
	s_wait_loadcnt 0x0
	v_lshlrev_b32_e32 v2, 24, v2
	s_delay_alu instid0(VALU_DEP_1) | instskip(NEXT) | instid1(VALU_DEP_1)
	v_and_b32_e32 v3, 0x7f000000, v2
	v_clz_i32_u32_e32 v4, v3
	v_cmp_ne_u32_e32 vcc_lo, 0, v3
	v_add_nc_u32_e32 v6, 0x1000000, v3
	s_delay_alu instid0(VALU_DEP_3) | instskip(NEXT) | instid1(VALU_DEP_1)
	v_min_u32_e32 v4, 32, v4
	v_sub_nc_u32_e64 v4, v4, 4 clamp
	s_delay_alu instid0(VALU_DEP_1) | instskip(NEXT) | instid1(VALU_DEP_1)
	v_dual_lshlrev_b32 v5, v4, v3 :: v_dual_lshlrev_b32 v4, 23, v4
	v_lshrrev_b32_e32 v5, 4, v5
	s_delay_alu instid0(VALU_DEP_1) | instskip(NEXT) | instid1(VALU_DEP_1)
	v_dual_sub_nc_u32 v4, v5, v4 :: v_dual_ashrrev_i32 v5, 8, v6
	v_add_nc_u32_e32 v4, 0x3c000000, v4
	s_delay_alu instid0(VALU_DEP_1) | instskip(NEXT) | instid1(VALU_DEP_1)
	v_and_or_b32 v4, 0x7f800000, v5, v4
	v_cndmask_b32_e32 v3, 0, v4, vcc_lo
	s_delay_alu instid0(VALU_DEP_1)
	v_and_or_b32 v2, 0x80000000, v2, v3
.LBB17_454:
	s_mov_b32 s16, 0
.LBB17_455:
	s_delay_alu instid0(SALU_CYCLE_1)
	s_and_not1_b32 vcc_lo, exec_lo, s16
	s_cbranch_vccnz .LBB17_457
; %bb.456:
	s_wait_loadcnt 0x0
	global_load_u8 v2, v[0:1], off
	s_wait_loadcnt 0x0
	v_lshlrev_b32_e32 v3, 25, v2
	v_lshlrev_b16 v2, 8, v2
	s_delay_alu instid0(VALU_DEP_1) | instskip(SKIP_1) | instid1(VALU_DEP_2)
	v_and_or_b32 v5, 0x7f00, v2, 0.5
	v_bfe_i32 v2, v2, 0, 16
	v_dual_add_f32 v5, -0.5, v5 :: v_dual_lshrrev_b32 v4, 4, v3
	v_cmp_gt_u32_e32 vcc_lo, 0x8000000, v3
	s_delay_alu instid0(VALU_DEP_2) | instskip(NEXT) | instid1(VALU_DEP_1)
	v_or_b32_e32 v4, 0x70000000, v4
	v_mul_f32_e32 v4, 0x7800000, v4
	s_delay_alu instid0(VALU_DEP_1) | instskip(NEXT) | instid1(VALU_DEP_1)
	v_cndmask_b32_e32 v3, v4, v5, vcc_lo
	v_and_or_b32 v2, 0x80000000, v2, v3
.LBB17_457:
	s_mov_b32 s18, 0
	s_mov_b32 s16, -1
.LBB17_458:
	s_and_not1_b32 vcc_lo, exec_lo, s18
	s_cbranch_vccnz .LBB17_471
; %bb.459:
	s_cmp_gt_i32 s0, 14
	s_cbranch_scc0 .LBB17_462
; %bb.460:
	s_cmp_eq_u32 s0, 15
	s_cbranch_scc0 .LBB17_465
; %bb.461:
	s_wait_loadcnt 0x0
	global_load_u16 v2, v[0:1], off
	s_mov_b32 s16, -1
	s_mov_b32 s15, 0
	s_wait_loadcnt 0x0
	v_lshlrev_b32_e32 v2, 16, v2
	s_branch .LBB17_466
.LBB17_462:
	s_mov_b32 s18, -1
                                        ; implicit-def: $vgpr2
	s_branch .LBB17_467
.LBB17_463:
	s_or_saveexec_b32 s18, s18
	v_mov_b32_e32 v2, 0x7f800001
	s_xor_b32 exec_lo, exec_lo, s18
	s_cbranch_execz .LBB17_444
.LBB17_464:
	v_cmp_ne_u16_e32 vcc_lo, 0, v3
	v_mov_b32_e32 v2, 0
	s_and_not1_b32 s16, s16, exec_lo
	s_and_b32 s19, vcc_lo, exec_lo
	s_delay_alu instid0(SALU_CYCLE_1)
	s_or_b32 s16, s16, s19
	s_or_b32 exec_lo, exec_lo, s18
	s_and_saveexec_b32 s18, s16
	s_cbranch_execnz .LBB17_445
	s_branch .LBB17_446
.LBB17_465:
	s_mov_b32 s15, -1
                                        ; implicit-def: $vgpr2
.LBB17_466:
	s_mov_b32 s18, 0
.LBB17_467:
	s_delay_alu instid0(SALU_CYCLE_1)
	s_and_b32 vcc_lo, exec_lo, s18
	s_cbranch_vccz .LBB17_471
; %bb.468:
	s_cmp_eq_u32 s0, 11
	s_cbranch_scc0 .LBB17_470
; %bb.469:
	s_wait_loadcnt 0x0
	global_load_u8 v2, v[0:1], off
	s_mov_b32 s15, 0
	s_mov_b32 s16, -1
	s_wait_loadcnt 0x0
	v_cmp_ne_u16_e32 vcc_lo, 0, v2
	v_cndmask_b32_e64 v2, 0, 1.0, vcc_lo
	s_branch .LBB17_471
.LBB17_470:
	s_mov_b32 s15, -1
                                        ; implicit-def: $vgpr2
.LBB17_471:
	s_branch .LBB17_269
.LBB17_472:
	s_cmp_lt_i32 s0, 5
	s_cbranch_scc1 .LBB17_477
; %bb.473:
	s_cmp_lt_i32 s0, 8
	s_cbranch_scc1 .LBB17_478
; %bb.474:
	;; [unrolled: 3-line block ×3, first 2 shown]
	s_cmp_gt_i32 s0, 9
	s_cbranch_scc0 .LBB17_480
; %bb.476:
	s_wait_loadcnt 0x0
	global_load_b64 v[2:3], v[0:1], off
	s_mov_b32 s16, 0
	s_wait_loadcnt 0x0
	v_cvt_f32_f64_e32 v2, v[2:3]
	s_branch .LBB17_481
.LBB17_477:
	s_mov_b32 s16, -1
                                        ; implicit-def: $vgpr2
	s_branch .LBB17_499
.LBB17_478:
	s_mov_b32 s16, -1
                                        ; implicit-def: $vgpr2
	s_branch .LBB17_487
.LBB17_479:
	s_mov_b32 s16, -1
                                        ; implicit-def: $vgpr2
	s_branch .LBB17_484
.LBB17_480:
	s_mov_b32 s16, -1
                                        ; implicit-def: $vgpr2
.LBB17_481:
	s_delay_alu instid0(SALU_CYCLE_1)
	s_and_not1_b32 vcc_lo, exec_lo, s16
	s_cbranch_vccnz .LBB17_483
; %bb.482:
	s_wait_loadcnt 0x0
	global_load_b32 v2, v[0:1], off
.LBB17_483:
	s_mov_b32 s16, 0
.LBB17_484:
	s_delay_alu instid0(SALU_CYCLE_1)
	s_and_not1_b32 vcc_lo, exec_lo, s16
	s_cbranch_vccnz .LBB17_486
; %bb.485:
	s_wait_loadcnt 0x0
	global_load_b32 v2, v[0:1], off
	s_wait_loadcnt 0x0
	v_cvt_f32_f16_e32 v2, v2
.LBB17_486:
	s_mov_b32 s16, 0
.LBB17_487:
	s_delay_alu instid0(SALU_CYCLE_1)
	s_and_not1_b32 vcc_lo, exec_lo, s16
	s_cbranch_vccnz .LBB17_498
; %bb.488:
	s_cmp_lt_i32 s0, 6
	s_cbranch_scc1 .LBB17_491
; %bb.489:
	s_cmp_gt_i32 s0, 6
	s_cbranch_scc0 .LBB17_492
; %bb.490:
	s_wait_loadcnt 0x0
	global_load_b64 v[2:3], v[0:1], off
	s_mov_b32 s16, 0
	s_wait_loadcnt 0x0
	v_cvt_f32_f64_e32 v2, v[2:3]
	s_branch .LBB17_493
.LBB17_491:
	s_mov_b32 s16, -1
                                        ; implicit-def: $vgpr2
	s_branch .LBB17_496
.LBB17_492:
	s_mov_b32 s16, -1
                                        ; implicit-def: $vgpr2
.LBB17_493:
	s_delay_alu instid0(SALU_CYCLE_1)
	s_and_not1_b32 vcc_lo, exec_lo, s16
	s_cbranch_vccnz .LBB17_495
; %bb.494:
	s_wait_loadcnt 0x0
	global_load_b32 v2, v[0:1], off
.LBB17_495:
	s_mov_b32 s16, 0
.LBB17_496:
	s_delay_alu instid0(SALU_CYCLE_1)
	s_and_not1_b32 vcc_lo, exec_lo, s16
	s_cbranch_vccnz .LBB17_498
; %bb.497:
	s_wait_loadcnt 0x0
	global_load_u16 v2, v[0:1], off
	s_wait_loadcnt 0x0
	v_cvt_f32_f16_e32 v2, v2
.LBB17_498:
	s_mov_b32 s16, 0
.LBB17_499:
	s_delay_alu instid0(SALU_CYCLE_1)
	s_and_not1_b32 vcc_lo, exec_lo, s16
	s_cbranch_vccnz .LBB17_519
; %bb.500:
	s_cmp_lt_i32 s0, 2
	s_cbranch_scc1 .LBB17_504
; %bb.501:
	s_cmp_lt_i32 s0, 3
	s_cbranch_scc1 .LBB17_505
; %bb.502:
	s_cmp_gt_i32 s0, 3
	s_cbranch_scc0 .LBB17_506
; %bb.503:
	s_wait_loadcnt 0x0
	global_load_b64 v[2:3], v[0:1], off
	s_mov_b32 s16, 0
	s_wait_loadcnt 0x0
	v_xor_b32_e32 v4, v2, v3
	v_cls_i32_e32 v5, v3
	s_delay_alu instid0(VALU_DEP_2) | instskip(NEXT) | instid1(VALU_DEP_1)
	v_ashrrev_i32_e32 v4, 31, v4
	v_add_nc_u32_e32 v4, 32, v4
	s_delay_alu instid0(VALU_DEP_1) | instskip(NEXT) | instid1(VALU_DEP_1)
	v_add_min_u32_e64 v4, v5, -1, v4
	v_lshlrev_b64_e32 v[2:3], v4, v[2:3]
	s_delay_alu instid0(VALU_DEP_1) | instskip(NEXT) | instid1(VALU_DEP_1)
	v_min_u32_e32 v2, 1, v2
	v_dual_sub_nc_u32 v3, 32, v4 :: v_dual_bitop2_b32 v2, v3, v2 bitop3:0x54
	s_delay_alu instid0(VALU_DEP_1) | instskip(NEXT) | instid1(VALU_DEP_1)
	v_cvt_f32_i32_e32 v2, v2
	v_ldexp_f32 v2, v2, v3
	s_branch .LBB17_507
.LBB17_504:
	s_mov_b32 s16, -1
                                        ; implicit-def: $vgpr2
	s_branch .LBB17_513
.LBB17_505:
	s_mov_b32 s16, -1
                                        ; implicit-def: $vgpr2
	s_branch .LBB17_510
.LBB17_506:
	s_mov_b32 s16, -1
                                        ; implicit-def: $vgpr2
.LBB17_507:
	s_delay_alu instid0(SALU_CYCLE_1)
	s_and_not1_b32 vcc_lo, exec_lo, s16
	s_cbranch_vccnz .LBB17_509
; %bb.508:
	s_wait_loadcnt 0x0
	global_load_b32 v2, v[0:1], off
	s_wait_loadcnt 0x0
	v_cvt_f32_i32_e32 v2, v2
.LBB17_509:
	s_mov_b32 s16, 0
.LBB17_510:
	s_delay_alu instid0(SALU_CYCLE_1)
	s_and_not1_b32 vcc_lo, exec_lo, s16
	s_cbranch_vccnz .LBB17_512
; %bb.511:
	s_wait_loadcnt 0x0
	global_load_i16 v2, v[0:1], off
	s_wait_loadcnt 0x0
	v_cvt_f32_i32_e32 v2, v2
.LBB17_512:
	s_mov_b32 s16, 0
.LBB17_513:
	s_delay_alu instid0(SALU_CYCLE_1)
	s_and_not1_b32 vcc_lo, exec_lo, s16
	s_cbranch_vccnz .LBB17_519
; %bb.514:
	s_cmp_gt_i32 s0, 0
	s_mov_b32 s0, 0
	s_cbranch_scc0 .LBB17_516
; %bb.515:
	s_wait_loadcnt 0x0
	global_load_i8 v2, v[0:1], off
	s_wait_loadcnt 0x0
	v_cvt_f32_i32_e32 v2, v2
	s_branch .LBB17_517
.LBB17_516:
	s_mov_b32 s0, -1
                                        ; implicit-def: $vgpr2
.LBB17_517:
	s_delay_alu instid0(SALU_CYCLE_1)
	s_and_not1_b32 vcc_lo, exec_lo, s0
	s_cbranch_vccnz .LBB17_519
; %bb.518:
	global_load_u8 v0, v[0:1], off
	s_wait_loadcnt 0x0
	v_cvt_f32_ubyte0_e32 v2, v0
.LBB17_519:
	s_branch .LBB17_270
.LBB17_520:
	s_mov_b32 s18, 0
	s_mov_b32 s0, s11
.LBB17_521:
                                        ; implicit-def: $vgpr8
.LBB17_522:
	s_and_not1_b32 s16, s11, exec_lo
	s_and_b32 s0, s0, exec_lo
	s_and_not1_b32 s19, s13, exec_lo
	s_and_b32 s15, s15, exec_lo
	s_or_b32 s16, s16, s0
	s_or_b32 s15, s19, s15
	s_or_not1_b32 s0, s18, exec_lo
.LBB17_523:
	s_wait_xcnt 0x0
	s_or_b32 exec_lo, exec_lo, s17
	s_mov_b32 s18, 0
	s_mov_b32 s19, 0
	;; [unrolled: 1-line block ×3, first 2 shown]
                                        ; implicit-def: $vgpr0_vgpr1
                                        ; implicit-def: $vgpr4
	s_and_saveexec_b32 s17, s0
	s_cbranch_execz .LBB17_874
; %bb.524:
	s_mov_b32 s20, -1
	s_mov_b32 s0, s15
	s_mov_b32 s19, s16
	s_mov_b32 s18, exec_lo
	v_cmpx_gt_i32_e64 s12, v8
	s_cbranch_execz .LBB17_788
; %bb.525:
	v_mul_lo_u32 v0, v8, s3
	s_and_b32 s0, 0xffff, s9
	s_delay_alu instid0(SALU_CYCLE_1) | instskip(NEXT) | instid1(VALU_DEP_1)
	s_cmp_lt_i32 s0, 11
	v_ashrrev_i32_e32 v1, 31, v0
	s_delay_alu instid0(VALU_DEP_1)
	v_add_nc_u64_e32 v[0:1], s[6:7], v[0:1]
	s_cbranch_scc1 .LBB17_532
; %bb.526:
	s_cmp_gt_i32 s0, 25
	s_cbranch_scc0 .LBB17_533
; %bb.527:
	s_cmp_gt_i32 s0, 28
	s_cbranch_scc0 .LBB17_534
	;; [unrolled: 3-line block ×4, first 2 shown]
; %bb.530:
	s_cmp_eq_u32 s0, 46
	s_mov_b32 s21, 0
	s_cbranch_scc0 .LBB17_541
; %bb.531:
	s_wait_loadcnt 0x0
	global_load_b32 v2, v[0:1], off
	s_mov_b32 s19, 0
	s_wait_loadcnt 0x0
	v_lshlrev_b32_e32 v2, 16, v2
	s_branch .LBB17_543
.LBB17_532:
	s_mov_b32 s21, -1
	s_mov_b32 s20, 0
	s_mov_b32 s19, s15
                                        ; implicit-def: $vgpr2
	s_branch .LBB17_608
.LBB17_533:
	s_mov_b32 s21, -1
	s_mov_b32 s20, 0
	s_mov_b32 s19, s15
                                        ; implicit-def: $vgpr2
	s_branch .LBB17_572
.LBB17_534:
	s_mov_b32 s21, -1
	s_mov_b32 s20, 0
	s_mov_b32 s19, s15
                                        ; implicit-def: $vgpr2
	s_branch .LBB17_553
.LBB17_535:
	s_mov_b32 s21, -1
	s_mov_b32 s20, 0
	s_mov_b32 s19, s15
                                        ; implicit-def: $vgpr2
	s_branch .LBB17_548
.LBB17_536:
	s_and_not1_saveexec_b32 s21, s21
	s_cbranch_execz .LBB17_320
.LBB17_537:
	v_add_f32_e64 v1, 0x46000000, |v0|
	s_and_not1_b32 s20, s20, exec_lo
	s_delay_alu instid0(VALU_DEP_1) | instskip(NEXT) | instid1(VALU_DEP_1)
	v_and_b32_e32 v1, 0xff, v1
	v_cmp_ne_u32_e32 vcc_lo, 0, v1
	s_and_b32 s22, vcc_lo, exec_lo
	s_delay_alu instid0(SALU_CYCLE_1)
	s_or_b32 s20, s20, s22
	s_or_b32 exec_lo, exec_lo, s21
	v_mov_b32_e32 v4, 0
	s_and_saveexec_b32 s21, s20
	s_cbranch_execnz .LBB17_321
	s_branch .LBB17_322
.LBB17_538:
	s_mov_b32 s21, -1
	s_mov_b32 s20, 0
	s_mov_b32 s19, s15
	s_branch .LBB17_542
.LBB17_539:
	s_and_not1_saveexec_b32 s21, s21
	s_cbranch_execz .LBB17_333
.LBB17_540:
	v_add_f32_e64 v1, 0x42800000, |v0|
	s_and_not1_b32 s20, s20, exec_lo
	s_delay_alu instid0(VALU_DEP_1) | instskip(NEXT) | instid1(VALU_DEP_1)
	v_and_b32_e32 v1, 0xff, v1
	v_cmp_ne_u32_e32 vcc_lo, 0, v1
	s_and_b32 s22, vcc_lo, exec_lo
	s_delay_alu instid0(SALU_CYCLE_1)
	s_or_b32 s20, s20, s22
	s_or_b32 exec_lo, exec_lo, s21
	v_mov_b32_e32 v4, 0
	s_and_saveexec_b32 s21, s20
	s_cbranch_execnz .LBB17_334
	s_branch .LBB17_335
.LBB17_541:
	s_mov_b32 s19, -1
	s_mov_b32 s20, 0
.LBB17_542:
                                        ; implicit-def: $vgpr2
.LBB17_543:
	s_and_b32 vcc_lo, exec_lo, s21
	s_cbranch_vccz .LBB17_547
; %bb.544:
	s_cmp_eq_u32 s0, 44
	s_cbranch_scc0 .LBB17_546
; %bb.545:
	s_wait_loadcnt 0x0
	global_load_u8 v2, v[0:1], off
	s_mov_b32 s19, 0
	s_mov_b32 s20, -1
	s_wait_loadcnt 0x0
	v_lshlrev_b32_e32 v3, 23, v2
	v_cmp_ne_u32_e32 vcc_lo, 0xff, v2
	s_delay_alu instid0(VALU_DEP_2) | instskip(SKIP_1) | instid1(VALU_DEP_2)
	v_cndmask_b32_e32 v3, 0x7f800001, v3, vcc_lo
	v_cmp_ne_u32_e32 vcc_lo, 0, v2
	v_cndmask_b32_e32 v2, 0x400000, v3, vcc_lo
	s_branch .LBB17_547
.LBB17_546:
	s_mov_b32 s19, -1
                                        ; implicit-def: $vgpr2
.LBB17_547:
	s_mov_b32 s21, 0
.LBB17_548:
	s_delay_alu instid0(SALU_CYCLE_1)
	s_and_b32 vcc_lo, exec_lo, s21
	s_cbranch_vccz .LBB17_552
; %bb.549:
	s_cmp_eq_u32 s0, 29
	s_cbranch_scc0 .LBB17_551
; %bb.550:
	s_wait_loadcnt 0x0
	global_load_b64 v[2:3], v[0:1], off
	s_mov_b32 s20, -1
	s_mov_b32 s19, 0
	s_mov_b32 s21, 0
	s_wait_loadcnt 0x0
	v_clz_i32_u32_e32 v4, v3
	s_delay_alu instid0(VALU_DEP_1) | instskip(NEXT) | instid1(VALU_DEP_1)
	v_min_u32_e32 v4, 32, v4
	v_lshlrev_b64_e32 v[2:3], v4, v[2:3]
	s_delay_alu instid0(VALU_DEP_1) | instskip(NEXT) | instid1(VALU_DEP_1)
	v_min_u32_e32 v2, 1, v2
	v_dual_sub_nc_u32 v3, 32, v4 :: v_dual_bitop2_b32 v2, v3, v2 bitop3:0x54
	s_delay_alu instid0(VALU_DEP_1) | instskip(NEXT) | instid1(VALU_DEP_1)
	v_cvt_f32_u32_e32 v2, v2
	v_ldexp_f32 v2, v2, v3
	s_branch .LBB17_553
.LBB17_551:
	s_mov_b32 s19, -1
                                        ; implicit-def: $vgpr2
.LBB17_552:
	s_mov_b32 s21, 0
.LBB17_553:
	s_delay_alu instid0(SALU_CYCLE_1)
	s_and_b32 vcc_lo, exec_lo, s21
	s_cbranch_vccz .LBB17_571
; %bb.554:
	s_cmp_lt_i32 s0, 27
	s_cbranch_scc1 .LBB17_557
; %bb.555:
	s_cmp_gt_i32 s0, 27
	s_cbranch_scc0 .LBB17_558
; %bb.556:
	s_wait_loadcnt 0x0
	global_load_b32 v2, v[0:1], off
	s_mov_b32 s20, 0
	s_wait_loadcnt 0x0
	v_cvt_f32_u32_e32 v2, v2
	s_branch .LBB17_559
.LBB17_557:
	s_mov_b32 s20, -1
                                        ; implicit-def: $vgpr2
	s_branch .LBB17_562
.LBB17_558:
	s_mov_b32 s20, -1
                                        ; implicit-def: $vgpr2
.LBB17_559:
	s_delay_alu instid0(SALU_CYCLE_1)
	s_and_not1_b32 vcc_lo, exec_lo, s20
	s_cbranch_vccnz .LBB17_561
; %bb.560:
	s_wait_loadcnt 0x0
	global_load_u16 v2, v[0:1], off
	s_wait_loadcnt 0x0
	v_cvt_f32_u32_e32 v2, v2
.LBB17_561:
	s_mov_b32 s20, 0
.LBB17_562:
	s_delay_alu instid0(SALU_CYCLE_1)
	s_and_not1_b32 vcc_lo, exec_lo, s20
	s_cbranch_vccnz .LBB17_570
; %bb.563:
	global_load_u8 v3, v[0:1], off
	s_mov_b32 s20, 0
	s_mov_b32 s21, exec_lo
	s_wait_loadcnt 0x0
	v_cmpx_lt_i16_e32 0x7f, v3
	s_xor_b32 s21, exec_lo, s21
	s_cbranch_execz .LBB17_584
; %bb.564:
	s_mov_b32 s20, -1
	s_mov_b32 s22, exec_lo
	v_cmpx_eq_u16_e32 0x80, v3
; %bb.565:
	s_xor_b32 s20, exec_lo, -1
; %bb.566:
	s_or_b32 exec_lo, exec_lo, s22
	s_delay_alu instid0(SALU_CYCLE_1)
	s_and_b32 s20, s20, exec_lo
	s_or_saveexec_b32 s21, s21
	v_mov_b32_e32 v2, 0x7f800001
	s_xor_b32 exec_lo, exec_lo, s21
	s_cbranch_execnz .LBB17_585
.LBB17_567:
	s_or_b32 exec_lo, exec_lo, s21
	s_and_saveexec_b32 s21, s20
	s_cbranch_execz .LBB17_569
.LBB17_568:
	v_and_b32_e32 v2, 0xffff, v3
	s_delay_alu instid0(VALU_DEP_1) | instskip(SKIP_1) | instid1(VALU_DEP_2)
	v_and_b32_e32 v4, 7, v2
	v_bfe_u32 v7, v2, 3, 4
	v_clz_i32_u32_e32 v5, v4
	s_delay_alu instid0(VALU_DEP_2) | instskip(NEXT) | instid1(VALU_DEP_2)
	v_cmp_eq_u32_e32 vcc_lo, 0, v7
	v_min_u32_e32 v5, 32, v5
	s_delay_alu instid0(VALU_DEP_1) | instskip(NEXT) | instid1(VALU_DEP_1)
	v_subrev_nc_u32_e32 v6, 28, v5
	v_dual_lshlrev_b32 v2, v6, v2 :: v_dual_sub_nc_u32 v5, 29, v5
	s_delay_alu instid0(VALU_DEP_1) | instskip(NEXT) | instid1(VALU_DEP_1)
	v_dual_lshlrev_b32 v3, 24, v3 :: v_dual_bitop2_b32 v2, 7, v2 bitop3:0x40
	v_dual_cndmask_b32 v5, v7, v5 :: v_dual_cndmask_b32 v2, v4, v2
	s_delay_alu instid0(VALU_DEP_2) | instskip(NEXT) | instid1(VALU_DEP_2)
	v_and_b32_e32 v3, 0x80000000, v3
	v_lshl_add_u32 v4, v5, 23, 0x3b800000
	s_delay_alu instid0(VALU_DEP_3) | instskip(NEXT) | instid1(VALU_DEP_1)
	v_lshlrev_b32_e32 v2, 20, v2
	v_or3_b32 v2, v3, v4, v2
.LBB17_569:
	s_or_b32 exec_lo, exec_lo, s21
.LBB17_570:
	s_mov_b32 s20, -1
.LBB17_571:
	s_mov_b32 s21, 0
.LBB17_572:
	s_delay_alu instid0(SALU_CYCLE_1)
	s_and_b32 vcc_lo, exec_lo, s21
	s_cbranch_vccz .LBB17_607
; %bb.573:
	s_cmp_gt_i32 s0, 22
	s_cbranch_scc0 .LBB17_583
; %bb.574:
	s_cmp_lt_i32 s0, 24
	s_cbranch_scc1 .LBB17_586
; %bb.575:
	s_cmp_gt_i32 s0, 24
	s_cbranch_scc0 .LBB17_587
; %bb.576:
	global_load_u8 v3, v[0:1], off
	s_mov_b32 s20, 0
	s_mov_b32 s21, exec_lo
	s_wait_loadcnt 0x0
	v_cmpx_lt_i16_e32 0x7f, v3
	s_xor_b32 s21, exec_lo, s21
	s_cbranch_execz .LBB17_599
; %bb.577:
	s_mov_b32 s20, -1
	s_mov_b32 s22, exec_lo
	v_cmpx_eq_u16_e32 0x80, v3
; %bb.578:
	s_xor_b32 s20, exec_lo, -1
; %bb.579:
	s_or_b32 exec_lo, exec_lo, s22
	s_delay_alu instid0(SALU_CYCLE_1)
	s_and_b32 s20, s20, exec_lo
	s_or_saveexec_b32 s21, s21
	v_mov_b32_e32 v2, 0x7f800001
	s_xor_b32 exec_lo, exec_lo, s21
	s_cbranch_execnz .LBB17_600
.LBB17_580:
	s_or_b32 exec_lo, exec_lo, s21
	s_and_saveexec_b32 s21, s20
	s_cbranch_execz .LBB17_582
.LBB17_581:
	v_and_b32_e32 v2, 0xffff, v3
	s_delay_alu instid0(VALU_DEP_1) | instskip(SKIP_1) | instid1(VALU_DEP_2)
	v_and_b32_e32 v4, 3, v2
	v_bfe_u32 v7, v2, 2, 5
	v_clz_i32_u32_e32 v5, v4
	s_delay_alu instid0(VALU_DEP_2) | instskip(NEXT) | instid1(VALU_DEP_2)
	v_cmp_eq_u32_e32 vcc_lo, 0, v7
	v_min_u32_e32 v5, 32, v5
	s_delay_alu instid0(VALU_DEP_1) | instskip(NEXT) | instid1(VALU_DEP_1)
	v_subrev_nc_u32_e32 v6, 29, v5
	v_dual_lshlrev_b32 v2, v6, v2 :: v_dual_sub_nc_u32 v5, 30, v5
	s_delay_alu instid0(VALU_DEP_1) | instskip(NEXT) | instid1(VALU_DEP_1)
	v_dual_lshlrev_b32 v3, 24, v3 :: v_dual_bitop2_b32 v2, 3, v2 bitop3:0x40
	v_dual_cndmask_b32 v5, v7, v5 :: v_dual_cndmask_b32 v2, v4, v2
	s_delay_alu instid0(VALU_DEP_2) | instskip(NEXT) | instid1(VALU_DEP_2)
	v_and_b32_e32 v3, 0x80000000, v3
	v_lshl_add_u32 v4, v5, 23, 0x37800000
	s_delay_alu instid0(VALU_DEP_3) | instskip(NEXT) | instid1(VALU_DEP_1)
	v_lshlrev_b32_e32 v2, 21, v2
	v_or3_b32 v2, v3, v4, v2
.LBB17_582:
	s_or_b32 exec_lo, exec_lo, s21
	s_mov_b32 s20, 0
	s_branch .LBB17_588
.LBB17_583:
	s_mov_b32 s21, -1
                                        ; implicit-def: $vgpr2
	s_branch .LBB17_594
.LBB17_584:
	s_or_saveexec_b32 s21, s21
	v_mov_b32_e32 v2, 0x7f800001
	s_xor_b32 exec_lo, exec_lo, s21
	s_cbranch_execz .LBB17_567
.LBB17_585:
	v_cmp_ne_u16_e32 vcc_lo, 0, v3
	v_mov_b32_e32 v2, 0
	s_and_not1_b32 s20, s20, exec_lo
	s_and_b32 s22, vcc_lo, exec_lo
	s_delay_alu instid0(SALU_CYCLE_1)
	s_or_b32 s20, s20, s22
	s_or_b32 exec_lo, exec_lo, s21
	s_and_saveexec_b32 s21, s20
	s_cbranch_execnz .LBB17_568
	s_branch .LBB17_569
.LBB17_586:
	s_mov_b32 s20, -1
                                        ; implicit-def: $vgpr2
	s_branch .LBB17_591
.LBB17_587:
	s_mov_b32 s20, -1
                                        ; implicit-def: $vgpr2
.LBB17_588:
	s_delay_alu instid0(SALU_CYCLE_1)
	s_and_b32 vcc_lo, exec_lo, s20
	s_cbranch_vccz .LBB17_590
; %bb.589:
	s_wait_loadcnt 0x0
	global_load_u8 v2, v[0:1], off
	s_wait_loadcnt 0x0
	v_lshlrev_b32_e32 v2, 24, v2
	s_delay_alu instid0(VALU_DEP_1) | instskip(NEXT) | instid1(VALU_DEP_1)
	v_and_b32_e32 v3, 0x7f000000, v2
	v_clz_i32_u32_e32 v4, v3
	v_cmp_ne_u32_e32 vcc_lo, 0, v3
	v_add_nc_u32_e32 v6, 0x1000000, v3
	s_delay_alu instid0(VALU_DEP_3) | instskip(NEXT) | instid1(VALU_DEP_1)
	v_min_u32_e32 v4, 32, v4
	v_sub_nc_u32_e64 v4, v4, 4 clamp
	s_delay_alu instid0(VALU_DEP_1) | instskip(NEXT) | instid1(VALU_DEP_1)
	v_dual_lshlrev_b32 v5, v4, v3 :: v_dual_lshlrev_b32 v4, 23, v4
	v_lshrrev_b32_e32 v5, 4, v5
	s_delay_alu instid0(VALU_DEP_1) | instskip(NEXT) | instid1(VALU_DEP_1)
	v_dual_sub_nc_u32 v4, v5, v4 :: v_dual_ashrrev_i32 v5, 8, v6
	v_add_nc_u32_e32 v4, 0x3c000000, v4
	s_delay_alu instid0(VALU_DEP_1) | instskip(NEXT) | instid1(VALU_DEP_1)
	v_and_or_b32 v4, 0x7f800000, v5, v4
	v_cndmask_b32_e32 v3, 0, v4, vcc_lo
	s_delay_alu instid0(VALU_DEP_1)
	v_and_or_b32 v2, 0x80000000, v2, v3
.LBB17_590:
	s_mov_b32 s20, 0
.LBB17_591:
	s_delay_alu instid0(SALU_CYCLE_1)
	s_and_not1_b32 vcc_lo, exec_lo, s20
	s_cbranch_vccnz .LBB17_593
; %bb.592:
	s_wait_loadcnt 0x0
	global_load_u8 v2, v[0:1], off
	s_wait_loadcnt 0x0
	v_lshlrev_b32_e32 v3, 25, v2
	v_lshlrev_b16 v2, 8, v2
	s_delay_alu instid0(VALU_DEP_1) | instskip(SKIP_1) | instid1(VALU_DEP_2)
	v_and_or_b32 v5, 0x7f00, v2, 0.5
	v_bfe_i32 v2, v2, 0, 16
	v_dual_add_f32 v5, -0.5, v5 :: v_dual_lshrrev_b32 v4, 4, v3
	v_cmp_gt_u32_e32 vcc_lo, 0x8000000, v3
	s_delay_alu instid0(VALU_DEP_2) | instskip(NEXT) | instid1(VALU_DEP_1)
	v_or_b32_e32 v4, 0x70000000, v4
	v_mul_f32_e32 v4, 0x7800000, v4
	s_delay_alu instid0(VALU_DEP_1) | instskip(NEXT) | instid1(VALU_DEP_1)
	v_cndmask_b32_e32 v3, v4, v5, vcc_lo
	v_and_or_b32 v2, 0x80000000, v2, v3
.LBB17_593:
	s_mov_b32 s21, 0
	s_mov_b32 s20, -1
.LBB17_594:
	s_and_not1_b32 vcc_lo, exec_lo, s21
	s_cbranch_vccnz .LBB17_607
; %bb.595:
	s_cmp_gt_i32 s0, 14
	s_cbranch_scc0 .LBB17_598
; %bb.596:
	s_cmp_eq_u32 s0, 15
	s_cbranch_scc0 .LBB17_601
; %bb.597:
	s_wait_loadcnt 0x0
	global_load_u16 v2, v[0:1], off
	s_mov_b32 s20, -1
	s_mov_b32 s19, 0
	s_wait_loadcnt 0x0
	v_lshlrev_b32_e32 v2, 16, v2
	s_branch .LBB17_602
.LBB17_598:
	s_mov_b32 s21, -1
                                        ; implicit-def: $vgpr2
	s_branch .LBB17_603
.LBB17_599:
	s_or_saveexec_b32 s21, s21
	v_mov_b32_e32 v2, 0x7f800001
	s_xor_b32 exec_lo, exec_lo, s21
	s_cbranch_execz .LBB17_580
.LBB17_600:
	v_cmp_ne_u16_e32 vcc_lo, 0, v3
	v_mov_b32_e32 v2, 0
	s_and_not1_b32 s20, s20, exec_lo
	s_and_b32 s22, vcc_lo, exec_lo
	s_delay_alu instid0(SALU_CYCLE_1)
	s_or_b32 s20, s20, s22
	s_or_b32 exec_lo, exec_lo, s21
	s_and_saveexec_b32 s21, s20
	s_cbranch_execnz .LBB17_581
	s_branch .LBB17_582
.LBB17_601:
	s_mov_b32 s19, -1
                                        ; implicit-def: $vgpr2
.LBB17_602:
	s_mov_b32 s21, 0
.LBB17_603:
	s_delay_alu instid0(SALU_CYCLE_1)
	s_and_b32 vcc_lo, exec_lo, s21
	s_cbranch_vccz .LBB17_607
; %bb.604:
	s_cmp_eq_u32 s0, 11
	s_cbranch_scc0 .LBB17_606
; %bb.605:
	s_wait_loadcnt 0x0
	global_load_u8 v2, v[0:1], off
	s_mov_b32 s19, 0
	s_mov_b32 s20, -1
	s_wait_loadcnt 0x0
	v_cmp_ne_u16_e32 vcc_lo, 0, v2
	v_cndmask_b32_e64 v2, 0, 1.0, vcc_lo
	s_branch .LBB17_607
.LBB17_606:
	s_mov_b32 s19, -1
                                        ; implicit-def: $vgpr2
.LBB17_607:
	s_mov_b32 s21, 0
.LBB17_608:
	s_delay_alu instid0(SALU_CYCLE_1)
	s_and_b32 vcc_lo, exec_lo, s21
	s_cbranch_vccz .LBB17_657
; %bb.609:
	s_cmp_lt_i32 s0, 5
	s_cbranch_scc1 .LBB17_614
; %bb.610:
	s_cmp_lt_i32 s0, 8
	s_cbranch_scc1 .LBB17_615
	;; [unrolled: 3-line block ×3, first 2 shown]
; %bb.612:
	s_cmp_gt_i32 s0, 9
	s_cbranch_scc0 .LBB17_617
; %bb.613:
	s_wait_loadcnt 0x0
	global_load_b64 v[2:3], v[0:1], off
	s_mov_b32 s20, 0
	s_wait_loadcnt 0x0
	v_cvt_f32_f64_e32 v2, v[2:3]
	s_branch .LBB17_618
.LBB17_614:
	s_mov_b32 s20, -1
                                        ; implicit-def: $vgpr2
	s_branch .LBB17_636
.LBB17_615:
	s_mov_b32 s20, -1
                                        ; implicit-def: $vgpr2
	s_branch .LBB17_624
.LBB17_616:
	s_mov_b32 s20, -1
                                        ; implicit-def: $vgpr2
	s_branch .LBB17_621
.LBB17_617:
	s_mov_b32 s20, -1
                                        ; implicit-def: $vgpr2
.LBB17_618:
	s_delay_alu instid0(SALU_CYCLE_1)
	s_and_not1_b32 vcc_lo, exec_lo, s20
	s_cbranch_vccnz .LBB17_620
; %bb.619:
	s_wait_loadcnt 0x0
	global_load_b32 v2, v[0:1], off
.LBB17_620:
	s_mov_b32 s20, 0
.LBB17_621:
	s_delay_alu instid0(SALU_CYCLE_1)
	s_and_not1_b32 vcc_lo, exec_lo, s20
	s_cbranch_vccnz .LBB17_623
; %bb.622:
	s_wait_loadcnt 0x0
	global_load_b32 v2, v[0:1], off
	s_wait_loadcnt 0x0
	v_cvt_f32_f16_e32 v2, v2
.LBB17_623:
	s_mov_b32 s20, 0
.LBB17_624:
	s_delay_alu instid0(SALU_CYCLE_1)
	s_and_not1_b32 vcc_lo, exec_lo, s20
	s_cbranch_vccnz .LBB17_635
; %bb.625:
	s_cmp_lt_i32 s0, 6
	s_cbranch_scc1 .LBB17_628
; %bb.626:
	s_cmp_gt_i32 s0, 6
	s_cbranch_scc0 .LBB17_629
; %bb.627:
	s_wait_loadcnt 0x0
	global_load_b64 v[2:3], v[0:1], off
	s_mov_b32 s20, 0
	s_wait_loadcnt 0x0
	v_cvt_f32_f64_e32 v2, v[2:3]
	s_branch .LBB17_630
.LBB17_628:
	s_mov_b32 s20, -1
                                        ; implicit-def: $vgpr2
	s_branch .LBB17_633
.LBB17_629:
	s_mov_b32 s20, -1
                                        ; implicit-def: $vgpr2
.LBB17_630:
	s_delay_alu instid0(SALU_CYCLE_1)
	s_and_not1_b32 vcc_lo, exec_lo, s20
	s_cbranch_vccnz .LBB17_632
; %bb.631:
	s_wait_loadcnt 0x0
	global_load_b32 v2, v[0:1], off
.LBB17_632:
	s_mov_b32 s20, 0
.LBB17_633:
	s_delay_alu instid0(SALU_CYCLE_1)
	s_and_not1_b32 vcc_lo, exec_lo, s20
	s_cbranch_vccnz .LBB17_635
; %bb.634:
	s_wait_loadcnt 0x0
	global_load_u16 v2, v[0:1], off
	s_wait_loadcnt 0x0
	v_cvt_f32_f16_e32 v2, v2
.LBB17_635:
	s_mov_b32 s20, 0
.LBB17_636:
	s_delay_alu instid0(SALU_CYCLE_1)
	s_and_not1_b32 vcc_lo, exec_lo, s20
	s_cbranch_vccnz .LBB17_656
; %bb.637:
	s_cmp_lt_i32 s0, 2
	s_cbranch_scc1 .LBB17_641
; %bb.638:
	s_cmp_lt_i32 s0, 3
	s_cbranch_scc1 .LBB17_642
; %bb.639:
	s_cmp_gt_i32 s0, 3
	s_cbranch_scc0 .LBB17_643
; %bb.640:
	s_wait_loadcnt 0x0
	global_load_b64 v[2:3], v[0:1], off
	s_mov_b32 s20, 0
	s_wait_loadcnt 0x0
	v_xor_b32_e32 v4, v2, v3
	v_cls_i32_e32 v5, v3
	s_delay_alu instid0(VALU_DEP_2) | instskip(NEXT) | instid1(VALU_DEP_1)
	v_ashrrev_i32_e32 v4, 31, v4
	v_add_nc_u32_e32 v4, 32, v4
	s_delay_alu instid0(VALU_DEP_1) | instskip(NEXT) | instid1(VALU_DEP_1)
	v_add_min_u32_e64 v4, v5, -1, v4
	v_lshlrev_b64_e32 v[2:3], v4, v[2:3]
	s_delay_alu instid0(VALU_DEP_1) | instskip(NEXT) | instid1(VALU_DEP_1)
	v_min_u32_e32 v2, 1, v2
	v_dual_sub_nc_u32 v3, 32, v4 :: v_dual_bitop2_b32 v2, v3, v2 bitop3:0x54
	s_delay_alu instid0(VALU_DEP_1) | instskip(NEXT) | instid1(VALU_DEP_1)
	v_cvt_f32_i32_e32 v2, v2
	v_ldexp_f32 v2, v2, v3
	s_branch .LBB17_644
.LBB17_641:
	s_mov_b32 s20, -1
                                        ; implicit-def: $vgpr2
	s_branch .LBB17_650
.LBB17_642:
	s_mov_b32 s20, -1
                                        ; implicit-def: $vgpr2
	s_branch .LBB17_647
.LBB17_643:
	s_mov_b32 s20, -1
                                        ; implicit-def: $vgpr2
.LBB17_644:
	s_delay_alu instid0(SALU_CYCLE_1)
	s_and_not1_b32 vcc_lo, exec_lo, s20
	s_cbranch_vccnz .LBB17_646
; %bb.645:
	s_wait_loadcnt 0x0
	global_load_b32 v2, v[0:1], off
	s_wait_loadcnt 0x0
	v_cvt_f32_i32_e32 v2, v2
.LBB17_646:
	s_mov_b32 s20, 0
.LBB17_647:
	s_delay_alu instid0(SALU_CYCLE_1)
	s_and_not1_b32 vcc_lo, exec_lo, s20
	s_cbranch_vccnz .LBB17_649
; %bb.648:
	s_wait_loadcnt 0x0
	global_load_i16 v2, v[0:1], off
	s_wait_loadcnt 0x0
	v_cvt_f32_i32_e32 v2, v2
.LBB17_649:
	s_mov_b32 s20, 0
.LBB17_650:
	s_delay_alu instid0(SALU_CYCLE_1)
	s_and_not1_b32 vcc_lo, exec_lo, s20
	s_cbranch_vccnz .LBB17_656
; %bb.651:
	s_cmp_gt_i32 s0, 0
	s_mov_b32 s0, 0
	s_cbranch_scc0 .LBB17_653
; %bb.652:
	s_wait_loadcnt 0x0
	global_load_i8 v2, v[0:1], off
	s_wait_loadcnt 0x0
	v_cvt_f32_i32_e32 v2, v2
	s_branch .LBB17_654
.LBB17_653:
	s_mov_b32 s0, -1
                                        ; implicit-def: $vgpr2
.LBB17_654:
	s_delay_alu instid0(SALU_CYCLE_1)
	s_and_not1_b32 vcc_lo, exec_lo, s0
	s_cbranch_vccnz .LBB17_656
; %bb.655:
	global_load_u8 v0, v[0:1], off
	s_wait_loadcnt 0x0
	v_cvt_f32_ubyte0_e32 v2, v0
.LBB17_656:
	s_mov_b32 s20, -1
.LBB17_657:
	s_delay_alu instid0(SALU_CYCLE_1)
	s_and_not1_b32 vcc_lo, exec_lo, s20
	s_cbranch_vccnz .LBB17_669
; %bb.658:
	s_wait_loadcnt 0x0
	s_delay_alu instid0(VALU_DEP_1) | instskip(SKIP_3) | instid1(SALU_CYCLE_1)
	v_cmp_ge_f32_e64 s0, 0x41000000, |v2|
	s_wait_xcnt 0x0
	v_mul_f32_e64 v1, 0x3fb8aa3b, |v2|
                                        ; implicit-def: $vgpr0
	s_and_saveexec_b32 s20, s0
	s_xor_b32 s0, exec_lo, s20
	s_cbranch_execz .LBB17_660
; %bb.659:
	v_fma_f32 v0, |v2|, 0.5, -2.0
	s_mov_b32 s20, 0xa2a2e5b9
	v_rndne_f32_e32 v5, v1
	v_fma_f32 v6, 0x3fb8aa3b, |v2|, -v1
	v_cmp_ngt_f32_e64 vcc_lo, 0xc2ce8ed0, |v2|
	v_fmaak_f32 v3, s20, v0, 0x24199b15
	s_delay_alu instid0(VALU_DEP_4) | instskip(NEXT) | instid1(VALU_DEP_4)
	v_sub_f32_e32 v1, v1, v5
	v_fma_f32 v6, 0x32a5705f, |v2|, v6
	v_cvt_i32_f32_e32 v5, v5
	s_delay_alu instid0(VALU_DEP_2) | instskip(NEXT) | instid1(VALU_DEP_1)
	v_dual_fmaak_f32 v4, v0, v3, 0x22a2e5b9 :: v_dual_add_f32 v1, v1, v6
	v_add_f32_e32 v4, 0xa58c275c, v4
	s_delay_alu instid0(VALU_DEP_2) | instskip(SKIP_1) | instid1(TRANS32_DEP_1)
	v_exp_f32_e32 v1, v1
	v_nop
	v_ldexp_f32 v1, v1, v5
	s_delay_alu instid0(VALU_DEP_1) | instskip(SKIP_1) | instid1(VALU_DEP_2)
	v_dual_fma_f32 v3, v0, v4, -v3 :: v_dual_cndmask_b32 v1, 0, v1, vcc_lo
	v_cmp_nlt_f32_e64 vcc_lo, 0x42b17218, |v2|
                                        ; implicit-def: $vgpr2
	v_cndmask_b32_e32 v1, 0x7f800000, v1, vcc_lo
	s_delay_alu instid0(VALU_DEP_3) | instskip(NEXT) | instid1(VALU_DEP_1)
	v_add_f32_e32 v3, 0x26f736c5, v3
	v_fma_f32 v4, v0, v3, -v4
	s_delay_alu instid0(VALU_DEP_1) | instskip(NEXT) | instid1(VALU_DEP_1)
	v_add_f32_e32 v4, 0xa8528116, v4
	v_fma_f32 v3, v0, v4, -v3
	s_delay_alu instid0(VALU_DEP_1) | instskip(NEXT) | instid1(VALU_DEP_1)
	;; [unrolled: 3-line block ×26, first 2 shown]
	v_add_f32_e32 v0, 0x3f2d4275, v0
	v_sub_f32_e32 v0, v0, v3
	s_delay_alu instid0(VALU_DEP_1) | instskip(NEXT) | instid1(VALU_DEP_1)
	v_mul_f32_e32 v0, 0.5, v0
	v_mul_f32_e32 v0, v1, v0
                                        ; implicit-def: $vgpr1
.LBB17_660:
	s_and_not1_saveexec_b32 s20, s0
	s_cbranch_execz .LBB17_662
; %bb.661:
	v_and_b32_e32 v0, 0x7fffffff, v2
	s_mov_b32 s0, 0xa3056dbb
	v_fma_f32 v7, 0x3fb8aa3b, |v2|, -v1
	s_delay_alu instid0(VALU_DEP_2) | instskip(SKIP_1) | instid1(VALU_DEP_3)
	v_div_scale_f32 v3, null, v0, v0, 0x42000000
	v_div_scale_f32 v0, vcc_lo, 0x42000000, v0, 0x42000000
	v_fma_f32 v7, 0x32a5705f, |v2|, v7
	s_delay_alu instid0(VALU_DEP_3) | instskip(SKIP_1) | instid1(TRANS32_DEP_1)
	v_rcp_f32_e32 v4, v3
	v_nop
	v_fma_f32 v5, -v3, v4, 1.0
	s_delay_alu instid0(VALU_DEP_1) | instskip(NEXT) | instid1(VALU_DEP_1)
	v_fmac_f32_e32 v4, v5, v4
	v_mul_f32_e32 v5, v0, v4
	s_delay_alu instid0(VALU_DEP_1) | instskip(NEXT) | instid1(VALU_DEP_1)
	v_fma_f32 v6, -v3, v5, v0
	v_fmac_f32_e32 v5, v6, v4
	v_rndne_f32_e32 v6, v1
	s_delay_alu instid0(VALU_DEP_1) | instskip(SKIP_1) | instid1(VALU_DEP_2)
	v_dual_fma_f32 v0, -v3, v5, v0 :: v_dual_sub_f32 v1, v1, v6
	v_cvt_i32_f32_e32 v6, v6
	v_div_fmas_f32 v0, v0, v4, v5
	v_mul_f32_e64 v5, 0x4f800000, |v2|
	v_cmp_gt_f32_e64 vcc_lo, 0xf800000, |v2|
	s_delay_alu instid0(VALU_DEP_3) | instskip(NEXT) | instid1(VALU_DEP_2)
	v_div_fixup_f32 v0, v0, |v2|, 0x42000000
	v_cndmask_b32_e64 v5, |v2|, v5, vcc_lo
	s_delay_alu instid0(VALU_DEP_2) | instskip(NEXT) | instid1(VALU_DEP_2)
	v_dual_add_f32 v0, -2.0, v0 :: v_dual_add_f32 v1, v1, v7
	v_sqrt_f32_e32 v9, v5
	s_delay_alu instid0(VALU_DEP_1) | instskip(NEXT) | instid1(VALU_DEP_2)
	v_fmaak_f32 v3, s0, v0, 0xa2b236d3
	v_exp_f32_e32 v1, v1
	s_delay_alu instid0(TRANS32_DEP_2) | instskip(NEXT) | instid1(VALU_DEP_2)
	v_add_nc_u32_e32 v10, -1, v9
	v_dual_fmaak_f32 v4, v0, v3, 0x23056dbb :: v_dual_add_nc_u32 v7, 1, v9
	s_delay_alu instid0(TRANS32_DEP_1) | instskip(NEXT) | instid1(VALU_DEP_3)
	v_ldexp_f32 v1, v1, v6
	v_fma_f32 v11, -v10, v9, v5
	s_delay_alu instid0(VALU_DEP_3) | instskip(NEXT) | instid1(VALU_DEP_4)
	v_add_f32_e32 v4, 0x244df0c1, v4
	v_fma_f32 v12, -v7, v9, v5
	s_delay_alu instid0(VALU_DEP_3) | instskip(NEXT) | instid1(VALU_DEP_1)
	v_cmp_ge_f32_e64 s0, 0, v11
	v_dual_fma_f32 v3, v0, v4, -v3 :: v_dual_cndmask_b32 v9, v9, v10, s0
	s_delay_alu instid0(VALU_DEP_1) | instskip(NEXT) | instid1(VALU_DEP_4)
	v_add_f32_e32 v3, 0x241f9ee8, v3
	v_cmp_lt_f32_e64 s0, 0, v12
	s_delay_alu instid0(VALU_DEP_2) | instskip(NEXT) | instid1(VALU_DEP_1)
	v_fma_f32 v4, v0, v3, -v4
	v_add_f32_e32 v4, 0xa5a3005d, v4
	s_delay_alu instid0(VALU_DEP_1) | instskip(NEXT) | instid1(VALU_DEP_1)
	v_fma_f32 v3, v0, v4, -v3
	v_add_f32_e32 v3, 0xa5c5773f, v3
	s_delay_alu instid0(VALU_DEP_1) | instskip(NEXT) | instid1(VALU_DEP_1)
	v_fma_f32 v4, v0, v3, -v4
	v_add_f32_e32 v4, 0x26ff73ed, v4
	s_delay_alu instid0(VALU_DEP_1) | instskip(NEXT) | instid1(VALU_DEP_1)
	v_fma_f32 v3, v0, v4, -v3
	v_add_f32_e32 v3, 0x2789548d, v3
	s_delay_alu instid0(VALU_DEP_1) | instskip(NEXT) | instid1(VALU_DEP_1)
	v_fma_f32 v4, v0, v3, -v4
	v_add_f32_e32 v4, 0xa82c1ff4, v4
	s_delay_alu instid0(VALU_DEP_1) | instskip(NEXT) | instid1(VALU_DEP_1)
	v_fma_f32 v3, v0, v4, -v3
	v_add_f32_e32 v3, 0xa93aecce, v3
	s_delay_alu instid0(VALU_DEP_1) | instskip(NEXT) | instid1(VALU_DEP_1)
	v_fma_f32 v4, v0, v3, -v4
	v_add_f32_e32 v4, 0x288ab7f8, v4
	s_delay_alu instid0(VALU_DEP_1) | instskip(NEXT) | instid1(VALU_DEP_1)
	v_fma_f32 v3, v0, v4, -v3
	v_add_f32_e32 v3, 0x2ad8e463, v3
	s_delay_alu instid0(VALU_DEP_1) | instskip(NEXT) | instid1(VALU_DEP_1)
	v_fma_f32 v4, v0, v3, -v4
	v_add_f32_e32 v4, 0x2b4a1a40, v4
	s_delay_alu instid0(VALU_DEP_1) | instskip(NEXT) | instid1(VALU_DEP_1)
	v_fma_f32 v3, v0, v4, -v3
	v_add_f32_e32 v3, 0xabfc8218, v3
	s_delay_alu instid0(VALU_DEP_1) | instskip(NEXT) | instid1(VALU_DEP_1)
	v_fma_f32 v4, v0, v3, -v4
	v_add_f32_e32 v4, 0xad687eba, v4
	s_delay_alu instid0(VALU_DEP_1) | instskip(NEXT) | instid1(VALU_DEP_1)
	v_fma_f32 v3, v0, v4, -v3
	v_add_f32_e32 v3, 0xae0a88e8, v3
	s_delay_alu instid0(VALU_DEP_1) | instskip(NEXT) | instid1(VALU_DEP_1)
	v_fma_f32 v4, v0, v3, -v4
	v_add_f32_e32 v4, 0x2d5127f5, v4
	s_delay_alu instid0(VALU_DEP_1) | instskip(NEXT) | instid1(VALU_DEP_1)
	v_fma_f32 v3, v0, v4, -v3
	v_add_f32_e32 v3, 0x3007ce66, v3
	s_delay_alu instid0(VALU_DEP_1) | instskip(NEXT) | instid1(VALU_DEP_1)
	v_fma_f32 v4, v0, v3, -v4
	v_add_f32_e32 v4, 0x31696325, v4
	s_delay_alu instid0(VALU_DEP_1) | instskip(NEXT) | instid1(VALU_DEP_1)
	v_fma_f32 v3, v0, v4, -v3
	v_add_f32_e32 v3, 0x32c2b494, v3
	s_delay_alu instid0(VALU_DEP_1) | instskip(NEXT) | instid1(VALU_DEP_1)
	v_fma_f32 v4, v0, v3, -v4
	v_add_f32_e32 v4, 0x345c003f, v4
	s_delay_alu instid0(VALU_DEP_1) | instskip(NEXT) | instid1(VALU_DEP_1)
	v_fma_f32 v3, v0, v4, -v3
	v_add_f32_e32 v3, 0x3642095e, v3
	s_delay_alu instid0(VALU_DEP_1) | instskip(NEXT) | instid1(VALU_DEP_1)
	v_fma_f32 v4, v0, v3, -v4
	v_add_f32_e32 v4, 0x38907d1c, v4
	s_delay_alu instid0(VALU_DEP_1) | instskip(NEXT) | instid1(VALU_DEP_1)
	v_fma_f32 v3, v0, v4, -v3
	v_add_f32_e32 v3, 0x3b5ccc65, v3
	s_delay_alu instid0(VALU_DEP_1) | instskip(SKIP_2) | instid1(VALU_DEP_3)
	v_fma_f32 v0, v0, v3, -v4
	v_cndmask_b32_e64 v3, v9, v7, s0
	v_cmp_ngt_f32_e64 s0, 0xc2ce8ed0, |v2|
	v_add_f32_e32 v0, 0x3f4df315, v0
	s_delay_alu instid0(VALU_DEP_3) | instskip(NEXT) | instid1(VALU_DEP_3)
	v_mul_f32_e32 v6, 0x37800000, v3
	v_cndmask_b32_e64 v1, 0, v1, s0
	v_cmp_nlt_f32_e64 s0, 0x42b17218, |v2|
	s_delay_alu instid0(VALU_DEP_3) | instskip(SKIP_1) | instid1(VALU_DEP_3)
	v_dual_sub_f32 v0, v0, v4 :: v_dual_cndmask_b32 v2, v3, v6, vcc_lo
	v_cmp_class_f32_e64 vcc_lo, v5, 0x260
	v_cndmask_b32_e64 v1, 0x7f800000, v1, s0
	s_delay_alu instid0(VALU_DEP_2) | instskip(NEXT) | instid1(VALU_DEP_1)
	v_dual_mul_f32 v0, 0.5, v0 :: v_dual_cndmask_b32 v2, v2, v5, vcc_lo
	v_mul_f32_e32 v0, v1, v0
	s_delay_alu instid0(VALU_DEP_1) | instskip(NEXT) | instid1(VALU_DEP_1)
	v_div_scale_f32 v1, null, v2, v2, v0
	v_rcp_f32_e32 v3, v1
	v_nop
	s_delay_alu instid0(TRANS32_DEP_1) | instskip(NEXT) | instid1(VALU_DEP_1)
	v_fma_f32 v4, -v1, v3, 1.0
	v_fmac_f32_e32 v3, v4, v3
	v_div_scale_f32 v4, vcc_lo, v0, v2, v0
	s_delay_alu instid0(VALU_DEP_1) | instskip(NEXT) | instid1(VALU_DEP_1)
	v_mul_f32_e32 v5, v4, v3
	v_fma_f32 v6, -v1, v5, v4
	s_delay_alu instid0(VALU_DEP_1) | instskip(NEXT) | instid1(VALU_DEP_1)
	v_fmac_f32_e32 v5, v6, v3
	v_fma_f32 v1, -v1, v5, v4
	s_delay_alu instid0(VALU_DEP_1) | instskip(NEXT) | instid1(VALU_DEP_1)
	v_div_fmas_f32 v1, v1, v3, v5
	v_div_fixup_f32 v0, v1, v2, v0
.LBB17_662:
	s_or_b32 exec_lo, exec_lo, s20
	v_mul_lo_u32 v2, v8, s2
	s_and_b32 s20, s8, 0xff
	s_delay_alu instid0(SALU_CYCLE_1) | instskip(NEXT) | instid1(VALU_DEP_1)
	s_cmp_lt_i32 s20, 11
	v_ashrrev_i32_e32 v3, 31, v2
	s_delay_alu instid0(VALU_DEP_1)
	v_add_nc_u64_e32 v[2:3], s[4:5], v[2:3]
	s_cbranch_scc1 .LBB17_670
; %bb.663:
	s_and_b32 s21, 0xffff, s20
	s_delay_alu instid0(SALU_CYCLE_1)
	s_cmp_gt_i32 s21, 25
	s_cbranch_scc0 .LBB17_671
; %bb.664:
	s_cmp_gt_i32 s21, 28
	s_cbranch_scc0 .LBB17_672
; %bb.665:
	;; [unrolled: 3-line block ×4, first 2 shown]
	s_mov_b32 s23, 0
	s_mov_b32 s0, -1
	s_cmp_eq_u32 s21, 46
	s_mov_b32 s22, 0
	s_cbranch_scc0 .LBB17_675
; %bb.668:
	v_bfe_u32 v1, v0, 16, 1
	v_cmp_o_f32_e32 vcc_lo, v0, v0
	s_mov_b32 s22, -1
	s_mov_b32 s0, 0
	s_delay_alu instid0(VALU_DEP_2) | instskip(NEXT) | instid1(VALU_DEP_1)
	v_add3_u32 v1, v0, v1, 0x7fff
	v_lshrrev_b32_e32 v1, 16, v1
	s_delay_alu instid0(VALU_DEP_1)
	v_cndmask_b32_e32 v1, 0x7fc0, v1, vcc_lo
	global_store_b32 v[2:3], v1, off
	s_branch .LBB17_675
.LBB17_669:
	s_mov_b32 s20, 0
	s_mov_b32 s0, s16
	s_branch .LBB17_786
.LBB17_670:
	s_mov_b32 s21, -1
	s_mov_b32 s22, 0
	s_mov_b32 s0, s16
	s_branch .LBB17_744
.LBB17_671:
	s_mov_b32 s23, -1
	s_mov_b32 s22, 0
	s_mov_b32 s0, s16
	s_branch .LBB17_702
.LBB17_672:
	s_mov_b32 s23, -1
	s_mov_b32 s22, 0
	s_mov_b32 s0, s16
	s_branch .LBB17_685
.LBB17_673:
	s_mov_b32 s23, -1
	s_mov_b32 s22, 0
	s_mov_b32 s0, s16
	s_branch .LBB17_681
.LBB17_674:
	s_mov_b32 s23, -1
	s_mov_b32 s22, 0
	s_mov_b32 s0, s16
.LBB17_675:
	s_and_b32 vcc_lo, exec_lo, s23
	s_cbranch_vccz .LBB17_680
; %bb.676:
	s_cmp_eq_u32 s21, 44
	s_mov_b32 s0, -1
	s_cbranch_scc0 .LBB17_680
; %bb.677:
	v_bfe_u32 v4, v0, 23, 8
	s_wait_xcnt 0x0
	v_mov_b32_e32 v1, 0xff
	s_mov_b32 s22, exec_lo
	s_delay_alu instid0(VALU_DEP_2)
	v_cmpx_ne_u32_e32 0xff, v4
	s_cbranch_execz .LBB17_679
; %bb.678:
	v_and_b32_e32 v1, 0x400000, v0
	v_and_or_b32 v4, 0x3fffff, v0, v4
	s_delay_alu instid0(VALU_DEP_2) | instskip(NEXT) | instid1(VALU_DEP_2)
	v_cmp_ne_u32_e32 vcc_lo, 0, v1
	v_cmp_ne_u32_e64 s0, 0, v4
	v_lshrrev_b32_e32 v1, 23, v0
	s_and_b32 s0, vcc_lo, s0
	s_delay_alu instid0(SALU_CYCLE_1) | instskip(NEXT) | instid1(VALU_DEP_1)
	v_cndmask_b32_e64 v4, 0, 1, s0
	v_add_nc_u32_e32 v1, v1, v4
.LBB17_679:
	s_or_b32 exec_lo, exec_lo, s22
	s_mov_b32 s22, -1
	s_mov_b32 s0, 0
	global_store_b8 v[2:3], v1, off
.LBB17_680:
	s_mov_b32 s23, 0
.LBB17_681:
	s_delay_alu instid0(SALU_CYCLE_1)
	s_and_b32 vcc_lo, exec_lo, s23
	s_cbranch_vccz .LBB17_684
; %bb.682:
	s_cmp_eq_u32 s21, 29
	s_mov_b32 s0, -1
	s_cbranch_scc0 .LBB17_684
; %bb.683:
	s_wait_xcnt 0x0
	v_trunc_f32_e32 v1, v0
	s_mov_b32 s22, -1
	s_mov_b32 s0, 0
	s_mov_b32 s23, 0
	s_delay_alu instid0(VALU_DEP_1) | instskip(NEXT) | instid1(VALU_DEP_1)
	v_mul_f32_e32 v4, 0x2f800000, v1
	v_floor_f32_e32 v4, v4
	s_delay_alu instid0(VALU_DEP_1) | instskip(SKIP_1) | instid1(VALU_DEP_2)
	v_fmamk_f32 v1, v4, 0xcf800000, v1
	v_cvt_u32_f32_e32 v5, v4
	v_cvt_u32_f32_e32 v4, v1
	global_store_b64 v[2:3], v[4:5], off
	s_branch .LBB17_685
.LBB17_684:
	s_mov_b32 s23, 0
.LBB17_685:
	s_delay_alu instid0(SALU_CYCLE_1)
	s_and_b32 vcc_lo, exec_lo, s23
	s_cbranch_vccz .LBB17_701
; %bb.686:
	s_cmp_lt_i32 s21, 27
	s_mov_b32 s22, -1
	s_cbranch_scc1 .LBB17_692
; %bb.687:
	s_wait_xcnt 0x0
	v_cvt_u32_f32_e32 v1, v0
	s_cmp_gt_i32 s21, 27
	s_cbranch_scc0 .LBB17_689
; %bb.688:
	s_mov_b32 s22, 0
	global_store_b32 v[2:3], v1, off
.LBB17_689:
	s_and_not1_b32 vcc_lo, exec_lo, s22
	s_cbranch_vccnz .LBB17_691
; %bb.690:
	global_store_b16 v[2:3], v1, off
.LBB17_691:
	s_mov_b32 s22, 0
.LBB17_692:
	s_delay_alu instid0(SALU_CYCLE_1)
	s_and_not1_b32 vcc_lo, exec_lo, s22
	s_cbranch_vccnz .LBB17_700
; %bb.693:
	s_wait_xcnt 0x0
	v_and_b32_e32 v1, 0x7fffffff, v0
	v_mov_b32_e32 v4, 0x80
	s_mov_b32 s22, exec_lo
	s_delay_alu instid0(VALU_DEP_2)
	v_cmpx_gt_u32_e32 0x43800000, v1
	s_cbranch_execz .LBB17_699
; %bb.694:
	v_cmp_lt_u32_e32 vcc_lo, 0x3bffffff, v1
	s_mov_b32 s23, 0
                                        ; implicit-def: $vgpr1
	s_and_saveexec_b32 s24, vcc_lo
	s_delay_alu instid0(SALU_CYCLE_1)
	s_xor_b32 s24, exec_lo, s24
	s_cbranch_execz .LBB17_801
; %bb.695:
	v_bfe_u32 v1, v0, 20, 1
	s_mov_b32 s23, exec_lo
	s_delay_alu instid0(VALU_DEP_1) | instskip(NEXT) | instid1(VALU_DEP_1)
	v_add3_u32 v1, v0, v1, 0x487ffff
	v_lshrrev_b32_e32 v1, 20, v1
	s_and_not1_saveexec_b32 s24, s24
	s_cbranch_execnz .LBB17_802
.LBB17_696:
	s_or_b32 exec_lo, exec_lo, s24
	v_mov_b32_e32 v4, 0
	s_and_saveexec_b32 s24, s23
.LBB17_697:
	v_lshrrev_b32_e32 v4, 24, v0
	s_delay_alu instid0(VALU_DEP_1)
	v_and_or_b32 v4, 0x80, v4, v1
.LBB17_698:
	s_or_b32 exec_lo, exec_lo, s24
.LBB17_699:
	s_delay_alu instid0(SALU_CYCLE_1)
	s_or_b32 exec_lo, exec_lo, s22
	global_store_b8 v[2:3], v4, off
.LBB17_700:
	s_mov_b32 s22, -1
.LBB17_701:
	s_mov_b32 s23, 0
.LBB17_702:
	s_delay_alu instid0(SALU_CYCLE_1)
	s_and_b32 vcc_lo, exec_lo, s23
	s_cbranch_vccz .LBB17_743
; %bb.703:
	s_cmp_gt_i32 s21, 22
	s_mov_b32 s23, -1
	s_cbranch_scc0 .LBB17_735
; %bb.704:
	s_cmp_lt_i32 s21, 24
	s_mov_b32 s22, -1
	s_cbranch_scc1 .LBB17_724
; %bb.705:
	s_cmp_gt_i32 s21, 24
	s_cbranch_scc0 .LBB17_713
; %bb.706:
	s_wait_xcnt 0x0
	v_and_b32_e32 v1, 0x7fffffff, v0
	v_mov_b32_e32 v4, 0x80
	s_mov_b32 s22, exec_lo
	s_delay_alu instid0(VALU_DEP_2)
	v_cmpx_gt_u32_e32 0x47800000, v1
	s_cbranch_execz .LBB17_712
; %bb.707:
	v_cmp_lt_u32_e32 vcc_lo, 0x37ffffff, v1
	s_mov_b32 s23, 0
                                        ; implicit-def: $vgpr1
	s_and_saveexec_b32 s24, vcc_lo
	s_delay_alu instid0(SALU_CYCLE_1)
	s_xor_b32 s24, exec_lo, s24
	s_cbranch_execz .LBB17_804
; %bb.708:
	v_bfe_u32 v1, v0, 21, 1
	s_mov_b32 s23, exec_lo
	s_delay_alu instid0(VALU_DEP_1) | instskip(NEXT) | instid1(VALU_DEP_1)
	v_add3_u32 v1, v0, v1, 0x88fffff
	v_lshrrev_b32_e32 v1, 21, v1
	s_and_not1_saveexec_b32 s24, s24
	s_cbranch_execnz .LBB17_805
.LBB17_709:
	s_or_b32 exec_lo, exec_lo, s24
	v_mov_b32_e32 v4, 0
	s_and_saveexec_b32 s24, s23
.LBB17_710:
	v_lshrrev_b32_e32 v4, 24, v0
	s_delay_alu instid0(VALU_DEP_1)
	v_and_or_b32 v4, 0x80, v4, v1
.LBB17_711:
	s_or_b32 exec_lo, exec_lo, s24
.LBB17_712:
	s_delay_alu instid0(SALU_CYCLE_1)
	s_or_b32 exec_lo, exec_lo, s22
	s_mov_b32 s22, 0
	global_store_b8 v[2:3], v4, off
.LBB17_713:
	s_and_b32 vcc_lo, exec_lo, s22
	s_cbranch_vccz .LBB17_723
; %bb.714:
	s_wait_xcnt 0x0
	v_and_b32_e32 v4, 0x7fffffff, v0
	s_mov_b32 s22, exec_lo
                                        ; implicit-def: $vgpr1
	s_delay_alu instid0(VALU_DEP_1)
	v_cmpx_gt_u32_e32 0x43f00000, v4
	s_xor_b32 s22, exec_lo, s22
	s_cbranch_execz .LBB17_720
; %bb.715:
	s_mov_b32 s23, exec_lo
                                        ; implicit-def: $vgpr1
	v_cmpx_lt_u32_e32 0x3c7fffff, v4
	s_xor_b32 s23, exec_lo, s23
; %bb.716:
	v_bfe_u32 v1, v0, 20, 1
	s_delay_alu instid0(VALU_DEP_1) | instskip(NEXT) | instid1(VALU_DEP_1)
	v_add3_u32 v1, v0, v1, 0x407ffff
	v_and_b32_e32 v4, 0xff00000, v1
	v_lshrrev_b32_e32 v1, 20, v1
	s_delay_alu instid0(VALU_DEP_2) | instskip(NEXT) | instid1(VALU_DEP_2)
	v_cmp_ne_u32_e32 vcc_lo, 0x7f00000, v4
	v_cndmask_b32_e32 v1, 0x7e, v1, vcc_lo
; %bb.717:
	s_and_not1_saveexec_b32 s23, s23
; %bb.718:
	v_add_f32_e64 v1, 0x46800000, |v0|
; %bb.719:
	s_or_b32 exec_lo, exec_lo, s23
                                        ; implicit-def: $vgpr4
.LBB17_720:
	s_and_not1_saveexec_b32 s22, s22
; %bb.721:
	v_mov_b32_e32 v1, 0x7f
	v_cmp_lt_u32_e32 vcc_lo, 0x7f800000, v4
	s_delay_alu instid0(VALU_DEP_2)
	v_cndmask_b32_e32 v1, 0x7e, v1, vcc_lo
; %bb.722:
	s_or_b32 exec_lo, exec_lo, s22
	v_lshrrev_b32_e32 v4, 24, v0
	s_delay_alu instid0(VALU_DEP_1)
	v_and_or_b32 v1, 0x80, v4, v1
	global_store_b8 v[2:3], v1, off
.LBB17_723:
	s_mov_b32 s22, 0
.LBB17_724:
	s_delay_alu instid0(SALU_CYCLE_1)
	s_and_not1_b32 vcc_lo, exec_lo, s22
	s_cbranch_vccnz .LBB17_734
; %bb.725:
	s_wait_xcnt 0x0
	v_and_b32_e32 v4, 0x7fffffff, v0
	s_mov_b32 s22, exec_lo
                                        ; implicit-def: $vgpr1
	s_delay_alu instid0(VALU_DEP_1)
	v_cmpx_gt_u32_e32 0x47800000, v4
	s_xor_b32 s22, exec_lo, s22
	s_cbranch_execz .LBB17_731
; %bb.726:
	s_mov_b32 s23, exec_lo
                                        ; implicit-def: $vgpr1
	v_cmpx_lt_u32_e32 0x387fffff, v4
	s_xor_b32 s23, exec_lo, s23
; %bb.727:
	v_bfe_u32 v1, v0, 21, 1
	s_delay_alu instid0(VALU_DEP_1) | instskip(NEXT) | instid1(VALU_DEP_1)
	v_add3_u32 v1, v0, v1, 0x80fffff
	v_lshrrev_b32_e32 v1, 21, v1
; %bb.728:
	s_and_not1_saveexec_b32 s23, s23
; %bb.729:
	v_add_f32_e64 v1, 0x43000000, |v0|
; %bb.730:
	s_or_b32 exec_lo, exec_lo, s23
                                        ; implicit-def: $vgpr4
.LBB17_731:
	s_and_not1_saveexec_b32 s22, s22
; %bb.732:
	v_mov_b32_e32 v1, 0x7f
	v_cmp_lt_u32_e32 vcc_lo, 0x7f800000, v4
	s_delay_alu instid0(VALU_DEP_2)
	v_cndmask_b32_e32 v1, 0x7c, v1, vcc_lo
; %bb.733:
	s_or_b32 exec_lo, exec_lo, s22
	v_lshrrev_b32_e32 v4, 24, v0
	s_delay_alu instid0(VALU_DEP_1)
	v_and_or_b32 v1, 0x80, v4, v1
	global_store_b8 v[2:3], v1, off
.LBB17_734:
	s_mov_b32 s23, 0
	s_mov_b32 s22, -1
.LBB17_735:
	s_and_not1_b32 vcc_lo, exec_lo, s23
	s_cbranch_vccnz .LBB17_743
; %bb.736:
	s_cmp_gt_i32 s21, 14
	s_mov_b32 s23, -1
	s_cbranch_scc0 .LBB17_740
; %bb.737:
	s_cmp_eq_u32 s21, 15
	s_mov_b32 s0, -1
	s_cbranch_scc0 .LBB17_739
; %bb.738:
	s_wait_xcnt 0x0
	v_bfe_u32 v1, v0, 16, 1
	v_cmp_o_f32_e32 vcc_lo, v0, v0
	s_mov_b32 s22, -1
	s_mov_b32 s0, 0
	s_delay_alu instid0(VALU_DEP_2) | instskip(NEXT) | instid1(VALU_DEP_1)
	v_add3_u32 v1, v0, v1, 0x7fff
	v_lshrrev_b32_e32 v1, 16, v1
	s_delay_alu instid0(VALU_DEP_1)
	v_cndmask_b32_e32 v1, 0x7fc0, v1, vcc_lo
	global_store_b16 v[2:3], v1, off
.LBB17_739:
	s_mov_b32 s23, 0
.LBB17_740:
	s_delay_alu instid0(SALU_CYCLE_1)
	s_and_b32 vcc_lo, exec_lo, s23
	s_cbranch_vccz .LBB17_743
; %bb.741:
	s_cmp_eq_u32 s21, 11
	s_mov_b32 s0, -1
	s_cbranch_scc0 .LBB17_743
; %bb.742:
	v_cmp_neq_f32_e32 vcc_lo, 0, v0
	s_mov_b32 s0, 0
	s_mov_b32 s22, -1
	s_wait_xcnt 0x0
	v_cndmask_b32_e64 v1, 0, 1, vcc_lo
	global_store_b8 v[2:3], v1, off
.LBB17_743:
	s_mov_b32 s21, 0
.LBB17_744:
	s_delay_alu instid0(SALU_CYCLE_1)
	s_and_b32 vcc_lo, exec_lo, s21
	s_cbranch_vccz .LBB17_783
; %bb.745:
	s_and_b32 s20, 0xffff, s20
	s_mov_b32 s21, -1
	s_cmp_lt_i32 s20, 5
	s_cbranch_scc1 .LBB17_766
; %bb.746:
	s_cmp_lt_i32 s20, 8
	s_cbranch_scc1 .LBB17_756
; %bb.747:
	;; [unrolled: 3-line block ×3, first 2 shown]
	s_cmp_gt_i32 s20, 9
	s_cbranch_scc0 .LBB17_750
; %bb.749:
	s_wait_xcnt 0x0
	v_cvt_f64_f32_e32 v[4:5], v0
	v_mov_b32_e32 v6, 0
	s_mov_b32 s21, 0
	s_delay_alu instid0(VALU_DEP_1)
	v_mov_b32_e32 v7, v6
	global_store_b128 v[2:3], v[4:7], off
.LBB17_750:
	s_and_not1_b32 vcc_lo, exec_lo, s21
	s_cbranch_vccnz .LBB17_752
; %bb.751:
	s_wait_xcnt 0x0
	v_mov_b32_e32 v1, 0
	global_store_b64 v[2:3], v[0:1], off
.LBB17_752:
	s_mov_b32 s21, 0
.LBB17_753:
	s_delay_alu instid0(SALU_CYCLE_1)
	s_and_not1_b32 vcc_lo, exec_lo, s21
	s_cbranch_vccnz .LBB17_755
; %bb.754:
	s_wait_xcnt 0x0
	v_cvt_f16_f32_e32 v1, v0
	s_delay_alu instid0(VALU_DEP_1)
	v_and_b32_e32 v1, 0xffff, v1
	global_store_b32 v[2:3], v1, off
.LBB17_755:
	s_mov_b32 s21, 0
.LBB17_756:
	s_delay_alu instid0(SALU_CYCLE_1)
	s_and_not1_b32 vcc_lo, exec_lo, s21
	s_cbranch_vccnz .LBB17_765
; %bb.757:
	s_cmp_lt_i32 s20, 6
	s_mov_b32 s21, -1
	s_cbranch_scc1 .LBB17_763
; %bb.758:
	s_cmp_gt_i32 s20, 6
	s_cbranch_scc0 .LBB17_760
; %bb.759:
	s_wait_xcnt 0x0
	v_cvt_f64_f32_e32 v[4:5], v0
	s_mov_b32 s21, 0
	global_store_b64 v[2:3], v[4:5], off
.LBB17_760:
	s_and_not1_b32 vcc_lo, exec_lo, s21
	s_cbranch_vccnz .LBB17_762
; %bb.761:
	global_store_b32 v[2:3], v0, off
.LBB17_762:
	s_mov_b32 s21, 0
.LBB17_763:
	s_delay_alu instid0(SALU_CYCLE_1)
	s_and_not1_b32 vcc_lo, exec_lo, s21
	s_cbranch_vccnz .LBB17_765
; %bb.764:
	s_wait_xcnt 0x0
	v_cvt_f16_f32_e32 v1, v0
	global_store_b16 v[2:3], v1, off
.LBB17_765:
	s_mov_b32 s21, 0
.LBB17_766:
	s_delay_alu instid0(SALU_CYCLE_1)
	s_and_not1_b32 vcc_lo, exec_lo, s21
	s_cbranch_vccnz .LBB17_782
; %bb.767:
	s_cmp_lt_i32 s20, 2
	s_mov_b32 s21, -1
	s_cbranch_scc1 .LBB17_777
; %bb.768:
	s_cmp_lt_i32 s20, 3
	s_cbranch_scc1 .LBB17_774
; %bb.769:
	s_cmp_gt_i32 s20, 3
	s_cbranch_scc0 .LBB17_771
; %bb.770:
	s_wait_xcnt 0x0
	v_trunc_f32_e32 v1, v0
	s_mov_b32 s21, 0
	s_delay_alu instid0(VALU_DEP_1) | instskip(NEXT) | instid1(VALU_DEP_1)
	v_mul_f32_e64 v4, 0x2f800000, |v1|
	v_floor_f32_e32 v5, v4
	v_ashrrev_i32_e32 v4, 31, v1
	s_delay_alu instid0(VALU_DEP_2) | instskip(SKIP_1) | instid1(VALU_DEP_3)
	v_fma_f32 v6, 0xcf800000, v5, |v1|
	v_cvt_u32_f32_e32 v1, v5
	v_mov_b32_e32 v5, v4
	s_delay_alu instid0(VALU_DEP_3) | instskip(NEXT) | instid1(VALU_DEP_3)
	v_cvt_u32_f32_e32 v6, v6
	v_xor_b32_e32 v7, v1, v4
	s_delay_alu instid0(VALU_DEP_2) | instskip(NEXT) | instid1(VALU_DEP_1)
	v_xor_b32_e32 v6, v6, v4
	v_sub_nc_u64_e32 v[4:5], v[6:7], v[4:5]
	global_store_b64 v[2:3], v[4:5], off
.LBB17_771:
	s_and_not1_b32 vcc_lo, exec_lo, s21
	s_cbranch_vccnz .LBB17_773
; %bb.772:
	s_wait_xcnt 0x0
	v_cvt_i32_f32_e32 v1, v0
	global_store_b32 v[2:3], v1, off
.LBB17_773:
	s_mov_b32 s21, 0
.LBB17_774:
	s_delay_alu instid0(SALU_CYCLE_1)
	s_and_not1_b32 vcc_lo, exec_lo, s21
	s_cbranch_vccnz .LBB17_776
; %bb.775:
	s_wait_xcnt 0x0
	v_cvt_i32_f32_e32 v1, v0
	global_store_b16 v[2:3], v1, off
.LBB17_776:
	s_mov_b32 s21, 0
.LBB17_777:
	s_delay_alu instid0(SALU_CYCLE_1)
	s_and_not1_b32 vcc_lo, exec_lo, s21
	s_cbranch_vccnz .LBB17_782
; %bb.778:
	s_cmp_gt_i32 s20, 0
	s_mov_b32 s20, -1
	s_cbranch_scc0 .LBB17_780
; %bb.779:
	s_wait_xcnt 0x0
	v_cvt_i32_f32_e32 v1, v0
	s_mov_b32 s20, 0
	global_store_b8 v[2:3], v1, off
.LBB17_780:
	s_and_not1_b32 vcc_lo, exec_lo, s20
	s_cbranch_vccnz .LBB17_782
; %bb.781:
	s_wait_xcnt 0x0
	v_trunc_f32_e32 v0, v0
	s_delay_alu instid0(VALU_DEP_1) | instskip(NEXT) | instid1(VALU_DEP_1)
	v_mul_f32_e64 v1, 0x2f800000, |v0|
	v_floor_f32_e32 v1, v1
	s_delay_alu instid0(VALU_DEP_1) | instskip(SKIP_1) | instid1(VALU_DEP_2)
	v_fma_f32 v1, 0xcf800000, v1, |v0|
	v_ashrrev_i32_e32 v0, 31, v0
	v_cvt_u32_f32_e32 v1, v1
	s_delay_alu instid0(VALU_DEP_1) | instskip(NEXT) | instid1(VALU_DEP_1)
	v_xor_b32_e32 v1, v1, v0
	v_sub_nc_u32_e32 v0, v1, v0
	global_store_b8 v[2:3], v0, off
.LBB17_782:
	s_mov_b32 s22, -1
.LBB17_783:
	s_delay_alu instid0(SALU_CYCLE_1)
	s_and_not1_b32 vcc_lo, exec_lo, s22
	s_cbranch_vccnz .LBB17_785
; %bb.784:
	v_add_nc_u32_e32 v8, 0x80, v8
	s_mov_b32 s20, -1
	s_branch .LBB17_787
.LBB17_785:
	s_mov_b32 s20, 0
.LBB17_786:
                                        ; implicit-def: $vgpr8
.LBB17_787:
	s_and_not1_b32 s21, s16, exec_lo
	s_and_b32 s0, s0, exec_lo
	s_and_not1_b32 s22, s15, exec_lo
	s_and_b32 s23, s19, exec_lo
	s_or_b32 s19, s21, s0
	s_or_b32 s0, s22, s23
	s_or_not1_b32 s20, s20, exec_lo
.LBB17_788:
	s_wait_xcnt 0x0
	s_or_b32 exec_lo, exec_lo, s18
	s_mov_b32 s21, 0
	s_mov_b32 s22, 0
	;; [unrolled: 1-line block ×3, first 2 shown]
                                        ; implicit-def: $vgpr0_vgpr1
                                        ; implicit-def: $vgpr4
	s_and_saveexec_b32 s18, s20
	s_cbranch_execz .LBB17_873
; %bb.789:
	v_cmp_gt_i32_e32 vcc_lo, s12, v8
	s_mov_b32 s20, 0
	s_mov_b32 s21, s0
	;; [unrolled: 1-line block ×3, first 2 shown]
                                        ; implicit-def: $vgpr0_vgpr1
                                        ; implicit-def: $vgpr4
	s_and_saveexec_b32 s12, vcc_lo
	s_cbranch_execz .LBB17_872
; %bb.790:
	v_mul_lo_u32 v0, v8, s3
	s_and_b32 s20, 0xffff, s9
	s_delay_alu instid0(SALU_CYCLE_1) | instskip(NEXT) | instid1(VALU_DEP_1)
	s_cmp_lt_i32 s20, 11
	v_ashrrev_i32_e32 v1, 31, v0
	s_delay_alu instid0(VALU_DEP_1)
	v_add_nc_u64_e32 v[0:1], s[6:7], v[0:1]
	s_cbranch_scc1 .LBB17_797
; %bb.791:
	s_cmp_gt_i32 s20, 25
	s_cbranch_scc0 .LBB17_798
; %bb.792:
	s_cmp_gt_i32 s20, 28
	s_cbranch_scc0 .LBB17_799
	;; [unrolled: 3-line block ×4, first 2 shown]
; %bb.795:
	s_cmp_eq_u32 s20, 46
	s_cbranch_scc0 .LBB17_806
; %bb.796:
	s_wait_loadcnt 0x0
	global_load_b32 v2, v[0:1], off
	s_mov_b32 s21, 0
	s_mov_b32 s23, -1
	s_wait_loadcnt 0x0
	v_lshlrev_b32_e32 v4, 16, v2
	s_branch .LBB17_808
.LBB17_797:
	s_mov_b32 s20, -1
	s_mov_b32 s21, s0
                                        ; implicit-def: $vgpr4
	s_branch .LBB17_871
.LBB17_798:
	s_mov_b32 s24, -1
	s_mov_b32 s21, s0
                                        ; implicit-def: $vgpr4
	s_branch .LBB17_837
.LBB17_799:
	s_mov_b32 s24, -1
	s_mov_b32 s21, s0
                                        ; implicit-def: $vgpr4
	s_branch .LBB17_818
.LBB17_800:
	s_mov_b32 s24, -1
	s_mov_b32 s21, s0
                                        ; implicit-def: $vgpr4
	s_branch .LBB17_813
.LBB17_801:
	s_and_not1_saveexec_b32 s24, s24
	s_cbranch_execz .LBB17_696
.LBB17_802:
	v_add_f32_e64 v1, 0x46000000, |v0|
	s_and_not1_b32 s23, s23, exec_lo
	s_delay_alu instid0(VALU_DEP_1) | instskip(NEXT) | instid1(VALU_DEP_1)
	v_and_b32_e32 v1, 0xff, v1
	v_cmp_ne_u32_e32 vcc_lo, 0, v1
	s_and_b32 s25, vcc_lo, exec_lo
	s_delay_alu instid0(SALU_CYCLE_1)
	s_or_b32 s23, s23, s25
	s_or_b32 exec_lo, exec_lo, s24
	v_mov_b32_e32 v4, 0
	s_and_saveexec_b32 s24, s23
	s_cbranch_execnz .LBB17_697
	s_branch .LBB17_698
.LBB17_803:
	s_mov_b32 s24, -1
	s_mov_b32 s21, s0
	s_branch .LBB17_807
.LBB17_804:
	s_and_not1_saveexec_b32 s24, s24
	s_cbranch_execz .LBB17_709
.LBB17_805:
	v_add_f32_e64 v1, 0x42800000, |v0|
	s_and_not1_b32 s23, s23, exec_lo
	s_delay_alu instid0(VALU_DEP_1) | instskip(NEXT) | instid1(VALU_DEP_1)
	v_and_b32_e32 v1, 0xff, v1
	v_cmp_ne_u32_e32 vcc_lo, 0, v1
	s_and_b32 s25, vcc_lo, exec_lo
	s_delay_alu instid0(SALU_CYCLE_1)
	s_or_b32 s23, s23, s25
	s_or_b32 exec_lo, exec_lo, s24
	v_mov_b32_e32 v4, 0
	s_and_saveexec_b32 s24, s23
	s_cbranch_execnz .LBB17_710
	s_branch .LBB17_711
.LBB17_806:
	s_mov_b32 s21, -1
.LBB17_807:
                                        ; implicit-def: $vgpr4
.LBB17_808:
	s_and_b32 vcc_lo, exec_lo, s24
	s_cbranch_vccz .LBB17_812
; %bb.809:
	s_cmp_eq_u32 s20, 44
	s_cbranch_scc0 .LBB17_811
; %bb.810:
	s_wait_loadcnt 0x0
	global_load_u8 v2, v[0:1], off
	s_mov_b32 s21, 0
	s_mov_b32 s23, -1
	s_wait_loadcnt 0x0
	v_lshlrev_b32_e32 v3, 23, v2
	v_cmp_ne_u32_e32 vcc_lo, 0xff, v2
	s_delay_alu instid0(VALU_DEP_2) | instskip(SKIP_1) | instid1(VALU_DEP_2)
	v_cndmask_b32_e32 v3, 0x7f800001, v3, vcc_lo
	v_cmp_ne_u32_e32 vcc_lo, 0, v2
	v_cndmask_b32_e32 v4, 0x400000, v3, vcc_lo
	s_branch .LBB17_812
.LBB17_811:
	s_mov_b32 s21, -1
                                        ; implicit-def: $vgpr4
.LBB17_812:
	s_mov_b32 s24, 0
.LBB17_813:
	s_delay_alu instid0(SALU_CYCLE_1)
	s_and_b32 vcc_lo, exec_lo, s24
	s_cbranch_vccz .LBB17_817
; %bb.814:
	s_cmp_eq_u32 s20, 29
	s_cbranch_scc0 .LBB17_816
; %bb.815:
	s_wait_loadcnt 0x0
	global_load_b64 v[2:3], v[0:1], off
	s_mov_b32 s21, 0
	s_mov_b32 s23, -1
	s_mov_b32 s24, 0
	s_wait_loadcnt 0x0
	v_clz_i32_u32_e32 v4, v3
	s_delay_alu instid0(VALU_DEP_1) | instskip(NEXT) | instid1(VALU_DEP_1)
	v_min_u32_e32 v4, 32, v4
	v_lshlrev_b64_e32 v[2:3], v4, v[2:3]
	s_delay_alu instid0(VALU_DEP_1) | instskip(NEXT) | instid1(VALU_DEP_1)
	v_min_u32_e32 v2, 1, v2
	v_dual_sub_nc_u32 v3, 32, v4 :: v_dual_bitop2_b32 v2, v3, v2 bitop3:0x54
	s_delay_alu instid0(VALU_DEP_1) | instskip(NEXT) | instid1(VALU_DEP_1)
	v_cvt_f32_u32_e32 v2, v2
	v_ldexp_f32 v4, v2, v3
	s_branch .LBB17_818
.LBB17_816:
	s_mov_b32 s21, -1
                                        ; implicit-def: $vgpr4
.LBB17_817:
	s_mov_b32 s24, 0
.LBB17_818:
	s_delay_alu instid0(SALU_CYCLE_1)
	s_and_b32 vcc_lo, exec_lo, s24
	s_cbranch_vccz .LBB17_836
; %bb.819:
	s_cmp_lt_i32 s20, 27
	s_cbranch_scc1 .LBB17_822
; %bb.820:
	s_cmp_gt_i32 s20, 27
	s_cbranch_scc0 .LBB17_823
; %bb.821:
	s_wait_loadcnt 0x0
	global_load_b32 v2, v[0:1], off
	s_mov_b32 s23, 0
	s_wait_loadcnt 0x0
	v_cvt_f32_u32_e32 v4, v2
	s_branch .LBB17_824
.LBB17_822:
	s_mov_b32 s23, -1
                                        ; implicit-def: $vgpr4
	s_branch .LBB17_827
.LBB17_823:
	s_mov_b32 s23, -1
                                        ; implicit-def: $vgpr4
.LBB17_824:
	s_delay_alu instid0(SALU_CYCLE_1)
	s_and_not1_b32 vcc_lo, exec_lo, s23
	s_cbranch_vccnz .LBB17_826
; %bb.825:
	s_wait_loadcnt 0x0
	global_load_u16 v2, v[0:1], off
	s_wait_loadcnt 0x0
	v_cvt_f32_u32_e32 v4, v2
.LBB17_826:
	s_mov_b32 s23, 0
.LBB17_827:
	s_delay_alu instid0(SALU_CYCLE_1)
	s_and_not1_b32 vcc_lo, exec_lo, s23
	s_cbranch_vccnz .LBB17_835
; %bb.828:
	s_wait_loadcnt 0x0
	global_load_u8 v2, v[0:1], off
	s_mov_b32 s23, 0
	s_mov_b32 s24, exec_lo
	s_wait_loadcnt 0x0
	v_cmpx_lt_i16_e32 0x7f, v2
	s_xor_b32 s24, exec_lo, s24
	s_cbranch_execz .LBB17_849
; %bb.829:
	s_mov_b32 s23, -1
	s_mov_b32 s25, exec_lo
	v_cmpx_eq_u16_e32 0x80, v2
; %bb.830:
	s_xor_b32 s23, exec_lo, -1
; %bb.831:
	s_or_b32 exec_lo, exec_lo, s25
	s_delay_alu instid0(SALU_CYCLE_1)
	s_and_b32 s23, s23, exec_lo
	s_or_saveexec_b32 s24, s24
	v_mov_b32_e32 v4, 0x7f800001
	s_xor_b32 exec_lo, exec_lo, s24
	s_cbranch_execnz .LBB17_850
.LBB17_832:
	s_or_b32 exec_lo, exec_lo, s24
	s_and_saveexec_b32 s24, s23
	s_cbranch_execz .LBB17_834
.LBB17_833:
	v_and_b32_e32 v3, 0xffff, v2
	s_delay_alu instid0(VALU_DEP_1) | instskip(SKIP_1) | instid1(VALU_DEP_2)
	v_and_b32_e32 v4, 7, v3
	v_bfe_u32 v7, v3, 3, 4
	v_clz_i32_u32_e32 v5, v4
	s_delay_alu instid0(VALU_DEP_2) | instskip(NEXT) | instid1(VALU_DEP_2)
	v_cmp_eq_u32_e32 vcc_lo, 0, v7
	v_min_u32_e32 v5, 32, v5
	s_delay_alu instid0(VALU_DEP_1) | instskip(NEXT) | instid1(VALU_DEP_1)
	v_subrev_nc_u32_e32 v6, 28, v5
	v_dual_lshlrev_b32 v3, v6, v3 :: v_dual_sub_nc_u32 v5, 29, v5
	s_delay_alu instid0(VALU_DEP_1) | instskip(NEXT) | instid1(VALU_DEP_1)
	v_dual_lshlrev_b32 v2, 24, v2 :: v_dual_bitop2_b32 v3, 7, v3 bitop3:0x40
	v_dual_cndmask_b32 v5, v7, v5, vcc_lo :: v_dual_cndmask_b32 v3, v4, v3, vcc_lo
	s_delay_alu instid0(VALU_DEP_2) | instskip(NEXT) | instid1(VALU_DEP_2)
	v_and_b32_e32 v2, 0x80000000, v2
	v_lshl_add_u32 v4, v5, 23, 0x3b800000
	s_delay_alu instid0(VALU_DEP_3) | instskip(NEXT) | instid1(VALU_DEP_1)
	v_lshlrev_b32_e32 v3, 20, v3
	v_or3_b32 v4, v2, v4, v3
.LBB17_834:
	s_or_b32 exec_lo, exec_lo, s24
.LBB17_835:
	s_mov_b32 s23, -1
.LBB17_836:
	s_mov_b32 s24, 0
.LBB17_837:
	s_delay_alu instid0(SALU_CYCLE_1)
	s_and_b32 vcc_lo, exec_lo, s24
	s_cbranch_vccz .LBB17_870
; %bb.838:
	s_cmp_gt_i32 s20, 22
	s_cbranch_scc0 .LBB17_848
; %bb.839:
	s_cmp_lt_i32 s20, 24
	s_cbranch_scc1 .LBB17_851
; %bb.840:
	s_cmp_gt_i32 s20, 24
	s_cbranch_scc0 .LBB17_852
; %bb.841:
	s_wait_loadcnt 0x0
	global_load_u8 v2, v[0:1], off
	s_mov_b32 s23, exec_lo
	s_wait_loadcnt 0x0
	v_cmpx_lt_i16_e32 0x7f, v2
	s_xor_b32 s23, exec_lo, s23
	s_cbranch_execz .LBB17_864
; %bb.842:
	s_mov_b32 s22, -1
	s_mov_b32 s24, exec_lo
	v_cmpx_eq_u16_e32 0x80, v2
; %bb.843:
	s_xor_b32 s22, exec_lo, -1
; %bb.844:
	s_or_b32 exec_lo, exec_lo, s24
	s_delay_alu instid0(SALU_CYCLE_1)
	s_and_b32 s22, s22, exec_lo
	s_or_saveexec_b32 s23, s23
	v_mov_b32_e32 v4, 0x7f800001
	s_xor_b32 exec_lo, exec_lo, s23
	s_cbranch_execnz .LBB17_865
.LBB17_845:
	s_or_b32 exec_lo, exec_lo, s23
	s_and_saveexec_b32 s23, s22
	s_cbranch_execz .LBB17_847
.LBB17_846:
	v_and_b32_e32 v3, 0xffff, v2
	s_delay_alu instid0(VALU_DEP_1) | instskip(SKIP_1) | instid1(VALU_DEP_2)
	v_and_b32_e32 v4, 3, v3
	v_bfe_u32 v7, v3, 2, 5
	v_clz_i32_u32_e32 v5, v4
	s_delay_alu instid0(VALU_DEP_2) | instskip(NEXT) | instid1(VALU_DEP_2)
	v_cmp_eq_u32_e32 vcc_lo, 0, v7
	v_min_u32_e32 v5, 32, v5
	s_delay_alu instid0(VALU_DEP_1) | instskip(NEXT) | instid1(VALU_DEP_1)
	v_subrev_nc_u32_e32 v6, 29, v5
	v_dual_lshlrev_b32 v3, v6, v3 :: v_dual_sub_nc_u32 v5, 30, v5
	s_delay_alu instid0(VALU_DEP_1) | instskip(NEXT) | instid1(VALU_DEP_1)
	v_dual_lshlrev_b32 v2, 24, v2 :: v_dual_bitop2_b32 v3, 3, v3 bitop3:0x40
	v_dual_cndmask_b32 v5, v7, v5, vcc_lo :: v_dual_cndmask_b32 v3, v4, v3, vcc_lo
	s_delay_alu instid0(VALU_DEP_2) | instskip(NEXT) | instid1(VALU_DEP_2)
	v_and_b32_e32 v2, 0x80000000, v2
	v_lshl_add_u32 v4, v5, 23, 0x37800000
	s_delay_alu instid0(VALU_DEP_3) | instskip(NEXT) | instid1(VALU_DEP_1)
	v_lshlrev_b32_e32 v3, 21, v3
	v_or3_b32 v4, v2, v4, v3
.LBB17_847:
	s_or_b32 exec_lo, exec_lo, s23
	s_mov_b32 s22, 0
	s_branch .LBB17_853
.LBB17_848:
	s_mov_b32 s22, -1
                                        ; implicit-def: $vgpr4
	s_branch .LBB17_859
.LBB17_849:
	s_or_saveexec_b32 s24, s24
	v_mov_b32_e32 v4, 0x7f800001
	s_xor_b32 exec_lo, exec_lo, s24
	s_cbranch_execz .LBB17_832
.LBB17_850:
	v_cmp_ne_u16_e32 vcc_lo, 0, v2
	v_mov_b32_e32 v4, 0
	s_and_not1_b32 s23, s23, exec_lo
	s_and_b32 s25, vcc_lo, exec_lo
	s_delay_alu instid0(SALU_CYCLE_1)
	s_or_b32 s23, s23, s25
	s_or_b32 exec_lo, exec_lo, s24
	s_and_saveexec_b32 s24, s23
	s_cbranch_execnz .LBB17_833
	s_branch .LBB17_834
.LBB17_851:
	s_mov_b32 s22, -1
                                        ; implicit-def: $vgpr4
	s_branch .LBB17_856
.LBB17_852:
	s_mov_b32 s22, -1
                                        ; implicit-def: $vgpr4
.LBB17_853:
	s_delay_alu instid0(SALU_CYCLE_1)
	s_and_b32 vcc_lo, exec_lo, s22
	s_cbranch_vccz .LBB17_855
; %bb.854:
	s_wait_loadcnt 0x0
	global_load_u8 v2, v[0:1], off
	s_wait_loadcnt 0x0
	v_lshlrev_b32_e32 v2, 24, v2
	s_delay_alu instid0(VALU_DEP_1) | instskip(NEXT) | instid1(VALU_DEP_1)
	v_and_b32_e32 v3, 0x7f000000, v2
	v_clz_i32_u32_e32 v4, v3
	v_cmp_ne_u32_e32 vcc_lo, 0, v3
	v_add_nc_u32_e32 v6, 0x1000000, v3
	s_delay_alu instid0(VALU_DEP_3) | instskip(NEXT) | instid1(VALU_DEP_1)
	v_min_u32_e32 v4, 32, v4
	v_sub_nc_u32_e64 v4, v4, 4 clamp
	s_delay_alu instid0(VALU_DEP_1) | instskip(NEXT) | instid1(VALU_DEP_1)
	v_dual_lshlrev_b32 v5, v4, v3 :: v_dual_lshlrev_b32 v4, 23, v4
	v_lshrrev_b32_e32 v5, 4, v5
	s_delay_alu instid0(VALU_DEP_1) | instskip(NEXT) | instid1(VALU_DEP_1)
	v_dual_sub_nc_u32 v4, v5, v4 :: v_dual_ashrrev_i32 v5, 8, v6
	v_add_nc_u32_e32 v4, 0x3c000000, v4
	s_delay_alu instid0(VALU_DEP_1) | instskip(NEXT) | instid1(VALU_DEP_1)
	v_and_or_b32 v4, 0x7f800000, v5, v4
	v_cndmask_b32_e32 v3, 0, v4, vcc_lo
	s_delay_alu instid0(VALU_DEP_1)
	v_and_or_b32 v4, 0x80000000, v2, v3
.LBB17_855:
	s_mov_b32 s22, 0
.LBB17_856:
	s_delay_alu instid0(SALU_CYCLE_1)
	s_and_not1_b32 vcc_lo, exec_lo, s22
	s_cbranch_vccnz .LBB17_858
; %bb.857:
	s_wait_loadcnt 0x0
	global_load_u8 v2, v[0:1], off
	s_wait_loadcnt 0x0
	v_lshlrev_b32_e32 v3, 25, v2
	v_lshlrev_b16 v2, 8, v2
	s_delay_alu instid0(VALU_DEP_1) | instskip(SKIP_1) | instid1(VALU_DEP_2)
	v_and_or_b32 v5, 0x7f00, v2, 0.5
	v_bfe_i32 v2, v2, 0, 16
	v_dual_add_f32 v5, -0.5, v5 :: v_dual_lshrrev_b32 v4, 4, v3
	v_cmp_gt_u32_e32 vcc_lo, 0x8000000, v3
	s_delay_alu instid0(VALU_DEP_2) | instskip(NEXT) | instid1(VALU_DEP_1)
	v_or_b32_e32 v4, 0x70000000, v4
	v_mul_f32_e32 v4, 0x7800000, v4
	s_delay_alu instid0(VALU_DEP_1) | instskip(NEXT) | instid1(VALU_DEP_1)
	v_cndmask_b32_e32 v3, v4, v5, vcc_lo
	v_and_or_b32 v4, 0x80000000, v2, v3
.LBB17_858:
	s_mov_b32 s22, 0
	s_mov_b32 s23, -1
.LBB17_859:
	s_and_not1_b32 vcc_lo, exec_lo, s22
	s_mov_b32 s22, 0
	s_cbranch_vccnz .LBB17_870
; %bb.860:
	s_cmp_gt_i32 s20, 14
	s_cbranch_scc0 .LBB17_863
; %bb.861:
	s_cmp_eq_u32 s20, 15
	s_cbranch_scc0 .LBB17_866
; %bb.862:
	s_wait_loadcnt 0x0
	global_load_u16 v2, v[0:1], off
	s_mov_b32 s21, 0
	s_mov_b32 s23, -1
	s_wait_loadcnt 0x0
	v_lshlrev_b32_e32 v4, 16, v2
	s_branch .LBB17_868
.LBB17_863:
	s_mov_b32 s22, -1
	s_branch .LBB17_867
.LBB17_864:
	s_or_saveexec_b32 s23, s23
	v_mov_b32_e32 v4, 0x7f800001
	s_xor_b32 exec_lo, exec_lo, s23
	s_cbranch_execz .LBB17_845
.LBB17_865:
	v_cmp_ne_u16_e32 vcc_lo, 0, v2
	v_mov_b32_e32 v4, 0
	s_and_not1_b32 s22, s22, exec_lo
	s_and_b32 s24, vcc_lo, exec_lo
	s_delay_alu instid0(SALU_CYCLE_1)
	s_or_b32 s22, s22, s24
	s_or_b32 exec_lo, exec_lo, s23
	s_and_saveexec_b32 s23, s22
	s_cbranch_execnz .LBB17_846
	s_branch .LBB17_847
.LBB17_866:
	s_mov_b32 s21, -1
.LBB17_867:
                                        ; implicit-def: $vgpr4
.LBB17_868:
	s_and_b32 vcc_lo, exec_lo, s22
	s_mov_b32 s22, 0
	s_cbranch_vccz .LBB17_870
; %bb.869:
	s_cmp_lg_u32 s20, 11
	s_mov_b32 s22, -1
	s_cselect_b32 s20, -1, 0
	s_and_not1_b32 s21, s21, exec_lo
	s_and_b32 s20, s20, exec_lo
	s_delay_alu instid0(SALU_CYCLE_1)
	s_or_b32 s21, s21, s20
.LBB17_870:
	s_mov_b32 s20, 0
.LBB17_871:
	s_and_not1_b32 s25, s0, exec_lo
	s_and_b32 s21, s21, exec_lo
	s_and_b32 s23, s23, exec_lo
	;; [unrolled: 1-line block ×4, first 2 shown]
	s_or_b32 s21, s25, s21
.LBB17_872:
	s_wait_xcnt 0x0
	s_or_b32 exec_lo, exec_lo, s12
	s_delay_alu instid0(SALU_CYCLE_1)
	s_and_not1_b32 s0, s0, exec_lo
	s_and_b32 s12, s21, exec_lo
	s_and_b32 s23, s23, exec_lo
	;; [unrolled: 1-line block ×4, first 2 shown]
	s_or_b32 s0, s0, s12
.LBB17_873:
	s_or_b32 exec_lo, exec_lo, s18
	s_delay_alu instid0(SALU_CYCLE_1)
	s_and_not1_b32 s12, s16, exec_lo
	s_and_b32 s16, s19, exec_lo
	s_and_b32 s0, s0, exec_lo
	s_or_b32 s16, s12, s16
	s_and_not1_b32 s12, s15, exec_lo
	s_and_b32 s20, s23, exec_lo
	s_and_b32 s19, s22, exec_lo
	;; [unrolled: 1-line block ×3, first 2 shown]
	s_or_b32 s15, s12, s0
.LBB17_874:
	s_or_b32 exec_lo, exec_lo, s17
	s_delay_alu instid0(SALU_CYCLE_1)
	s_and_not1_b32 s0, s11, exec_lo
	s_and_b32 s11, s16, exec_lo
	s_and_not1_b32 s12, s13, exec_lo
	s_and_b32 s13, s15, exec_lo
	s_or_b32 s11, s0, s11
	s_and_b32 s0, s20, exec_lo
	s_and_b32 s16, s19, exec_lo
	;; [unrolled: 1-line block ×3, first 2 shown]
	s_or_b32 s13, s12, s13
	s_or_b32 exec_lo, exec_lo, s14
	s_mov_b32 s12, 0
	s_and_saveexec_b32 s14, s13
	s_cbranch_execz .LBB17_266
.LBB17_875:
	s_mov_b32 s12, exec_lo
	s_and_not1_b32 s15, s15, exec_lo
	s_trap 2
	s_or_b32 exec_lo, exec_lo, s14
	s_and_saveexec_b32 s13, s15
	s_delay_alu instid0(SALU_CYCLE_1)
	s_xor_b32 s13, exec_lo, s13
	s_cbranch_execnz .LBB17_267
.LBB17_876:
	s_or_b32 exec_lo, exec_lo, s13
	s_and_saveexec_b32 s13, s16
	s_cbranch_execz .LBB17_922
.LBB17_877:
	s_sext_i32_i16 s14, s9
	s_delay_alu instid0(SALU_CYCLE_1)
	s_cmp_lt_i32 s14, 5
	s_cbranch_scc1 .LBB17_882
; %bb.878:
	s_cmp_lt_i32 s14, 8
	s_cbranch_scc1 .LBB17_883
; %bb.879:
	;; [unrolled: 3-line block ×3, first 2 shown]
	s_cmp_gt_i32 s14, 9
	s_cbranch_scc0 .LBB17_885
; %bb.881:
	s_wait_loadcnt 0x0
	global_load_b64 v[2:3], v[0:1], off
	s_mov_b32 s14, 0
	s_wait_loadcnt 0x0
	v_cvt_f32_f64_e32 v4, v[2:3]
	s_branch .LBB17_886
.LBB17_882:
                                        ; implicit-def: $vgpr4
	s_branch .LBB17_903
.LBB17_883:
                                        ; implicit-def: $vgpr4
	s_branch .LBB17_892
.LBB17_884:
	s_mov_b32 s14, -1
                                        ; implicit-def: $vgpr4
	s_branch .LBB17_889
.LBB17_885:
	s_mov_b32 s14, -1
                                        ; implicit-def: $vgpr4
.LBB17_886:
	s_delay_alu instid0(SALU_CYCLE_1)
	s_and_not1_b32 vcc_lo, exec_lo, s14
	s_cbranch_vccnz .LBB17_888
; %bb.887:
	global_load_b32 v4, v[0:1], off
.LBB17_888:
	s_mov_b32 s14, 0
.LBB17_889:
	s_delay_alu instid0(SALU_CYCLE_1)
	s_and_not1_b32 vcc_lo, exec_lo, s14
	s_cbranch_vccnz .LBB17_891
; %bb.890:
	s_wait_loadcnt 0x0
	global_load_b32 v2, v[0:1], off
	s_wait_loadcnt 0x0
	v_cvt_f32_f16_e32 v4, v2
.LBB17_891:
	s_cbranch_execnz .LBB17_902
.LBB17_892:
	s_sext_i32_i16 s14, s9
	s_delay_alu instid0(SALU_CYCLE_1)
	s_cmp_lt_i32 s14, 6
	s_cbranch_scc1 .LBB17_895
; %bb.893:
	s_cmp_gt_i32 s14, 6
	s_cbranch_scc0 .LBB17_896
; %bb.894:
	s_wait_loadcnt 0x0
	global_load_b64 v[2:3], v[0:1], off
	s_mov_b32 s14, 0
	s_wait_loadcnt 0x0
	v_cvt_f32_f64_e32 v4, v[2:3]
	s_branch .LBB17_897
.LBB17_895:
	s_mov_b32 s14, -1
                                        ; implicit-def: $vgpr4
	s_branch .LBB17_900
.LBB17_896:
	s_mov_b32 s14, -1
                                        ; implicit-def: $vgpr4
.LBB17_897:
	s_delay_alu instid0(SALU_CYCLE_1)
	s_and_not1_b32 vcc_lo, exec_lo, s14
	s_cbranch_vccnz .LBB17_899
; %bb.898:
	s_wait_loadcnt 0x0
	global_load_b32 v4, v[0:1], off
.LBB17_899:
	s_mov_b32 s14, 0
.LBB17_900:
	s_delay_alu instid0(SALU_CYCLE_1)
	s_and_not1_b32 vcc_lo, exec_lo, s14
	s_cbranch_vccnz .LBB17_902
; %bb.901:
	s_wait_loadcnt 0x0
	global_load_u16 v2, v[0:1], off
	s_wait_loadcnt 0x0
	v_cvt_f32_f16_e32 v4, v2
.LBB17_902:
	s_cbranch_execnz .LBB17_921
.LBB17_903:
	s_sext_i32_i16 s14, s9
	s_delay_alu instid0(SALU_CYCLE_1)
	s_cmp_lt_i32 s14, 2
	s_cbranch_scc1 .LBB17_907
; %bb.904:
	s_cmp_lt_i32 s14, 3
	s_cbranch_scc1 .LBB17_908
; %bb.905:
	s_cmp_gt_i32 s14, 3
	s_cbranch_scc0 .LBB17_909
; %bb.906:
	s_wait_loadcnt 0x0
	global_load_b64 v[2:3], v[0:1], off
	s_mov_b32 s14, 0
	s_wait_loadcnt 0x0
	v_xor_b32_e32 v4, v2, v3
	v_cls_i32_e32 v5, v3
	s_delay_alu instid0(VALU_DEP_2) | instskip(NEXT) | instid1(VALU_DEP_1)
	v_ashrrev_i32_e32 v4, 31, v4
	v_add_nc_u32_e32 v4, 32, v4
	s_delay_alu instid0(VALU_DEP_1) | instskip(NEXT) | instid1(VALU_DEP_1)
	v_add_min_u32_e64 v4, v5, -1, v4
	v_lshlrev_b64_e32 v[2:3], v4, v[2:3]
	s_delay_alu instid0(VALU_DEP_1) | instskip(NEXT) | instid1(VALU_DEP_1)
	v_min_u32_e32 v2, 1, v2
	v_dual_sub_nc_u32 v3, 32, v4 :: v_dual_bitop2_b32 v2, v3, v2 bitop3:0x54
	s_delay_alu instid0(VALU_DEP_1) | instskip(NEXT) | instid1(VALU_DEP_1)
	v_cvt_f32_i32_e32 v2, v2
	v_ldexp_f32 v4, v2, v3
	s_branch .LBB17_910
.LBB17_907:
                                        ; implicit-def: $vgpr4
	s_branch .LBB17_916
.LBB17_908:
	s_mov_b32 s14, -1
                                        ; implicit-def: $vgpr4
	s_branch .LBB17_913
.LBB17_909:
	s_mov_b32 s14, -1
                                        ; implicit-def: $vgpr4
.LBB17_910:
	s_delay_alu instid0(SALU_CYCLE_1)
	s_and_not1_b32 vcc_lo, exec_lo, s14
	s_cbranch_vccnz .LBB17_912
; %bb.911:
	s_wait_loadcnt 0x0
	global_load_b32 v2, v[0:1], off
	s_wait_loadcnt 0x0
	v_cvt_f32_i32_e32 v4, v2
.LBB17_912:
	s_mov_b32 s14, 0
.LBB17_913:
	s_delay_alu instid0(SALU_CYCLE_1)
	s_and_not1_b32 vcc_lo, exec_lo, s14
	s_cbranch_vccnz .LBB17_915
; %bb.914:
	s_wait_loadcnt 0x0
	global_load_i16 v2, v[0:1], off
	s_wait_loadcnt 0x0
	v_cvt_f32_i32_e32 v4, v2
.LBB17_915:
	s_cbranch_execnz .LBB17_921
.LBB17_916:
	s_sext_i32_i16 s14, s9
	s_delay_alu instid0(SALU_CYCLE_1)
	s_cmp_gt_i32 s14, 0
	s_mov_b32 s14, 0
	s_cbranch_scc0 .LBB17_918
; %bb.917:
	s_wait_loadcnt 0x0
	global_load_i8 v2, v[0:1], off
	s_wait_loadcnt 0x0
	v_cvt_f32_i32_e32 v4, v2
	s_branch .LBB17_919
.LBB17_918:
	s_mov_b32 s14, -1
                                        ; implicit-def: $vgpr4
.LBB17_919:
	s_delay_alu instid0(SALU_CYCLE_1)
	s_and_not1_b32 vcc_lo, exec_lo, s14
	s_cbranch_vccnz .LBB17_921
; %bb.920:
	global_load_u8 v0, v[0:1], off
	s_wait_loadcnt 0x0
	v_cvt_f32_ubyte0_e32 v4, v0
.LBB17_921:
	s_or_b32 s0, s0, exec_lo
.LBB17_922:
	s_wait_xcnt 0x0
	s_or_b32 exec_lo, exec_lo, s13
	s_mov_b32 s16, 0
	s_mov_b32 s15, 0
                                        ; implicit-def: $sgpr13
                                        ; implicit-def: $vgpr2_vgpr3
                                        ; implicit-def: $vgpr0
	s_and_saveexec_b32 s14, s0
	s_cbranch_execz .LBB17_934
; %bb.923:
	s_wait_loadcnt 0x0
	s_delay_alu instid0(VALU_DEP_1) | instskip(SKIP_2) | instid1(SALU_CYCLE_1)
	v_cmp_ge_f32_e64 s0, 0x41000000, |v4|
	v_mul_f32_e64 v1, 0x3fb8aa3b, |v4|
                                        ; implicit-def: $vgpr0
	s_and_saveexec_b32 s13, s0
	s_xor_b32 s0, exec_lo, s13
	s_cbranch_execz .LBB17_925
; %bb.924:
	v_fma_f32 v0, |v4|, 0.5, -2.0
	s_mov_b32 s13, 0xa2a2e5b9
	v_rndne_f32_e32 v5, v1
	v_fma_f32 v6, 0x3fb8aa3b, |v4|, -v1
	v_cmp_ngt_f32_e64 vcc_lo, 0xc2ce8ed0, |v4|
	s_delay_alu instid0(VALU_DEP_3) | instskip(NEXT) | instid1(VALU_DEP_3)
	v_dual_fmaak_f32 v2, s13, v0, 0x24199b15 :: v_dual_sub_f32 v1, v1, v5
	v_fma_f32 v6, 0x32a5705f, |v4|, v6
	v_cvt_i32_f32_e32 v5, v5
	s_delay_alu instid0(VALU_DEP_3) | instskip(NEXT) | instid1(VALU_DEP_3)
	v_fmaak_f32 v3, v0, v2, 0x22a2e5b9
	v_add_f32_e32 v1, v1, v6
	s_delay_alu instid0(VALU_DEP_2) | instskip(NEXT) | instid1(VALU_DEP_2)
	v_add_f32_e32 v3, 0xa58c275c, v3
	v_exp_f32_e32 v1, v1
	s_delay_alu instid0(VALU_DEP_1) | instskip(NEXT) | instid1(TRANS32_DEP_1)
	v_fma_f32 v2, v0, v3, -v2
	v_ldexp_f32 v1, v1, v5
	s_delay_alu instid0(VALU_DEP_1) | instskip(SKIP_1) | instid1(VALU_DEP_2)
	v_dual_add_f32 v2, 0x26f736c5, v2 :: v_dual_cndmask_b32 v1, 0, v1
	v_cmp_nlt_f32_e64 vcc_lo, 0x42b17218, |v4|
                                        ; implicit-def: $vgpr4
	v_cndmask_b32_e32 v1, 0x7f800000, v1, vcc_lo
	s_delay_alu instid0(VALU_DEP_3) | instskip(NEXT) | instid1(VALU_DEP_1)
	v_fma_f32 v3, v0, v2, -v3
	v_add_f32_e32 v3, 0xa8528116, v3
	s_delay_alu instid0(VALU_DEP_1) | instskip(NEXT) | instid1(VALU_DEP_1)
	v_fma_f32 v2, v0, v3, -v2
	v_add_f32_e32 v2, 0x29acda32, v2
	s_delay_alu instid0(VALU_DEP_1) | instskip(NEXT) | instid1(VALU_DEP_1)
	;; [unrolled: 3-line block ×26, first 2 shown]
	v_sub_f32_e32 v0, v0, v2
	v_mul_f32_e32 v0, 0.5, v0
	s_delay_alu instid0(VALU_DEP_1)
	v_mul_f32_e32 v0, v1, v0
                                        ; implicit-def: $vgpr1
.LBB17_925:
	s_and_not1_saveexec_b32 s13, s0
	s_cbranch_execz .LBB17_927
; %bb.926:
	v_and_b32_e32 v0, 0x7fffffff, v4
	s_mov_b32 s0, 0xa3056dbb
	v_fma_f32 v7, 0x3fb8aa3b, |v4|, -v1
	s_delay_alu instid0(VALU_DEP_2) | instskip(SKIP_1) | instid1(VALU_DEP_3)
	v_div_scale_f32 v2, null, v0, v0, 0x42000000
	v_div_scale_f32 v0, vcc_lo, 0x42000000, v0, 0x42000000
	v_fma_f32 v7, 0x32a5705f, |v4|, v7
	s_delay_alu instid0(VALU_DEP_3) | instskip(SKIP_1) | instid1(TRANS32_DEP_1)
	v_rcp_f32_e32 v3, v2
	v_nop
	v_fma_f32 v5, -v2, v3, 1.0
	s_delay_alu instid0(VALU_DEP_1) | instskip(NEXT) | instid1(VALU_DEP_1)
	v_fmac_f32_e32 v3, v5, v3
	v_mul_f32_e32 v5, v0, v3
	s_delay_alu instid0(VALU_DEP_1) | instskip(NEXT) | instid1(VALU_DEP_1)
	v_fma_f32 v6, -v2, v5, v0
	v_fmac_f32_e32 v5, v6, v3
	v_rndne_f32_e32 v6, v1
	s_delay_alu instid0(VALU_DEP_1) | instskip(SKIP_1) | instid1(VALU_DEP_2)
	v_dual_fma_f32 v0, -v2, v5, v0 :: v_dual_sub_f32 v1, v1, v6
	v_cvt_i32_f32_e32 v6, v6
	v_div_fmas_f32 v0, v0, v3, v5
	v_mul_f32_e64 v5, 0x4f800000, |v4|
	v_cmp_gt_f32_e64 vcc_lo, 0xf800000, |v4|
	v_add_f32_e32 v1, v1, v7
	s_delay_alu instid0(VALU_DEP_4) | instskip(NEXT) | instid1(VALU_DEP_3)
	v_div_fixup_f32 v0, v0, |v4|, 0x42000000
	v_cndmask_b32_e64 v5, |v4|, v5, vcc_lo
	s_delay_alu instid0(VALU_DEP_3) | instskip(NEXT) | instid1(VALU_DEP_2)
	v_exp_f32_e32 v1, v1
	v_add_f32_e32 v0, -2.0, v0
	s_delay_alu instid0(VALU_DEP_2) | instskip(NEXT) | instid1(TRANS32_DEP_2)
	v_sqrt_f32_e32 v9, v5
	v_ldexp_f32 v1, v1, v6
	s_delay_alu instid0(VALU_DEP_2) | instskip(NEXT) | instid1(TRANS32_DEP_1)
	v_fmaak_f32 v2, s0, v0, 0xa2b236d3
	v_dual_add_nc_u32 v10, -1, v9 :: v_dual_add_nc_u32 v7, 1, v9
	s_delay_alu instid0(VALU_DEP_2) | instskip(NEXT) | instid1(VALU_DEP_2)
	v_fmaak_f32 v3, v0, v2, 0x23056dbb
	v_dual_fma_f32 v11, -v10, v9, v5 :: v_dual_fma_f32 v12, -v7, v9, v5
	s_delay_alu instid0(VALU_DEP_2) | instskip(NEXT) | instid1(VALU_DEP_2)
	v_add_f32_e32 v3, 0x244df0c1, v3
	v_cmp_ge_f32_e64 s0, 0, v11
	s_delay_alu instid0(VALU_DEP_1) | instskip(NEXT) | instid1(VALU_DEP_4)
	v_dual_fma_f32 v2, v0, v3, -v2 :: v_dual_cndmask_b32 v9, v9, v10, s0
	v_cmp_lt_f32_e64 s0, 0, v12
	s_delay_alu instid0(VALU_DEP_2) | instskip(NEXT) | instid1(VALU_DEP_1)
	v_add_f32_e32 v2, 0x241f9ee8, v2
	v_fma_f32 v3, v0, v2, -v3
	s_delay_alu instid0(VALU_DEP_1) | instskip(NEXT) | instid1(VALU_DEP_1)
	v_add_f32_e32 v3, 0xa5a3005d, v3
	v_fma_f32 v2, v0, v3, -v2
	s_delay_alu instid0(VALU_DEP_1) | instskip(NEXT) | instid1(VALU_DEP_1)
	;; [unrolled: 3-line block ×20, first 2 shown]
	v_add_f32_e32 v2, 0x3b5ccc65, v2
	v_dual_fma_f32 v0, v0, v2, -v3 :: v_dual_cndmask_b32 v2, v9, v7, s0
	v_cmp_ngt_f32_e64 s0, 0xc2ce8ed0, |v4|
	s_delay_alu instid0(VALU_DEP_2) | instskip(NEXT) | instid1(VALU_DEP_3)
	v_add_f32_e32 v0, 0x3f4df315, v0
	v_mul_f32_e32 v6, 0x37800000, v2
	s_delay_alu instid0(VALU_DEP_3) | instskip(SKIP_1) | instid1(VALU_DEP_3)
	v_cndmask_b32_e64 v1, 0, v1, s0
	v_cmp_nlt_f32_e64 s0, 0x42b17218, |v4|
	v_dual_sub_f32 v0, v0, v3 :: v_dual_cndmask_b32 v2, v2, v6, vcc_lo
	v_cmp_class_f32_e64 vcc_lo, v5, 0x260
	s_delay_alu instid0(VALU_DEP_3) | instskip(NEXT) | instid1(VALU_DEP_2)
	v_cndmask_b32_e64 v1, 0x7f800000, v1, s0
	v_dual_mul_f32 v0, 0.5, v0 :: v_dual_cndmask_b32 v2, v2, v5, vcc_lo
	s_delay_alu instid0(VALU_DEP_1) | instskip(NEXT) | instid1(VALU_DEP_1)
	v_mul_f32_e32 v0, v1, v0
	v_div_scale_f32 v1, null, v2, v2, v0
	s_delay_alu instid0(VALU_DEP_1) | instskip(SKIP_1) | instid1(TRANS32_DEP_1)
	v_rcp_f32_e32 v3, v1
	v_nop
	v_fma_f32 v4, -v1, v3, 1.0
	s_delay_alu instid0(VALU_DEP_1) | instskip(SKIP_1) | instid1(VALU_DEP_1)
	v_fmac_f32_e32 v3, v4, v3
	v_div_scale_f32 v4, vcc_lo, v0, v2, v0
	v_mul_f32_e32 v5, v4, v3
	s_delay_alu instid0(VALU_DEP_1) | instskip(NEXT) | instid1(VALU_DEP_1)
	v_fma_f32 v6, -v1, v5, v4
	v_fmac_f32_e32 v5, v6, v3
	s_delay_alu instid0(VALU_DEP_1) | instskip(NEXT) | instid1(VALU_DEP_1)
	v_fma_f32 v1, -v1, v5, v4
	v_div_fmas_f32 v1, v1, v3, v5
	s_delay_alu instid0(VALU_DEP_1)
	v_div_fixup_f32 v0, v1, v2, v0
.LBB17_927:
	s_or_b32 exec_lo, exec_lo, s13
	v_mul_lo_u32 v2, v8, s2
	s_and_b32 s13, s8, 0xff
	s_delay_alu instid0(SALU_CYCLE_1) | instskip(NEXT) | instid1(VALU_DEP_1)
	s_cmp_lt_i32 s13, 11
	v_ashrrev_i32_e32 v3, 31, v2
	s_delay_alu instid0(VALU_DEP_1)
	v_add_nc_u64_e32 v[2:3], s[4:5], v[2:3]
	s_cbranch_scc1 .LBB17_937
; %bb.928:
	s_and_b32 s15, 0xffff, s13
	s_mov_b32 s16, -1
	s_cmp_gt_i32 s15, 25
	s_mov_b32 s0, s11
	s_cbranch_scc0 .LBB17_965
; %bb.929:
	s_cmp_gt_i32 s15, 28
	s_mov_b32 s0, s11
	s_cbranch_scc0 .LBB17_949
; %bb.930:
	s_cmp_gt_i32 s15, 43
	s_mov_b32 s0, s11
	s_cbranch_scc0 .LBB17_945
; %bb.931:
	s_cmp_gt_i32 s15, 45
	s_mov_b32 s0, s11
	s_cbranch_scc0 .LBB17_939
; %bb.932:
	s_cmp_eq_u32 s15, 46
	s_mov_b32 s0, -1
	s_cbranch_scc0 .LBB17_938
; %bb.933:
	v_bfe_u32 v1, v0, 16, 1
	v_cmp_o_f32_e32 vcc_lo, v0, v0
	s_mov_b32 s0, 0
	s_mov_b32 s16, 0
	s_delay_alu instid0(VALU_DEP_2) | instskip(NEXT) | instid1(VALU_DEP_1)
	v_add3_u32 v1, v0, v1, 0x7fff
	v_lshrrev_b32_e32 v1, 16, v1
	s_delay_alu instid0(VALU_DEP_1)
	v_cndmask_b32_e32 v1, 0x7fc0, v1, vcc_lo
	global_store_b32 v[2:3], v1, off
	s_branch .LBB17_939
.LBB17_934:
	s_or_b32 exec_lo, exec_lo, s14
	s_and_saveexec_b32 s0, s11
	s_cbranch_execnz .LBB17_1007
.LBB17_935:
	s_or_b32 exec_lo, exec_lo, s0
	s_and_saveexec_b32 s0, s16
	s_delay_alu instid0(SALU_CYCLE_1)
	s_xor_b32 s0, exec_lo, s0
	s_cbranch_execz .LBB17_1008
.LBB17_936:
	v_cmp_neq_f32_e32 vcc_lo, 0, v0
	v_cndmask_b32_e64 v1, 0, 1, vcc_lo
	s_wait_loadcnt 0x0
	global_store_b8 v[2:3], v1, off
	s_wait_xcnt 0x0
	s_or_b32 exec_lo, exec_lo, s0
	s_and_saveexec_b32 s0, s15
	s_delay_alu instid0(SALU_CYCLE_1)
	s_xor_b32 s0, exec_lo, s0
	s_cbranch_execz .LBB17_1046
	s_branch .LBB17_1009
.LBB17_937:
	s_mov_b32 s17, 0
	s_mov_b32 s16, -1
	s_mov_b32 s0, s11
	s_branch .LBB17_1006
.LBB17_938:
	s_mov_b32 s16, 0
.LBB17_939:
	s_delay_alu instid0(SALU_CYCLE_1)
	s_and_b32 vcc_lo, exec_lo, s16
	s_cbranch_vccz .LBB17_944
; %bb.940:
	s_cmp_eq_u32 s15, 44
	s_mov_b32 s0, -1
	s_cbranch_scc0 .LBB17_944
; %bb.941:
	v_bfe_u32 v4, v0, 23, 8
	s_wait_xcnt 0x0
	v_mov_b32_e32 v1, 0xff
	s_mov_b32 s16, exec_lo
	s_delay_alu instid0(VALU_DEP_2)
	v_cmpx_ne_u32_e32 0xff, v4
	s_cbranch_execz .LBB17_943
; %bb.942:
	v_and_b32_e32 v1, 0x400000, v0
	v_and_or_b32 v4, 0x3fffff, v0, v4
	s_delay_alu instid0(VALU_DEP_2) | instskip(NEXT) | instid1(VALU_DEP_2)
	v_cmp_ne_u32_e32 vcc_lo, 0, v1
	v_cmp_ne_u32_e64 s0, 0, v4
	v_lshrrev_b32_e32 v1, 23, v0
	s_and_b32 s0, vcc_lo, s0
	s_delay_alu instid0(SALU_CYCLE_1) | instskip(NEXT) | instid1(VALU_DEP_1)
	v_cndmask_b32_e64 v4, 0, 1, s0
	v_add_nc_u32_e32 v1, v1, v4
.LBB17_943:
	s_or_b32 exec_lo, exec_lo, s16
	s_mov_b32 s0, 0
	global_store_b8 v[2:3], v1, off
.LBB17_944:
	s_mov_b32 s16, 0
.LBB17_945:
	s_delay_alu instid0(SALU_CYCLE_1)
	s_and_b32 vcc_lo, exec_lo, s16
	s_cbranch_vccz .LBB17_948
; %bb.946:
	s_cmp_eq_u32 s15, 29
	s_mov_b32 s0, -1
	s_cbranch_scc0 .LBB17_948
; %bb.947:
	s_wait_xcnt 0x0
	v_trunc_f32_e32 v1, v0
	s_mov_b32 s0, 0
	s_mov_b32 s16, 0
	s_delay_alu instid0(VALU_DEP_1) | instskip(NEXT) | instid1(VALU_DEP_1)
	v_mul_f32_e32 v4, 0x2f800000, v1
	v_floor_f32_e32 v4, v4
	s_delay_alu instid0(VALU_DEP_1) | instskip(SKIP_1) | instid1(VALU_DEP_2)
	v_fmamk_f32 v1, v4, 0xcf800000, v1
	v_cvt_u32_f32_e32 v5, v4
	v_cvt_u32_f32_e32 v4, v1
	global_store_b64 v[2:3], v[4:5], off
	s_branch .LBB17_949
.LBB17_948:
	s_mov_b32 s16, 0
.LBB17_949:
	s_delay_alu instid0(SALU_CYCLE_1)
	s_and_b32 vcc_lo, exec_lo, s16
	s_cbranch_vccz .LBB17_964
; %bb.950:
	s_cmp_lt_i32 s15, 27
	s_mov_b32 s16, -1
	s_cbranch_scc1 .LBB17_956
; %bb.951:
	s_wait_xcnt 0x0
	v_cvt_u32_f32_e32 v1, v0
	s_cmp_gt_i32 s15, 27
	s_cbranch_scc0 .LBB17_953
; %bb.952:
	s_mov_b32 s16, 0
	global_store_b32 v[2:3], v1, off
.LBB17_953:
	s_and_not1_b32 vcc_lo, exec_lo, s16
	s_cbranch_vccnz .LBB17_955
; %bb.954:
	global_store_b16 v[2:3], v1, off
.LBB17_955:
	s_mov_b32 s16, 0
.LBB17_956:
	s_delay_alu instid0(SALU_CYCLE_1)
	s_and_not1_b32 vcc_lo, exec_lo, s16
	s_cbranch_vccnz .LBB17_964
; %bb.957:
	s_wait_xcnt 0x0
	v_and_b32_e32 v1, 0x7fffffff, v0
	v_mov_b32_e32 v4, 0x80
	s_mov_b32 s16, exec_lo
	s_delay_alu instid0(VALU_DEP_2)
	v_cmpx_gt_u32_e32 0x43800000, v1
	s_cbranch_execz .LBB17_963
; %bb.958:
	v_cmp_lt_u32_e32 vcc_lo, 0x3bffffff, v1
	s_mov_b32 s17, 0
                                        ; implicit-def: $vgpr1
	s_and_saveexec_b32 s18, vcc_lo
	s_delay_alu instid0(SALU_CYCLE_1)
	s_xor_b32 s18, exec_lo, s18
	s_cbranch_execz .LBB17_1061
; %bb.959:
	v_bfe_u32 v1, v0, 20, 1
	s_mov_b32 s17, exec_lo
	s_delay_alu instid0(VALU_DEP_1) | instskip(NEXT) | instid1(VALU_DEP_1)
	v_add3_u32 v1, v0, v1, 0x487ffff
	v_lshrrev_b32_e32 v1, 20, v1
	s_and_not1_saveexec_b32 s18, s18
	s_cbranch_execnz .LBB17_1062
.LBB17_960:
	s_or_b32 exec_lo, exec_lo, s18
	v_mov_b32_e32 v4, 0
	s_and_saveexec_b32 s18, s17
.LBB17_961:
	v_lshrrev_b32_e32 v4, 24, v0
	s_delay_alu instid0(VALU_DEP_1)
	v_and_or_b32 v4, 0x80, v4, v1
.LBB17_962:
	s_or_b32 exec_lo, exec_lo, s18
.LBB17_963:
	s_delay_alu instid0(SALU_CYCLE_1)
	s_or_b32 exec_lo, exec_lo, s16
	global_store_b8 v[2:3], v4, off
.LBB17_964:
	s_mov_b32 s16, 0
.LBB17_965:
	s_delay_alu instid0(SALU_CYCLE_1)
	s_and_b32 vcc_lo, exec_lo, s16
	s_mov_b32 s16, 0
	s_cbranch_vccz .LBB17_1005
; %bb.966:
	s_cmp_gt_i32 s15, 22
	s_mov_b32 s17, -1
	s_cbranch_scc0 .LBB17_998
; %bb.967:
	s_cmp_lt_i32 s15, 24
	s_cbranch_scc1 .LBB17_987
; %bb.968:
	s_cmp_gt_i32 s15, 24
	s_cbranch_scc0 .LBB17_976
; %bb.969:
	s_wait_xcnt 0x0
	v_and_b32_e32 v1, 0x7fffffff, v0
	v_mov_b32_e32 v4, 0x80
	s_mov_b32 s17, exec_lo
	s_delay_alu instid0(VALU_DEP_2)
	v_cmpx_gt_u32_e32 0x47800000, v1
	s_cbranch_execz .LBB17_975
; %bb.970:
	v_cmp_lt_u32_e32 vcc_lo, 0x37ffffff, v1
	s_mov_b32 s18, 0
                                        ; implicit-def: $vgpr1
	s_and_saveexec_b32 s19, vcc_lo
	s_delay_alu instid0(SALU_CYCLE_1)
	s_xor_b32 s19, exec_lo, s19
	s_cbranch_execz .LBB17_1191
; %bb.971:
	v_bfe_u32 v1, v0, 21, 1
	s_mov_b32 s18, exec_lo
	s_delay_alu instid0(VALU_DEP_1) | instskip(NEXT) | instid1(VALU_DEP_1)
	v_add3_u32 v1, v0, v1, 0x88fffff
	v_lshrrev_b32_e32 v1, 21, v1
	s_and_not1_saveexec_b32 s19, s19
	s_cbranch_execnz .LBB17_1192
.LBB17_972:
	s_or_b32 exec_lo, exec_lo, s19
	v_mov_b32_e32 v4, 0
	s_and_saveexec_b32 s19, s18
.LBB17_973:
	v_lshrrev_b32_e32 v4, 24, v0
	s_delay_alu instid0(VALU_DEP_1)
	v_and_or_b32 v4, 0x80, v4, v1
.LBB17_974:
	s_or_b32 exec_lo, exec_lo, s19
.LBB17_975:
	s_delay_alu instid0(SALU_CYCLE_1)
	s_or_b32 exec_lo, exec_lo, s17
	s_mov_b32 s17, 0
	global_store_b8 v[2:3], v4, off
.LBB17_976:
	s_and_b32 vcc_lo, exec_lo, s17
	s_cbranch_vccz .LBB17_986
; %bb.977:
	s_wait_xcnt 0x0
	v_and_b32_e32 v4, 0x7fffffff, v0
	s_mov_b32 s17, exec_lo
                                        ; implicit-def: $vgpr1
	s_delay_alu instid0(VALU_DEP_1)
	v_cmpx_gt_u32_e32 0x43f00000, v4
	s_xor_b32 s17, exec_lo, s17
	s_cbranch_execz .LBB17_983
; %bb.978:
	s_mov_b32 s18, exec_lo
                                        ; implicit-def: $vgpr1
	v_cmpx_lt_u32_e32 0x3c7fffff, v4
	s_xor_b32 s18, exec_lo, s18
; %bb.979:
	v_bfe_u32 v1, v0, 20, 1
	s_delay_alu instid0(VALU_DEP_1) | instskip(NEXT) | instid1(VALU_DEP_1)
	v_add3_u32 v1, v0, v1, 0x407ffff
	v_and_b32_e32 v4, 0xff00000, v1
	v_lshrrev_b32_e32 v1, 20, v1
	s_delay_alu instid0(VALU_DEP_2) | instskip(NEXT) | instid1(VALU_DEP_2)
	v_cmp_ne_u32_e32 vcc_lo, 0x7f00000, v4
	v_cndmask_b32_e32 v1, 0x7e, v1, vcc_lo
; %bb.980:
	s_and_not1_saveexec_b32 s18, s18
; %bb.981:
	v_add_f32_e64 v1, 0x46800000, |v0|
; %bb.982:
	s_or_b32 exec_lo, exec_lo, s18
                                        ; implicit-def: $vgpr4
.LBB17_983:
	s_and_not1_saveexec_b32 s17, s17
; %bb.984:
	v_mov_b32_e32 v1, 0x7f
	v_cmp_lt_u32_e32 vcc_lo, 0x7f800000, v4
	s_delay_alu instid0(VALU_DEP_2)
	v_cndmask_b32_e32 v1, 0x7e, v1, vcc_lo
; %bb.985:
	s_or_b32 exec_lo, exec_lo, s17
	v_lshrrev_b32_e32 v4, 24, v0
	s_delay_alu instid0(VALU_DEP_1)
	v_and_or_b32 v1, 0x80, v4, v1
	global_store_b8 v[2:3], v1, off
.LBB17_986:
	s_mov_b32 s17, 0
.LBB17_987:
	s_delay_alu instid0(SALU_CYCLE_1)
	s_and_not1_b32 vcc_lo, exec_lo, s17
	s_cbranch_vccnz .LBB17_997
; %bb.988:
	s_wait_xcnt 0x0
	v_and_b32_e32 v4, 0x7fffffff, v0
	s_mov_b32 s17, exec_lo
                                        ; implicit-def: $vgpr1
	s_delay_alu instid0(VALU_DEP_1)
	v_cmpx_gt_u32_e32 0x47800000, v4
	s_xor_b32 s17, exec_lo, s17
	s_cbranch_execz .LBB17_994
; %bb.989:
	s_mov_b32 s18, exec_lo
                                        ; implicit-def: $vgpr1
	v_cmpx_lt_u32_e32 0x387fffff, v4
	s_xor_b32 s18, exec_lo, s18
; %bb.990:
	v_bfe_u32 v1, v0, 21, 1
	s_delay_alu instid0(VALU_DEP_1) | instskip(NEXT) | instid1(VALU_DEP_1)
	v_add3_u32 v1, v0, v1, 0x80fffff
	v_lshrrev_b32_e32 v1, 21, v1
; %bb.991:
	s_and_not1_saveexec_b32 s18, s18
; %bb.992:
	v_add_f32_e64 v1, 0x43000000, |v0|
; %bb.993:
	s_or_b32 exec_lo, exec_lo, s18
                                        ; implicit-def: $vgpr4
.LBB17_994:
	s_and_not1_saveexec_b32 s17, s17
; %bb.995:
	v_mov_b32_e32 v1, 0x7f
	v_cmp_lt_u32_e32 vcc_lo, 0x7f800000, v4
	s_delay_alu instid0(VALU_DEP_2)
	v_cndmask_b32_e32 v1, 0x7c, v1, vcc_lo
; %bb.996:
	s_or_b32 exec_lo, exec_lo, s17
	v_lshrrev_b32_e32 v4, 24, v0
	s_delay_alu instid0(VALU_DEP_1)
	v_and_or_b32 v1, 0x80, v4, v1
	global_store_b8 v[2:3], v1, off
.LBB17_997:
	s_mov_b32 s17, 0
.LBB17_998:
	s_delay_alu instid0(SALU_CYCLE_1)
	s_and_not1_b32 vcc_lo, exec_lo, s17
	s_mov_b32 s17, 0
	s_cbranch_vccnz .LBB17_1006
; %bb.999:
	s_cmp_gt_i32 s15, 14
	s_mov_b32 s17, -1
	s_cbranch_scc0 .LBB17_1003
; %bb.1000:
	s_cmp_eq_u32 s15, 15
	s_mov_b32 s0, -1
	s_cbranch_scc0 .LBB17_1002
; %bb.1001:
	s_wait_xcnt 0x0
	v_bfe_u32 v1, v0, 16, 1
	v_cmp_o_f32_e32 vcc_lo, v0, v0
	s_mov_b32 s0, 0
	s_delay_alu instid0(VALU_DEP_2) | instskip(NEXT) | instid1(VALU_DEP_1)
	v_add3_u32 v1, v0, v1, 0x7fff
	v_lshrrev_b32_e32 v1, 16, v1
	s_delay_alu instid0(VALU_DEP_1)
	v_cndmask_b32_e32 v1, 0x7fc0, v1, vcc_lo
	global_store_b16 v[2:3], v1, off
.LBB17_1002:
	s_mov_b32 s17, 0
.LBB17_1003:
	s_delay_alu instid0(SALU_CYCLE_1)
	s_and_b32 vcc_lo, exec_lo, s17
	s_mov_b32 s17, 0
	s_cbranch_vccz .LBB17_1006
; %bb.1004:
	s_cmp_lg_u32 s15, 11
	s_mov_b32 s17, -1
	s_cselect_b32 s15, -1, 0
	s_and_not1_b32 s0, s0, exec_lo
	s_and_b32 s15, s15, exec_lo
	s_delay_alu instid0(SALU_CYCLE_1)
	s_or_b32 s0, s0, s15
	s_branch .LBB17_1006
.LBB17_1005:
	s_mov_b32 s17, 0
.LBB17_1006:
	s_and_not1_b32 s11, s11, exec_lo
	s_and_b32 s0, s0, exec_lo
	s_and_b32 s15, s16, exec_lo
	s_and_b32 s16, s17, exec_lo
	s_or_b32 s11, s11, s0
	s_wait_xcnt 0x0
	s_or_b32 exec_lo, exec_lo, s14
	s_and_saveexec_b32 s0, s11
	s_cbranch_execz .LBB17_935
.LBB17_1007:
	s_or_b32 s12, s12, exec_lo
	s_and_not1_b32 s16, s16, exec_lo
	s_trap 2
	s_or_b32 exec_lo, exec_lo, s0
	s_and_saveexec_b32 s0, s16
	s_delay_alu instid0(SALU_CYCLE_1)
	s_xor_b32 s0, exec_lo, s0
	s_cbranch_execnz .LBB17_936
.LBB17_1008:
	s_or_b32 exec_lo, exec_lo, s0
	s_and_saveexec_b32 s0, s15
	s_delay_alu instid0(SALU_CYCLE_1)
	s_xor_b32 s0, exec_lo, s0
	s_cbranch_execz .LBB17_1046
.LBB17_1009:
	s_sext_i32_i16 s14, s13
	s_mov_b32 s11, -1
	s_cmp_lt_i32 s14, 5
	s_cbranch_scc1 .LBB17_1030
; %bb.1010:
	s_cmp_lt_i32 s14, 8
	s_cbranch_scc1 .LBB17_1020
; %bb.1011:
	;; [unrolled: 3-line block ×3, first 2 shown]
	s_cmp_gt_i32 s14, 9
	s_cbranch_scc0 .LBB17_1014
; %bb.1013:
	s_wait_loadcnt 0x0
	v_cvt_f64_f32_e32 v[4:5], v0
	v_mov_b32_e32 v6, 0
	s_mov_b32 s11, 0
	s_delay_alu instid0(VALU_DEP_1)
	v_mov_b32_e32 v7, v6
	global_store_b128 v[2:3], v[4:7], off
.LBB17_1014:
	s_and_not1_b32 vcc_lo, exec_lo, s11
	s_cbranch_vccnz .LBB17_1016
; %bb.1015:
	v_mov_b32_e32 v1, 0
	s_wait_loadcnt 0x0
	global_store_b64 v[2:3], v[0:1], off
.LBB17_1016:
	s_mov_b32 s11, 0
.LBB17_1017:
	s_delay_alu instid0(SALU_CYCLE_1)
	s_and_not1_b32 vcc_lo, exec_lo, s11
	s_cbranch_vccnz .LBB17_1019
; %bb.1018:
	s_wait_xcnt 0x0
	v_cvt_f16_f32_e32 v1, v0
	s_delay_alu instid0(VALU_DEP_1)
	v_and_b32_e32 v1, 0xffff, v1
	s_wait_loadcnt 0x0
	global_store_b32 v[2:3], v1, off
.LBB17_1019:
	s_mov_b32 s11, 0
.LBB17_1020:
	s_delay_alu instid0(SALU_CYCLE_1)
	s_and_not1_b32 vcc_lo, exec_lo, s11
	s_cbranch_vccnz .LBB17_1029
; %bb.1021:
	s_sext_i32_i16 s14, s13
	s_mov_b32 s11, -1
	s_cmp_lt_i32 s14, 6
	s_cbranch_scc1 .LBB17_1027
; %bb.1022:
	s_cmp_gt_i32 s14, 6
	s_cbranch_scc0 .LBB17_1024
; %bb.1023:
	s_wait_loadcnt 0x0
	v_cvt_f64_f32_e32 v[4:5], v0
	s_mov_b32 s11, 0
	global_store_b64 v[2:3], v[4:5], off
.LBB17_1024:
	s_and_not1_b32 vcc_lo, exec_lo, s11
	s_cbranch_vccnz .LBB17_1026
; %bb.1025:
	s_wait_loadcnt 0x0
	global_store_b32 v[2:3], v0, off
.LBB17_1026:
	s_mov_b32 s11, 0
.LBB17_1027:
	s_delay_alu instid0(SALU_CYCLE_1)
	s_and_not1_b32 vcc_lo, exec_lo, s11
	s_cbranch_vccnz .LBB17_1029
; %bb.1028:
	s_wait_xcnt 0x0
	v_cvt_f16_f32_e32 v1, v0
	s_wait_loadcnt 0x0
	global_store_b16 v[2:3], v1, off
.LBB17_1029:
	s_mov_b32 s11, 0
.LBB17_1030:
	s_delay_alu instid0(SALU_CYCLE_1)
	s_and_not1_b32 vcc_lo, exec_lo, s11
	s_cbranch_vccnz .LBB17_1046
; %bb.1031:
	s_sext_i32_i16 s14, s13
	s_mov_b32 s11, -1
	s_cmp_lt_i32 s14, 2
	s_cbranch_scc1 .LBB17_1041
; %bb.1032:
	s_cmp_lt_i32 s14, 3
	s_cbranch_scc1 .LBB17_1038
; %bb.1033:
	s_cmp_gt_i32 s14, 3
	s_cbranch_scc0 .LBB17_1035
; %bb.1034:
	s_wait_xcnt 0x0
	v_trunc_f32_e32 v1, v0
	s_mov_b32 s11, 0
	s_wait_loadcnt 0x0
	s_delay_alu instid0(VALU_DEP_1) | instskip(NEXT) | instid1(VALU_DEP_1)
	v_mul_f32_e64 v4, 0x2f800000, |v1|
	v_floor_f32_e32 v5, v4
	v_ashrrev_i32_e32 v4, 31, v1
	s_delay_alu instid0(VALU_DEP_2) | instskip(SKIP_1) | instid1(VALU_DEP_3)
	v_fma_f32 v6, 0xcf800000, v5, |v1|
	v_cvt_u32_f32_e32 v1, v5
	v_mov_b32_e32 v5, v4
	s_delay_alu instid0(VALU_DEP_3) | instskip(NEXT) | instid1(VALU_DEP_3)
	v_cvt_u32_f32_e32 v6, v6
	v_xor_b32_e32 v7, v1, v4
	s_delay_alu instid0(VALU_DEP_2) | instskip(NEXT) | instid1(VALU_DEP_1)
	v_xor_b32_e32 v6, v6, v4
	v_sub_nc_u64_e32 v[4:5], v[6:7], v[4:5]
	global_store_b64 v[2:3], v[4:5], off
.LBB17_1035:
	s_and_not1_b32 vcc_lo, exec_lo, s11
	s_cbranch_vccnz .LBB17_1037
; %bb.1036:
	s_wait_xcnt 0x0
	v_cvt_i32_f32_e32 v1, v0
	s_wait_loadcnt 0x0
	global_store_b32 v[2:3], v1, off
.LBB17_1037:
	s_mov_b32 s11, 0
.LBB17_1038:
	s_delay_alu instid0(SALU_CYCLE_1)
	s_and_not1_b32 vcc_lo, exec_lo, s11
	s_cbranch_vccnz .LBB17_1040
; %bb.1039:
	s_wait_xcnt 0x0
	v_cvt_i32_f32_e32 v1, v0
	s_wait_loadcnt 0x0
	global_store_b16 v[2:3], v1, off
.LBB17_1040:
	s_mov_b32 s11, 0
.LBB17_1041:
	s_delay_alu instid0(SALU_CYCLE_1)
	s_and_not1_b32 vcc_lo, exec_lo, s11
	s_cbranch_vccnz .LBB17_1046
; %bb.1042:
	s_sext_i32_i16 s11, s13
	s_delay_alu instid0(SALU_CYCLE_1)
	s_cmp_gt_i32 s11, 0
	s_mov_b32 s11, -1
	s_cbranch_scc0 .LBB17_1044
; %bb.1043:
	s_wait_xcnt 0x0
	v_cvt_i32_f32_e32 v1, v0
	s_mov_b32 s11, 0
	s_wait_loadcnt 0x0
	global_store_b8 v[2:3], v1, off
.LBB17_1044:
	s_and_not1_b32 vcc_lo, exec_lo, s11
	s_cbranch_vccnz .LBB17_1046
; %bb.1045:
	s_wait_xcnt 0x0
	v_trunc_f32_e32 v0, v0
	s_delay_alu instid0(VALU_DEP_1) | instskip(NEXT) | instid1(VALU_DEP_1)
	v_mul_f32_e64 v1, 0x2f800000, |v0|
	v_floor_f32_e32 v1, v1
	s_delay_alu instid0(VALU_DEP_1) | instskip(SKIP_1) | instid1(VALU_DEP_2)
	v_fma_f32 v1, 0xcf800000, v1, |v0|
	v_ashrrev_i32_e32 v0, 31, v0
	v_cvt_u32_f32_e32 v1, v1
	s_delay_alu instid0(VALU_DEP_1) | instskip(NEXT) | instid1(VALU_DEP_1)
	v_xor_b32_e32 v1, v1, v0
	v_sub_nc_u32_e32 v0, v1, v0
	s_wait_loadcnt 0x0
	global_store_b8 v[2:3], v0, off
.LBB17_1046:
	s_wait_xcnt 0x0
	s_or_b32 exec_lo, exec_lo, s0
	s_delay_alu instid0(SALU_CYCLE_1)
	s_and_b32 s11, s12, exec_lo
                                        ; implicit-def: $vgpr8
.LBB17_1047:
	s_or_saveexec_b32 s10, s10
	s_mov_b32 s0, 0
                                        ; implicit-def: $sgpr12
                                        ; implicit-def: $vgpr0_vgpr1
                                        ; implicit-def: $vgpr6
	s_xor_b32 exec_lo, exec_lo, s10
	s_cbranch_execz .LBB17_1660
; %bb.1048:
	s_wait_loadcnt 0x0
	v_mul_lo_u32 v2, s3, v8
	s_and_b32 s9, 0xffff, s9
	s_delay_alu instid0(SALU_CYCLE_1) | instskip(NEXT) | instid1(VALU_DEP_1)
	s_cmp_lt_i32 s9, 11
	v_ashrrev_i32_e32 v3, 31, v2
	s_delay_alu instid0(VALU_DEP_1)
	v_add_nc_u64_e32 v[0:1], s[6:7], v[2:3]
	s_cbranch_scc1 .LBB17_1055
; %bb.1049:
	s_cmp_gt_i32 s9, 25
	s_mov_b32 s12, 0
	s_cbranch_scc0 .LBB17_1057
; %bb.1050:
	s_cmp_gt_i32 s9, 28
	s_cbranch_scc0 .LBB17_1058
; %bb.1051:
	s_cmp_gt_i32 s9, 43
	;; [unrolled: 3-line block ×3, first 2 shown]
	s_cbranch_scc0 .LBB17_1060
; %bb.1053:
	s_cmp_eq_u32 s9, 46
	s_cbranch_scc0 .LBB17_1063
; %bb.1054:
	global_load_b32 v3, v[0:1], off
	s_mov_b32 s13, -1
	s_wait_loadcnt 0x0
	v_lshlrev_b32_e32 v3, 16, v3
	s_branch .LBB17_1065
.LBB17_1055:
	s_mov_b32 s13, 0
	s_mov_b32 s1, s11
                                        ; implicit-def: $vgpr3
	s_cbranch_execnz .LBB17_1128
.LBB17_1056:
	s_and_not1_b32 vcc_lo, exec_lo, s13
	s_cbranch_vccz .LBB17_1173
	s_branch .LBB17_1658
.LBB17_1057:
	s_mov_b32 s13, 0
                                        ; implicit-def: $vgpr3
	s_cbranch_execnz .LBB17_1093
	s_branch .LBB17_1124
.LBB17_1058:
	s_mov_b32 s1, -1
	s_mov_b32 s13, 0
                                        ; implicit-def: $vgpr3
	s_branch .LBB17_1074
.LBB17_1059:
	s_mov_b32 s13, 0
                                        ; implicit-def: $vgpr3
	s_cbranch_execnz .LBB17_1070
	s_branch .LBB17_1073
.LBB17_1060:
	s_mov_b32 s1, -1
	s_branch .LBB17_1064
.LBB17_1061:
	s_and_not1_saveexec_b32 s18, s18
	s_cbranch_execz .LBB17_960
.LBB17_1062:
	v_add_f32_e64 v1, 0x46000000, |v0|
	s_and_not1_b32 s17, s17, exec_lo
	s_delay_alu instid0(VALU_DEP_1) | instskip(NEXT) | instid1(VALU_DEP_1)
	v_and_b32_e32 v1, 0xff, v1
	v_cmp_ne_u32_e32 vcc_lo, 0, v1
	s_and_b32 s19, vcc_lo, exec_lo
	s_delay_alu instid0(SALU_CYCLE_1)
	s_or_b32 s17, s17, s19
	s_or_b32 exec_lo, exec_lo, s18
	v_mov_b32_e32 v4, 0
	s_and_saveexec_b32 s18, s17
	s_cbranch_execnz .LBB17_961
	s_branch .LBB17_962
.LBB17_1063:
	s_mov_b32 s0, -1
.LBB17_1064:
	s_mov_b32 s13, 0
                                        ; implicit-def: $vgpr3
.LBB17_1065:
	s_and_b32 vcc_lo, exec_lo, s1
	s_cbranch_vccz .LBB17_1068
; %bb.1066:
	s_cmp_eq_u32 s9, 44
	s_cbranch_scc0 .LBB17_1069
; %bb.1067:
	global_load_u8 v3, v[0:1], off
	s_mov_b32 s0, 0
	s_mov_b32 s13, -1
	s_wait_loadcnt 0x0
	v_lshlrev_b32_e32 v4, 23, v3
	v_cmp_ne_u32_e32 vcc_lo, 0xff, v3
	s_delay_alu instid0(VALU_DEP_2) | instskip(SKIP_1) | instid1(VALU_DEP_2)
	v_cndmask_b32_e32 v4, 0x7f800001, v4, vcc_lo
	v_cmp_ne_u32_e32 vcc_lo, 0, v3
	v_cndmask_b32_e32 v3, 0x400000, v4, vcc_lo
.LBB17_1068:
	s_branch .LBB17_1073
.LBB17_1069:
	s_mov_b32 s0, -1
                                        ; implicit-def: $vgpr3
	s_branch .LBB17_1073
.LBB17_1070:
	s_cmp_eq_u32 s9, 29
	s_cbranch_scc0 .LBB17_1072
; %bb.1071:
	global_load_b64 v[4:5], v[0:1], off
	s_mov_b32 s0, 0
	s_mov_b32 s13, -1
	s_mov_b32 s1, 0
	s_wait_loadcnt 0x0
	v_clz_i32_u32_e32 v3, v5
	s_delay_alu instid0(VALU_DEP_1) | instskip(NEXT) | instid1(VALU_DEP_1)
	v_min_u32_e32 v3, 32, v3
	v_lshlrev_b64_e32 v[4:5], v3, v[4:5]
	v_sub_nc_u32_e32 v3, 32, v3
	s_delay_alu instid0(VALU_DEP_2) | instskip(NEXT) | instid1(VALU_DEP_1)
	v_min_u32_e32 v4, 1, v4
	v_or_b32_e32 v4, v5, v4
	s_delay_alu instid0(VALU_DEP_1) | instskip(NEXT) | instid1(VALU_DEP_1)
	v_cvt_f32_u32_e32 v4, v4
	v_ldexp_f32 v3, v4, v3
	s_branch .LBB17_1074
.LBB17_1072:
	s_mov_b32 s0, -1
                                        ; implicit-def: $vgpr3
.LBB17_1073:
	s_mov_b32 s1, 0
.LBB17_1074:
	s_delay_alu instid0(SALU_CYCLE_1)
	s_and_b32 vcc_lo, exec_lo, s1
	s_cbranch_vccz .LBB17_1092
; %bb.1075:
	s_cmp_lt_i32 s9, 27
	s_cbranch_scc1 .LBB17_1078
; %bb.1076:
	s_cmp_gt_i32 s9, 27
	s_cbranch_scc0 .LBB17_1079
; %bb.1077:
	global_load_b32 v3, v[0:1], off
	s_mov_b32 s1, 0
	s_wait_loadcnt 0x0
	v_cvt_f32_u32_e32 v3, v3
	s_branch .LBB17_1080
.LBB17_1078:
	s_mov_b32 s1, -1
                                        ; implicit-def: $vgpr3
	s_branch .LBB17_1083
.LBB17_1079:
	s_mov_b32 s1, -1
                                        ; implicit-def: $vgpr3
.LBB17_1080:
	s_delay_alu instid0(SALU_CYCLE_1)
	s_and_not1_b32 vcc_lo, exec_lo, s1
	s_cbranch_vccnz .LBB17_1082
; %bb.1081:
	global_load_u16 v3, v[0:1], off
	s_wait_loadcnt 0x0
	v_cvt_f32_u32_e32 v3, v3
.LBB17_1082:
	s_mov_b32 s1, 0
.LBB17_1083:
	s_delay_alu instid0(SALU_CYCLE_1)
	s_and_not1_b32 vcc_lo, exec_lo, s1
	s_cbranch_vccnz .LBB17_1091
; %bb.1084:
	global_load_u8 v4, v[0:1], off
	s_mov_b32 s1, 0
	s_mov_b32 s13, exec_lo
	s_wait_loadcnt 0x0
	v_cmpx_lt_i16_e32 0x7f, v4
	s_xor_b32 s13, exec_lo, s13
	s_cbranch_execz .LBB17_1104
; %bb.1085:
	s_mov_b32 s1, -1
	s_mov_b32 s14, exec_lo
	v_cmpx_eq_u16_e32 0x80, v4
; %bb.1086:
	s_xor_b32 s1, exec_lo, -1
; %bb.1087:
	s_or_b32 exec_lo, exec_lo, s14
	s_delay_alu instid0(SALU_CYCLE_1)
	s_and_b32 s1, s1, exec_lo
	s_or_saveexec_b32 s13, s13
	v_mov_b32_e32 v3, 0x7f800001
	s_xor_b32 exec_lo, exec_lo, s13
	s_cbranch_execnz .LBB17_1105
.LBB17_1088:
	s_or_b32 exec_lo, exec_lo, s13
	s_and_saveexec_b32 s13, s1
	s_cbranch_execz .LBB17_1090
.LBB17_1089:
	v_and_b32_e32 v3, 0xffff, v4
	s_delay_alu instid0(VALU_DEP_1) | instskip(SKIP_1) | instid1(VALU_DEP_2)
	v_and_b32_e32 v5, 7, v3
	v_bfe_u32 v9, v3, 3, 4
	v_clz_i32_u32_e32 v6, v5
	s_delay_alu instid0(VALU_DEP_2) | instskip(NEXT) | instid1(VALU_DEP_2)
	v_cmp_eq_u32_e32 vcc_lo, 0, v9
	v_min_u32_e32 v6, 32, v6
	s_delay_alu instid0(VALU_DEP_1) | instskip(NEXT) | instid1(VALU_DEP_1)
	v_subrev_nc_u32_e32 v7, 28, v6
	v_dual_lshlrev_b32 v3, v7, v3 :: v_dual_sub_nc_u32 v6, 29, v6
	s_delay_alu instid0(VALU_DEP_1) | instskip(NEXT) | instid1(VALU_DEP_2)
	v_dual_lshlrev_b32 v4, 24, v4 :: v_dual_bitop2_b32 v3, 7, v3 bitop3:0x40
	v_cndmask_b32_e32 v6, v9, v6, vcc_lo
	s_delay_alu instid0(VALU_DEP_2) | instskip(NEXT) | instid1(VALU_DEP_3)
	v_cndmask_b32_e32 v3, v5, v3, vcc_lo
	v_and_b32_e32 v4, 0x80000000, v4
	s_delay_alu instid0(VALU_DEP_3) | instskip(NEXT) | instid1(VALU_DEP_3)
	v_lshl_add_u32 v5, v6, 23, 0x3b800000
	v_lshlrev_b32_e32 v3, 20, v3
	s_delay_alu instid0(VALU_DEP_1)
	v_or3_b32 v3, v4, v5, v3
.LBB17_1090:
	s_or_b32 exec_lo, exec_lo, s13
.LBB17_1091:
	s_mov_b32 s13, -1
.LBB17_1092:
	s_branch .LBB17_1124
.LBB17_1093:
	s_cmp_gt_i32 s9, 22
	s_cbranch_scc0 .LBB17_1103
; %bb.1094:
	s_cmp_lt_i32 s9, 24
	s_cbranch_scc1 .LBB17_1106
; %bb.1095:
	s_cmp_gt_i32 s9, 24
	s_cbranch_scc0 .LBB17_1107
; %bb.1096:
	global_load_u8 v4, v[0:1], off
	s_mov_b32 s1, 0
	s_mov_b32 s12, exec_lo
	s_wait_loadcnt 0x0
	v_cmpx_lt_i16_e32 0x7f, v4
	s_xor_b32 s12, exec_lo, s12
	s_cbranch_execz .LBB17_1118
; %bb.1097:
	s_mov_b32 s1, -1
	s_mov_b32 s13, exec_lo
	v_cmpx_eq_u16_e32 0x80, v4
; %bb.1098:
	s_xor_b32 s1, exec_lo, -1
; %bb.1099:
	s_or_b32 exec_lo, exec_lo, s13
	s_delay_alu instid0(SALU_CYCLE_1)
	s_and_b32 s1, s1, exec_lo
	s_or_saveexec_b32 s12, s12
	v_mov_b32_e32 v3, 0x7f800001
	s_xor_b32 exec_lo, exec_lo, s12
	s_cbranch_execnz .LBB17_1119
.LBB17_1100:
	s_or_b32 exec_lo, exec_lo, s12
	s_and_saveexec_b32 s12, s1
	s_cbranch_execz .LBB17_1102
.LBB17_1101:
	v_and_b32_e32 v3, 0xffff, v4
	s_delay_alu instid0(VALU_DEP_1) | instskip(SKIP_1) | instid1(VALU_DEP_2)
	v_and_b32_e32 v5, 3, v3
	v_bfe_u32 v9, v3, 2, 5
	v_clz_i32_u32_e32 v6, v5
	s_delay_alu instid0(VALU_DEP_2) | instskip(NEXT) | instid1(VALU_DEP_2)
	v_cmp_eq_u32_e32 vcc_lo, 0, v9
	v_min_u32_e32 v6, 32, v6
	s_delay_alu instid0(VALU_DEP_1) | instskip(NEXT) | instid1(VALU_DEP_1)
	v_subrev_nc_u32_e32 v7, 29, v6
	v_dual_lshlrev_b32 v3, v7, v3 :: v_dual_sub_nc_u32 v6, 30, v6
	s_delay_alu instid0(VALU_DEP_1) | instskip(NEXT) | instid1(VALU_DEP_2)
	v_dual_lshlrev_b32 v4, 24, v4 :: v_dual_bitop2_b32 v3, 3, v3 bitop3:0x40
	v_cndmask_b32_e32 v6, v9, v6, vcc_lo
	s_delay_alu instid0(VALU_DEP_2) | instskip(NEXT) | instid1(VALU_DEP_3)
	v_cndmask_b32_e32 v3, v5, v3, vcc_lo
	v_and_b32_e32 v4, 0x80000000, v4
	s_delay_alu instid0(VALU_DEP_3) | instskip(NEXT) | instid1(VALU_DEP_3)
	v_lshl_add_u32 v5, v6, 23, 0x37800000
	v_lshlrev_b32_e32 v3, 21, v3
	s_delay_alu instid0(VALU_DEP_1)
	v_or3_b32 v3, v4, v5, v3
.LBB17_1102:
	s_or_b32 exec_lo, exec_lo, s12
	s_mov_b32 s1, 0
	s_branch .LBB17_1108
.LBB17_1103:
                                        ; implicit-def: $vgpr3
	s_mov_b32 s12, 0
	s_branch .LBB17_1114
.LBB17_1104:
	s_or_saveexec_b32 s13, s13
	v_mov_b32_e32 v3, 0x7f800001
	s_xor_b32 exec_lo, exec_lo, s13
	s_cbranch_execz .LBB17_1088
.LBB17_1105:
	v_cmp_ne_u16_e32 vcc_lo, 0, v4
	v_mov_b32_e32 v3, 0
	s_and_not1_b32 s1, s1, exec_lo
	s_and_b32 s14, vcc_lo, exec_lo
	s_delay_alu instid0(SALU_CYCLE_1)
	s_or_b32 s1, s1, s14
	s_or_b32 exec_lo, exec_lo, s13
	s_and_saveexec_b32 s13, s1
	s_cbranch_execnz .LBB17_1089
	s_branch .LBB17_1090
.LBB17_1106:
	s_mov_b32 s1, -1
                                        ; implicit-def: $vgpr3
	s_branch .LBB17_1111
.LBB17_1107:
	s_mov_b32 s1, -1
                                        ; implicit-def: $vgpr3
.LBB17_1108:
	s_delay_alu instid0(SALU_CYCLE_1)
	s_and_b32 vcc_lo, exec_lo, s1
	s_cbranch_vccz .LBB17_1110
; %bb.1109:
	global_load_u8 v3, v[0:1], off
	s_wait_loadcnt 0x0
	v_lshlrev_b32_e32 v3, 24, v3
	s_delay_alu instid0(VALU_DEP_1) | instskip(NEXT) | instid1(VALU_DEP_1)
	v_and_b32_e32 v4, 0x7f000000, v3
	v_clz_i32_u32_e32 v5, v4
	v_cmp_ne_u32_e32 vcc_lo, 0, v4
	v_add_nc_u32_e32 v7, 0x1000000, v4
	s_delay_alu instid0(VALU_DEP_3) | instskip(NEXT) | instid1(VALU_DEP_1)
	v_min_u32_e32 v5, 32, v5
	v_sub_nc_u32_e64 v5, v5, 4 clamp
	s_delay_alu instid0(VALU_DEP_1) | instskip(NEXT) | instid1(VALU_DEP_1)
	v_dual_lshlrev_b32 v6, v5, v4 :: v_dual_lshlrev_b32 v5, 23, v5
	v_lshrrev_b32_e32 v6, 4, v6
	s_delay_alu instid0(VALU_DEP_1) | instskip(NEXT) | instid1(VALU_DEP_1)
	v_dual_sub_nc_u32 v5, v6, v5 :: v_dual_ashrrev_i32 v6, 8, v7
	v_add_nc_u32_e32 v5, 0x3c000000, v5
	s_delay_alu instid0(VALU_DEP_1) | instskip(NEXT) | instid1(VALU_DEP_1)
	v_and_or_b32 v5, 0x7f800000, v6, v5
	v_cndmask_b32_e32 v4, 0, v5, vcc_lo
	s_delay_alu instid0(VALU_DEP_1)
	v_and_or_b32 v3, 0x80000000, v3, v4
.LBB17_1110:
	s_mov_b32 s1, 0
.LBB17_1111:
	s_delay_alu instid0(SALU_CYCLE_1)
	s_and_not1_b32 vcc_lo, exec_lo, s1
	s_cbranch_vccnz .LBB17_1113
; %bb.1112:
	global_load_u8 v3, v[0:1], off
	s_wait_loadcnt 0x0
	v_lshlrev_b32_e32 v4, 25, v3
	v_lshlrev_b16 v3, 8, v3
	s_delay_alu instid0(VALU_DEP_1) | instskip(SKIP_1) | instid1(VALU_DEP_2)
	v_and_or_b32 v6, 0x7f00, v3, 0.5
	v_bfe_i32 v3, v3, 0, 16
	v_dual_add_f32 v6, -0.5, v6 :: v_dual_lshrrev_b32 v5, 4, v4
	v_cmp_gt_u32_e32 vcc_lo, 0x8000000, v4
	s_delay_alu instid0(VALU_DEP_2) | instskip(NEXT) | instid1(VALU_DEP_1)
	v_or_b32_e32 v5, 0x70000000, v5
	v_mul_f32_e32 v5, 0x7800000, v5
	s_delay_alu instid0(VALU_DEP_1) | instskip(NEXT) | instid1(VALU_DEP_1)
	v_cndmask_b32_e32 v4, v5, v6, vcc_lo
	v_and_or_b32 v3, 0x80000000, v3, v4
.LBB17_1113:
	s_mov_b32 s13, -1
	s_mov_b32 s12, 0
	s_cbranch_execnz .LBB17_1124
.LBB17_1114:
	s_cmp_gt_i32 s9, 14
	s_cbranch_scc0 .LBB17_1117
; %bb.1115:
	s_cmp_eq_u32 s9, 15
	s_cbranch_scc0 .LBB17_1120
; %bb.1116:
	global_load_u16 v3, v[0:1], off
	s_mov_b32 s0, 0
	s_mov_b32 s13, -1
	s_wait_loadcnt 0x0
	v_lshlrev_b32_e32 v3, 16, v3
	s_branch .LBB17_1121
.LBB17_1117:
	s_mov_b32 s1, -1
                                        ; implicit-def: $vgpr3
	s_branch .LBB17_1122
.LBB17_1118:
	s_or_saveexec_b32 s12, s12
	v_mov_b32_e32 v3, 0x7f800001
	s_xor_b32 exec_lo, exec_lo, s12
	s_cbranch_execz .LBB17_1100
.LBB17_1119:
	v_cmp_ne_u16_e32 vcc_lo, 0, v4
	v_mov_b32_e32 v3, 0
	s_and_not1_b32 s1, s1, exec_lo
	s_and_b32 s13, vcc_lo, exec_lo
	s_delay_alu instid0(SALU_CYCLE_1)
	s_or_b32 s1, s1, s13
	s_or_b32 exec_lo, exec_lo, s12
	s_and_saveexec_b32 s12, s1
	s_cbranch_execnz .LBB17_1101
	s_branch .LBB17_1102
.LBB17_1120:
	s_mov_b32 s0, -1
                                        ; implicit-def: $vgpr3
.LBB17_1121:
	s_mov_b32 s1, 0
.LBB17_1122:
	s_delay_alu instid0(SALU_CYCLE_1)
	s_and_b32 vcc_lo, exec_lo, s1
	s_cbranch_vccz .LBB17_1124
; %bb.1123:
	s_cmp_lg_u32 s9, 11
	s_mov_b32 s12, -1
	s_cselect_b32 s0, -1, 0
.LBB17_1124:
	s_delay_alu instid0(SALU_CYCLE_1)
	s_and_b32 vcc_lo, exec_lo, s0
	s_mov_b32 s1, s11
	s_cbranch_vccnz .LBB17_1189
; %bb.1125:
	s_and_not1_b32 vcc_lo, exec_lo, s12
	s_cbranch_vccnz .LBB17_1127
.LBB17_1126:
	global_load_u8 v3, v[0:1], off
	s_mov_b32 s13, -1
	s_wait_loadcnt 0x0
	v_cmp_ne_u16_e32 vcc_lo, 0, v3
	v_cndmask_b32_e64 v3, 0, 1.0, vcc_lo
.LBB17_1127:
	s_branch .LBB17_1056
.LBB17_1128:
	s_cmp_lt_i32 s9, 5
	s_cbranch_scc1 .LBB17_1133
; %bb.1129:
	s_cmp_lt_i32 s9, 8
	s_cbranch_scc1 .LBB17_1134
; %bb.1130:
	;; [unrolled: 3-line block ×3, first 2 shown]
	s_cmp_gt_i32 s9, 9
	s_cbranch_scc0 .LBB17_1136
; %bb.1132:
	global_load_b64 v[4:5], v[0:1], off
	s_mov_b32 s0, 0
	s_wait_loadcnt 0x0
	v_cvt_f32_f64_e32 v3, v[4:5]
	s_branch .LBB17_1137
.LBB17_1133:
                                        ; implicit-def: $vgpr3
	s_branch .LBB17_1154
.LBB17_1134:
                                        ; implicit-def: $vgpr3
	s_branch .LBB17_1143
.LBB17_1135:
	s_mov_b32 s0, -1
                                        ; implicit-def: $vgpr3
	s_branch .LBB17_1140
.LBB17_1136:
	s_mov_b32 s0, -1
                                        ; implicit-def: $vgpr3
.LBB17_1137:
	s_delay_alu instid0(SALU_CYCLE_1)
	s_and_not1_b32 vcc_lo, exec_lo, s0
	s_cbranch_vccnz .LBB17_1139
; %bb.1138:
	global_load_b32 v3, v[0:1], off
.LBB17_1139:
	s_mov_b32 s0, 0
.LBB17_1140:
	s_delay_alu instid0(SALU_CYCLE_1)
	s_and_not1_b32 vcc_lo, exec_lo, s0
	s_cbranch_vccnz .LBB17_1142
; %bb.1141:
	s_wait_loadcnt 0x0
	global_load_b32 v3, v[0:1], off
	s_wait_loadcnt 0x0
	v_cvt_f32_f16_e32 v3, v3
.LBB17_1142:
	s_cbranch_execnz .LBB17_1153
.LBB17_1143:
	s_cmp_lt_i32 s9, 6
	s_cbranch_scc1 .LBB17_1146
; %bb.1144:
	s_cmp_gt_i32 s9, 6
	s_cbranch_scc0 .LBB17_1147
; %bb.1145:
	global_load_b64 v[4:5], v[0:1], off
	s_mov_b32 s0, 0
	s_wait_loadcnt 0x0
	v_cvt_f32_f64_e32 v3, v[4:5]
	s_branch .LBB17_1148
.LBB17_1146:
	s_mov_b32 s0, -1
                                        ; implicit-def: $vgpr3
	s_branch .LBB17_1151
.LBB17_1147:
	s_mov_b32 s0, -1
                                        ; implicit-def: $vgpr3
.LBB17_1148:
	s_delay_alu instid0(SALU_CYCLE_1)
	s_and_not1_b32 vcc_lo, exec_lo, s0
	s_cbranch_vccnz .LBB17_1150
; %bb.1149:
	s_wait_loadcnt 0x0
	global_load_b32 v3, v[0:1], off
.LBB17_1150:
	s_mov_b32 s0, 0
.LBB17_1151:
	s_delay_alu instid0(SALU_CYCLE_1)
	s_and_not1_b32 vcc_lo, exec_lo, s0
	s_cbranch_vccnz .LBB17_1153
; %bb.1152:
	s_wait_loadcnt 0x0
	global_load_u16 v3, v[0:1], off
	s_wait_loadcnt 0x0
	v_cvt_f32_f16_e32 v3, v3
.LBB17_1153:
	s_cbranch_execnz .LBB17_1172
.LBB17_1154:
	s_cmp_lt_i32 s9, 2
	s_cbranch_scc1 .LBB17_1158
; %bb.1155:
	s_cmp_lt_i32 s9, 3
	s_cbranch_scc1 .LBB17_1159
; %bb.1156:
	s_cmp_gt_i32 s9, 3
	s_cbranch_scc0 .LBB17_1160
; %bb.1157:
	global_load_b64 v[4:5], v[0:1], off
	s_mov_b32 s0, 0
	s_wait_loadcnt 0x0
	v_xor_b32_e32 v3, v4, v5
	v_cls_i32_e32 v6, v5
	s_delay_alu instid0(VALU_DEP_2) | instskip(NEXT) | instid1(VALU_DEP_1)
	v_ashrrev_i32_e32 v3, 31, v3
	v_add_nc_u32_e32 v3, 32, v3
	s_delay_alu instid0(VALU_DEP_1) | instskip(NEXT) | instid1(VALU_DEP_1)
	v_add_min_u32_e64 v3, v6, -1, v3
	v_lshlrev_b64_e32 v[4:5], v3, v[4:5]
	v_sub_nc_u32_e32 v3, 32, v3
	s_delay_alu instid0(VALU_DEP_2) | instskip(NEXT) | instid1(VALU_DEP_1)
	v_min_u32_e32 v4, 1, v4
	v_or_b32_e32 v4, v5, v4
	s_delay_alu instid0(VALU_DEP_1) | instskip(NEXT) | instid1(VALU_DEP_1)
	v_cvt_f32_i32_e32 v4, v4
	v_ldexp_f32 v3, v4, v3
	s_branch .LBB17_1161
.LBB17_1158:
                                        ; implicit-def: $vgpr3
	s_branch .LBB17_1167
.LBB17_1159:
	s_mov_b32 s0, -1
                                        ; implicit-def: $vgpr3
	s_branch .LBB17_1164
.LBB17_1160:
	s_mov_b32 s0, -1
                                        ; implicit-def: $vgpr3
.LBB17_1161:
	s_delay_alu instid0(SALU_CYCLE_1)
	s_and_not1_b32 vcc_lo, exec_lo, s0
	s_cbranch_vccnz .LBB17_1163
; %bb.1162:
	s_wait_loadcnt 0x0
	global_load_b32 v3, v[0:1], off
	s_wait_loadcnt 0x0
	v_cvt_f32_i32_e32 v3, v3
.LBB17_1163:
	s_mov_b32 s0, 0
.LBB17_1164:
	s_delay_alu instid0(SALU_CYCLE_1)
	s_and_not1_b32 vcc_lo, exec_lo, s0
	s_cbranch_vccnz .LBB17_1166
; %bb.1165:
	s_wait_loadcnt 0x0
	global_load_i16 v3, v[0:1], off
	s_wait_loadcnt 0x0
	v_cvt_f32_i32_e32 v3, v3
.LBB17_1166:
	s_cbranch_execnz .LBB17_1172
.LBB17_1167:
	s_cmp_gt_i32 s9, 0
	s_mov_b32 s0, 0
	s_cbranch_scc0 .LBB17_1169
; %bb.1168:
	s_wait_loadcnt 0x0
	global_load_i8 v3, v[0:1], off
	s_wait_loadcnt 0x0
	v_cvt_f32_i32_e32 v3, v3
	s_branch .LBB17_1170
.LBB17_1169:
	s_mov_b32 s0, -1
                                        ; implicit-def: $vgpr3
.LBB17_1170:
	s_delay_alu instid0(SALU_CYCLE_1)
	s_and_not1_b32 vcc_lo, exec_lo, s0
	s_cbranch_vccnz .LBB17_1172
; %bb.1171:
	global_load_u8 v0, v[0:1], off
	s_wait_loadcnt 0x0
	v_cvt_f32_ubyte0_e32 v3, v0
.LBB17_1172:
.LBB17_1173:
	s_wait_loadcnt 0x0
	s_delay_alu instid0(VALU_DEP_1) | instskip(SKIP_3) | instid1(SALU_CYCLE_1)
	v_cmp_ge_f32_e64 s0, 0x41000000, |v3|
	s_wait_xcnt 0x0
	v_mul_f32_e64 v1, 0x3fb8aa3b, |v3|
                                        ; implicit-def: $vgpr0
	s_and_saveexec_b32 s12, s0
	s_xor_b32 s0, exec_lo, s12
	s_cbranch_execz .LBB17_1175
; %bb.1174:
	v_fma_f32 v0, |v3|, 0.5, -2.0
	s_mov_b32 s12, 0xa2a2e5b9
	v_rndne_f32_e32 v6, v1
	v_fma_f32 v7, 0x3fb8aa3b, |v3|, -v1
	v_cmp_ngt_f32_e64 vcc_lo, 0xc2ce8ed0, |v3|
	s_delay_alu instid0(VALU_DEP_3) | instskip(NEXT) | instid1(VALU_DEP_3)
	v_dual_fmaak_f32 v4, s12, v0, 0x24199b15 :: v_dual_sub_f32 v1, v1, v6
	v_fma_f32 v7, 0x32a5705f, |v3|, v7
	v_cvt_i32_f32_e32 v6, v6
	s_delay_alu instid0(VALU_DEP_3) | instskip(NEXT) | instid1(VALU_DEP_3)
	v_fmaak_f32 v5, v0, v4, 0x22a2e5b9
	v_add_f32_e32 v1, v1, v7
	s_delay_alu instid0(VALU_DEP_2) | instskip(NEXT) | instid1(VALU_DEP_2)
	v_add_f32_e32 v5, 0xa58c275c, v5
	v_exp_f32_e32 v1, v1
	s_delay_alu instid0(VALU_DEP_1) | instskip(NEXT) | instid1(TRANS32_DEP_1)
	v_fma_f32 v4, v0, v5, -v4
	v_ldexp_f32 v1, v1, v6
	s_delay_alu instid0(VALU_DEP_1) | instskip(NEXT) | instid1(VALU_DEP_1)
	v_dual_add_f32 v4, 0x26f736c5, v4 :: v_dual_cndmask_b32 v1, 0, v1
	v_fma_f32 v5, v0, v4, -v5
	v_cmp_nlt_f32_e64 vcc_lo, 0x42b17218, |v3|
                                        ; implicit-def: $vgpr3
	s_delay_alu instid0(VALU_DEP_3) | instskip(NEXT) | instid1(VALU_DEP_3)
	v_cndmask_b32_e32 v1, 0x7f800000, v1, vcc_lo
	v_add_f32_e32 v5, 0xa8528116, v5
	s_delay_alu instid0(VALU_DEP_1) | instskip(NEXT) | instid1(VALU_DEP_1)
	v_fma_f32 v4, v0, v5, -v4
	v_add_f32_e32 v4, 0x29acda32, v4
	s_delay_alu instid0(VALU_DEP_1) | instskip(NEXT) | instid1(VALU_DEP_1)
	v_fma_f32 v5, v0, v4, -v5
	;; [unrolled: 3-line block ×25, first 2 shown]
	v_add_f32_e32 v0, 0x3f2d4275, v0
	s_delay_alu instid0(VALU_DEP_1) | instskip(NEXT) | instid1(VALU_DEP_1)
	v_sub_f32_e32 v0, v0, v4
	v_mul_f32_e32 v0, 0.5, v0
	s_delay_alu instid0(VALU_DEP_1)
	v_mul_f32_e32 v0, v1, v0
                                        ; implicit-def: $vgpr1
.LBB17_1175:
	s_and_not1_saveexec_b32 s12, s0
	s_cbranch_execz .LBB17_1177
; %bb.1176:
	v_and_b32_e32 v0, 0x7fffffff, v3
	v_fma_f32 v9, 0x3fb8aa3b, |v3|, -v1
	s_mov_b32 s0, 0xa3056dbb
	s_delay_alu instid0(VALU_DEP_2) | instskip(SKIP_1) | instid1(VALU_DEP_3)
	v_div_scale_f32 v4, null, v0, v0, 0x42000000
	v_div_scale_f32 v0, vcc_lo, 0x42000000, v0, 0x42000000
	v_fma_f32 v9, 0x32a5705f, |v3|, v9
	s_delay_alu instid0(VALU_DEP_3) | instskip(SKIP_1) | instid1(TRANS32_DEP_1)
	v_rcp_f32_e32 v5, v4
	v_nop
	v_fma_f32 v6, -v4, v5, 1.0
	s_delay_alu instid0(VALU_DEP_1) | instskip(NEXT) | instid1(VALU_DEP_1)
	v_fmac_f32_e32 v5, v6, v5
	v_mul_f32_e32 v6, v0, v5
	s_delay_alu instid0(VALU_DEP_1) | instskip(NEXT) | instid1(VALU_DEP_1)
	v_fma_f32 v7, -v4, v6, v0
	v_fmac_f32_e32 v6, v7, v5
	v_rndne_f32_e32 v7, v1
	s_delay_alu instid0(VALU_DEP_1) | instskip(SKIP_1) | instid1(VALU_DEP_2)
	v_dual_fma_f32 v0, -v4, v6, v0 :: v_dual_sub_f32 v1, v1, v7
	v_cvt_i32_f32_e32 v7, v7
	v_div_fmas_f32 v0, v0, v5, v6
	v_mul_f32_e64 v6, 0x4f800000, |v3|
	v_cmp_gt_f32_e64 vcc_lo, 0xf800000, |v3|
	v_add_f32_e32 v1, v1, v9
	s_delay_alu instid0(VALU_DEP_4) | instskip(NEXT) | instid1(VALU_DEP_3)
	v_div_fixup_f32 v0, v0, |v3|, 0x42000000
	v_cndmask_b32_e64 v6, |v3|, v6, vcc_lo
	s_delay_alu instid0(VALU_DEP_3) | instskip(NEXT) | instid1(VALU_DEP_2)
	v_exp_f32_e32 v1, v1
	v_add_f32_e32 v0, -2.0, v0
	s_delay_alu instid0(VALU_DEP_2) | instskip(NEXT) | instid1(TRANS32_DEP_2)
	v_sqrt_f32_e32 v10, v6
	v_ldexp_f32 v1, v1, v7
	s_delay_alu instid0(TRANS32_DEP_1) | instskip(SKIP_1) | instid1(VALU_DEP_2)
	v_dual_fmaak_f32 v4, s0, v0, 0xa2b236d3 :: v_dual_add_nc_u32 v11, -1, v10
	v_add_nc_u32_e32 v9, 1, v10
	v_fmaak_f32 v5, v0, v4, 0x23056dbb
	s_delay_alu instid0(VALU_DEP_2) | instskip(NEXT) | instid1(VALU_DEP_2)
	v_dual_fma_f32 v12, -v11, v10, v6 :: v_dual_fma_f32 v13, -v9, v10, v6
	v_add_f32_e32 v5, 0x244df0c1, v5
	s_delay_alu instid0(VALU_DEP_2) | instskip(NEXT) | instid1(VALU_DEP_1)
	v_cmp_ge_f32_e64 s0, 0, v12
	v_dual_fma_f32 v4, v0, v5, -v4 :: v_dual_cndmask_b32 v10, v10, v11, s0
	s_delay_alu instid0(VALU_DEP_4) | instskip(NEXT) | instid1(VALU_DEP_2)
	v_cmp_lt_f32_e64 s0, 0, v13
	v_add_f32_e32 v4, 0x241f9ee8, v4
	s_delay_alu instid0(VALU_DEP_1) | instskip(NEXT) | instid1(VALU_DEP_1)
	v_fma_f32 v5, v0, v4, -v5
	v_add_f32_e32 v5, 0xa5a3005d, v5
	s_delay_alu instid0(VALU_DEP_1) | instskip(NEXT) | instid1(VALU_DEP_1)
	v_fma_f32 v4, v0, v5, -v4
	;; [unrolled: 3-line block ×20, first 2 shown]
	v_add_f32_e32 v4, 0x3b5ccc65, v4
	s_delay_alu instid0(VALU_DEP_1) | instskip(SKIP_1) | instid1(VALU_DEP_2)
	v_dual_fma_f32 v0, v0, v4, -v5 :: v_dual_cndmask_b32 v4, v10, v9, s0
	v_cmp_ngt_f32_e64 s0, 0xc2ce8ed0, |v3|
	v_mul_f32_e32 v7, 0x37800000, v4
	s_delay_alu instid0(VALU_DEP_3) | instskip(NEXT) | instid1(VALU_DEP_3)
	v_add_f32_e32 v0, 0x3f4df315, v0
	v_cndmask_b32_e64 v1, 0, v1, s0
	v_cmp_nlt_f32_e64 s0, 0x42b17218, |v3|
	s_delay_alu instid0(VALU_DEP_4) | instskip(NEXT) | instid1(VALU_DEP_4)
	v_cndmask_b32_e32 v3, v4, v7, vcc_lo
	v_sub_f32_e32 v0, v0, v5
	v_cmp_class_f32_e64 vcc_lo, v6, 0x260
	s_delay_alu instid0(VALU_DEP_4) | instskip(NEXT) | instid1(VALU_DEP_3)
	v_cndmask_b32_e64 v1, 0x7f800000, v1, s0
	v_dual_mul_f32 v0, 0.5, v0 :: v_dual_cndmask_b32 v3, v3, v6
	s_delay_alu instid0(VALU_DEP_1) | instskip(NEXT) | instid1(VALU_DEP_1)
	v_mul_f32_e32 v0, v1, v0
	v_div_scale_f32 v1, null, v3, v3, v0
	s_delay_alu instid0(VALU_DEP_1) | instskip(SKIP_1) | instid1(TRANS32_DEP_1)
	v_rcp_f32_e32 v4, v1
	v_nop
	v_fma_f32 v5, -v1, v4, 1.0
	s_delay_alu instid0(VALU_DEP_1) | instskip(SKIP_1) | instid1(VALU_DEP_1)
	v_fmac_f32_e32 v4, v5, v4
	v_div_scale_f32 v5, vcc_lo, v0, v3, v0
	v_mul_f32_e32 v6, v5, v4
	s_delay_alu instid0(VALU_DEP_1) | instskip(NEXT) | instid1(VALU_DEP_1)
	v_fma_f32 v7, -v1, v6, v5
	v_fmac_f32_e32 v6, v7, v4
	s_delay_alu instid0(VALU_DEP_1) | instskip(NEXT) | instid1(VALU_DEP_1)
	v_fma_f32 v1, -v1, v6, v5
	v_div_fmas_f32 v1, v1, v4, v6
	s_delay_alu instid0(VALU_DEP_1)
	v_div_fixup_f32 v0, v1, v3, v0
.LBB17_1177:
	s_or_b32 exec_lo, exec_lo, s12
	s_lshl_b32 s3, s3, 7
	s_cmp_lt_i32 s9, 11
	v_add_nc_u32_e32 v4, s3, v2
	s_delay_alu instid0(VALU_DEP_1) | instskip(NEXT) | instid1(VALU_DEP_1)
	v_ashrrev_i32_e32 v5, 31, v4
	v_add_nc_u64_e32 v[2:3], s[6:7], v[4:5]
	s_cbranch_scc1 .LBB17_1184
; %bb.1178:
	s_cmp_gt_i32 s9, 25
	s_mov_b32 s12, 0
	s_cbranch_scc0 .LBB17_1186
; %bb.1179:
	s_cmp_gt_i32 s9, 28
	s_cbranch_scc0 .LBB17_1187
; %bb.1180:
	s_cmp_gt_i32 s9, 43
	;; [unrolled: 3-line block ×3, first 2 shown]
	s_cbranch_scc0 .LBB17_1190
; %bb.1182:
	s_cmp_eq_u32 s9, 46
	s_mov_b32 s14, 0
	s_cbranch_scc0 .LBB17_1193
; %bb.1183:
	global_load_b32 v1, v[2:3], off
	s_mov_b32 s0, 0
	s_mov_b32 s13, -1
	s_wait_loadcnt 0x0
	v_lshlrev_b32_e32 v1, 16, v1
	s_branch .LBB17_1195
.LBB17_1184:
	s_mov_b32 s13, 0
                                        ; implicit-def: $vgpr1
	s_cbranch_execnz .LBB17_1260
.LBB17_1185:
	s_and_not1_b32 vcc_lo, exec_lo, s13
	s_cbranch_vccnz .LBB17_1658
	s_branch .LBB17_1307
.LBB17_1186:
	s_mov_b32 s13, 0
	s_mov_b32 s0, 0
                                        ; implicit-def: $vgpr1
	s_cbranch_execnz .LBB17_1224
	s_branch .LBB17_1256
.LBB17_1187:
	s_mov_b32 s14, -1
	s_mov_b32 s13, 0
	s_mov_b32 s0, 0
                                        ; implicit-def: $vgpr1
	s_branch .LBB17_1205
.LBB17_1188:
	s_mov_b32 s14, -1
	s_mov_b32 s13, 0
	s_mov_b32 s0, 0
                                        ; implicit-def: $vgpr1
	s_branch .LBB17_1200
.LBB17_1189:
	s_or_b32 s1, s11, exec_lo
	s_trap 2
	s_cbranch_execz .LBB17_1126
	s_branch .LBB17_1127
.LBB17_1190:
	s_mov_b32 s14, -1
	s_mov_b32 s13, 0
	s_mov_b32 s0, 0
	s_branch .LBB17_1194
.LBB17_1191:
	s_and_not1_saveexec_b32 s19, s19
	s_cbranch_execz .LBB17_972
.LBB17_1192:
	v_add_f32_e64 v1, 0x42800000, |v0|
	s_and_not1_b32 s18, s18, exec_lo
	s_delay_alu instid0(VALU_DEP_1) | instskip(NEXT) | instid1(VALU_DEP_1)
	v_and_b32_e32 v1, 0xff, v1
	v_cmp_ne_u32_e32 vcc_lo, 0, v1
	s_and_b32 s20, vcc_lo, exec_lo
	s_delay_alu instid0(SALU_CYCLE_1)
	s_or_b32 s18, s18, s20
	s_or_b32 exec_lo, exec_lo, s19
	v_mov_b32_e32 v4, 0
	s_and_saveexec_b32 s19, s18
	s_cbranch_execnz .LBB17_973
	s_branch .LBB17_974
.LBB17_1193:
	s_mov_b32 s0, -1
	s_mov_b32 s13, 0
.LBB17_1194:
                                        ; implicit-def: $vgpr1
.LBB17_1195:
	s_and_b32 vcc_lo, exec_lo, s14
	s_cbranch_vccz .LBB17_1199
; %bb.1196:
	s_cmp_eq_u32 s9, 44
	s_cbranch_scc0 .LBB17_1198
; %bb.1197:
	global_load_u8 v1, v[2:3], off
	s_mov_b32 s0, 0
	s_mov_b32 s13, -1
	s_wait_loadcnt 0x0
	v_lshlrev_b32_e32 v5, 23, v1
	v_cmp_ne_u32_e32 vcc_lo, 0xff, v1
	s_delay_alu instid0(VALU_DEP_2) | instskip(SKIP_1) | instid1(VALU_DEP_2)
	v_cndmask_b32_e32 v5, 0x7f800001, v5, vcc_lo
	v_cmp_ne_u32_e32 vcc_lo, 0, v1
	v_cndmask_b32_e32 v1, 0x400000, v5, vcc_lo
	s_branch .LBB17_1199
.LBB17_1198:
	s_mov_b32 s0, -1
                                        ; implicit-def: $vgpr1
.LBB17_1199:
	s_mov_b32 s14, 0
.LBB17_1200:
	s_delay_alu instid0(SALU_CYCLE_1)
	s_and_b32 vcc_lo, exec_lo, s14
	s_cbranch_vccz .LBB17_1204
; %bb.1201:
	s_cmp_eq_u32 s9, 29
	s_cbranch_scc0 .LBB17_1203
; %bb.1202:
	global_load_b64 v[6:7], v[2:3], off
	s_mov_b32 s0, 0
	s_mov_b32 s13, -1
	s_mov_b32 s14, 0
	s_wait_loadcnt 0x0
	v_clz_i32_u32_e32 v1, v7
	s_delay_alu instid0(VALU_DEP_1) | instskip(NEXT) | instid1(VALU_DEP_1)
	v_min_u32_e32 v1, 32, v1
	v_lshlrev_b64_e32 v[6:7], v1, v[6:7]
	v_sub_nc_u32_e32 v1, 32, v1
	s_delay_alu instid0(VALU_DEP_2) | instskip(NEXT) | instid1(VALU_DEP_1)
	v_min_u32_e32 v5, 1, v6
	v_or_b32_e32 v5, v7, v5
	s_delay_alu instid0(VALU_DEP_1) | instskip(NEXT) | instid1(VALU_DEP_1)
	v_cvt_f32_u32_e32 v5, v5
	v_ldexp_f32 v1, v5, v1
	s_branch .LBB17_1205
.LBB17_1203:
	s_mov_b32 s0, -1
                                        ; implicit-def: $vgpr1
.LBB17_1204:
	s_mov_b32 s14, 0
.LBB17_1205:
	s_delay_alu instid0(SALU_CYCLE_1)
	s_and_b32 vcc_lo, exec_lo, s14
	s_cbranch_vccz .LBB17_1223
; %bb.1206:
	s_cmp_lt_i32 s9, 27
	s_cbranch_scc1 .LBB17_1209
; %bb.1207:
	s_cmp_gt_i32 s9, 27
	s_cbranch_scc0 .LBB17_1210
; %bb.1208:
	global_load_b32 v1, v[2:3], off
	s_mov_b32 s13, 0
	s_wait_loadcnt 0x0
	v_cvt_f32_u32_e32 v1, v1
	s_branch .LBB17_1211
.LBB17_1209:
	s_mov_b32 s13, -1
                                        ; implicit-def: $vgpr1
	s_branch .LBB17_1214
.LBB17_1210:
	s_mov_b32 s13, -1
                                        ; implicit-def: $vgpr1
.LBB17_1211:
	s_delay_alu instid0(SALU_CYCLE_1)
	s_and_not1_b32 vcc_lo, exec_lo, s13
	s_cbranch_vccnz .LBB17_1213
; %bb.1212:
	global_load_u16 v1, v[2:3], off
	s_wait_loadcnt 0x0
	v_cvt_f32_u32_e32 v1, v1
.LBB17_1213:
	s_mov_b32 s13, 0
.LBB17_1214:
	s_delay_alu instid0(SALU_CYCLE_1)
	s_and_not1_b32 vcc_lo, exec_lo, s13
	s_cbranch_vccnz .LBB17_1222
; %bb.1215:
	global_load_u8 v5, v[2:3], off
	s_mov_b32 s13, 0
	s_mov_b32 s14, exec_lo
	s_wait_loadcnt 0x0
	v_cmpx_lt_i16_e32 0x7f, v5
	s_xor_b32 s14, exec_lo, s14
	s_cbranch_execz .LBB17_1235
; %bb.1216:
	s_mov_b32 s13, -1
	s_mov_b32 s15, exec_lo
	v_cmpx_eq_u16_e32 0x80, v5
; %bb.1217:
	s_xor_b32 s13, exec_lo, -1
; %bb.1218:
	s_or_b32 exec_lo, exec_lo, s15
	s_delay_alu instid0(SALU_CYCLE_1)
	s_and_b32 s13, s13, exec_lo
	s_or_saveexec_b32 s14, s14
	v_mov_b32_e32 v1, 0x7f800001
	s_xor_b32 exec_lo, exec_lo, s14
	s_cbranch_execnz .LBB17_1236
.LBB17_1219:
	s_or_b32 exec_lo, exec_lo, s14
	s_and_saveexec_b32 s14, s13
	s_cbranch_execz .LBB17_1221
.LBB17_1220:
	v_and_b32_e32 v1, 0xffff, v5
	s_delay_alu instid0(VALU_DEP_1) | instskip(SKIP_1) | instid1(VALU_DEP_2)
	v_and_b32_e32 v6, 7, v1
	v_bfe_u32 v10, v1, 3, 4
	v_clz_i32_u32_e32 v7, v6
	s_delay_alu instid0(VALU_DEP_2) | instskip(NEXT) | instid1(VALU_DEP_2)
	v_cmp_eq_u32_e32 vcc_lo, 0, v10
	v_min_u32_e32 v7, 32, v7
	s_delay_alu instid0(VALU_DEP_1) | instskip(NEXT) | instid1(VALU_DEP_1)
	v_subrev_nc_u32_e32 v9, 28, v7
	v_dual_lshlrev_b32 v1, v9, v1 :: v_dual_sub_nc_u32 v7, 29, v7
	s_delay_alu instid0(VALU_DEP_1) | instskip(NEXT) | instid1(VALU_DEP_2)
	v_and_b32_e32 v1, 7, v1
	v_dual_lshlrev_b32 v5, 24, v5 :: v_dual_cndmask_b32 v7, v10, v7, vcc_lo
	s_delay_alu instid0(VALU_DEP_2) | instskip(NEXT) | instid1(VALU_DEP_2)
	v_cndmask_b32_e32 v1, v6, v1, vcc_lo
	v_and_b32_e32 v5, 0x80000000, v5
	s_delay_alu instid0(VALU_DEP_3) | instskip(NEXT) | instid1(VALU_DEP_3)
	v_lshl_add_u32 v6, v7, 23, 0x3b800000
	v_lshlrev_b32_e32 v1, 20, v1
	s_delay_alu instid0(VALU_DEP_1)
	v_or3_b32 v1, v5, v6, v1
.LBB17_1221:
	s_or_b32 exec_lo, exec_lo, s14
.LBB17_1222:
	s_mov_b32 s13, -1
.LBB17_1223:
	s_branch .LBB17_1256
.LBB17_1224:
	s_cmp_gt_i32 s9, 22
	s_cbranch_scc0 .LBB17_1234
; %bb.1225:
	s_cmp_lt_i32 s9, 24
	s_cbranch_scc1 .LBB17_1237
; %bb.1226:
	s_cmp_gt_i32 s9, 24
	s_cbranch_scc0 .LBB17_1238
; %bb.1227:
	global_load_u8 v5, v[2:3], off
	s_mov_b32 s13, exec_lo
	s_wait_loadcnt 0x0
	v_cmpx_lt_i16_e32 0x7f, v5
	s_xor_b32 s13, exec_lo, s13
	s_cbranch_execz .LBB17_1250
; %bb.1228:
	s_mov_b32 s12, -1
	s_mov_b32 s14, exec_lo
	v_cmpx_eq_u16_e32 0x80, v5
; %bb.1229:
	s_xor_b32 s12, exec_lo, -1
; %bb.1230:
	s_or_b32 exec_lo, exec_lo, s14
	s_delay_alu instid0(SALU_CYCLE_1)
	s_and_b32 s12, s12, exec_lo
	s_or_saveexec_b32 s13, s13
	v_mov_b32_e32 v1, 0x7f800001
	s_xor_b32 exec_lo, exec_lo, s13
	s_cbranch_execnz .LBB17_1251
.LBB17_1231:
	s_or_b32 exec_lo, exec_lo, s13
	s_and_saveexec_b32 s13, s12
	s_cbranch_execz .LBB17_1233
.LBB17_1232:
	v_and_b32_e32 v1, 0xffff, v5
	s_delay_alu instid0(VALU_DEP_1) | instskip(SKIP_1) | instid1(VALU_DEP_2)
	v_and_b32_e32 v6, 3, v1
	v_bfe_u32 v10, v1, 2, 5
	v_clz_i32_u32_e32 v7, v6
	s_delay_alu instid0(VALU_DEP_2) | instskip(NEXT) | instid1(VALU_DEP_2)
	v_cmp_eq_u32_e32 vcc_lo, 0, v10
	v_min_u32_e32 v7, 32, v7
	s_delay_alu instid0(VALU_DEP_1) | instskip(NEXT) | instid1(VALU_DEP_1)
	v_subrev_nc_u32_e32 v9, 29, v7
	v_dual_lshlrev_b32 v1, v9, v1 :: v_dual_sub_nc_u32 v7, 30, v7
	s_delay_alu instid0(VALU_DEP_1) | instskip(NEXT) | instid1(VALU_DEP_2)
	v_and_b32_e32 v1, 3, v1
	v_dual_lshlrev_b32 v5, 24, v5 :: v_dual_cndmask_b32 v7, v10, v7, vcc_lo
	s_delay_alu instid0(VALU_DEP_2) | instskip(NEXT) | instid1(VALU_DEP_2)
	v_cndmask_b32_e32 v1, v6, v1, vcc_lo
	v_and_b32_e32 v5, 0x80000000, v5
	s_delay_alu instid0(VALU_DEP_3) | instskip(NEXT) | instid1(VALU_DEP_3)
	v_lshl_add_u32 v6, v7, 23, 0x37800000
	v_lshlrev_b32_e32 v1, 21, v1
	s_delay_alu instid0(VALU_DEP_1)
	v_or3_b32 v1, v5, v6, v1
.LBB17_1233:
	s_or_b32 exec_lo, exec_lo, s13
	s_mov_b32 s12, 0
	s_branch .LBB17_1239
.LBB17_1234:
	s_mov_b32 s12, -1
                                        ; implicit-def: $vgpr1
	s_branch .LBB17_1245
.LBB17_1235:
	s_or_saveexec_b32 s14, s14
	v_mov_b32_e32 v1, 0x7f800001
	s_xor_b32 exec_lo, exec_lo, s14
	s_cbranch_execz .LBB17_1219
.LBB17_1236:
	v_cmp_ne_u16_e32 vcc_lo, 0, v5
	v_mov_b32_e32 v1, 0
	s_and_not1_b32 s13, s13, exec_lo
	s_and_b32 s15, vcc_lo, exec_lo
	s_delay_alu instid0(SALU_CYCLE_1)
	s_or_b32 s13, s13, s15
	s_or_b32 exec_lo, exec_lo, s14
	s_and_saveexec_b32 s14, s13
	s_cbranch_execnz .LBB17_1220
	s_branch .LBB17_1221
.LBB17_1237:
	s_mov_b32 s12, -1
                                        ; implicit-def: $vgpr1
	s_branch .LBB17_1242
.LBB17_1238:
	s_mov_b32 s12, -1
                                        ; implicit-def: $vgpr1
.LBB17_1239:
	s_delay_alu instid0(SALU_CYCLE_1)
	s_and_b32 vcc_lo, exec_lo, s12
	s_cbranch_vccz .LBB17_1241
; %bb.1240:
	global_load_u8 v1, v[2:3], off
	s_wait_loadcnt 0x0
	v_lshlrev_b32_e32 v1, 24, v1
	s_delay_alu instid0(VALU_DEP_1) | instskip(NEXT) | instid1(VALU_DEP_1)
	v_and_b32_e32 v5, 0x7f000000, v1
	v_clz_i32_u32_e32 v6, v5
	v_add_nc_u32_e32 v9, 0x1000000, v5
	v_cmp_ne_u32_e32 vcc_lo, 0, v5
	s_delay_alu instid0(VALU_DEP_3) | instskip(NEXT) | instid1(VALU_DEP_1)
	v_min_u32_e32 v6, 32, v6
	v_sub_nc_u32_e64 v6, v6, 4 clamp
	s_delay_alu instid0(VALU_DEP_1) | instskip(NEXT) | instid1(VALU_DEP_1)
	v_dual_lshlrev_b32 v7, v6, v5 :: v_dual_lshlrev_b32 v6, 23, v6
	v_lshrrev_b32_e32 v7, 4, v7
	s_delay_alu instid0(VALU_DEP_1) | instskip(NEXT) | instid1(VALU_DEP_1)
	v_dual_sub_nc_u32 v6, v7, v6 :: v_dual_ashrrev_i32 v7, 8, v9
	v_add_nc_u32_e32 v6, 0x3c000000, v6
	s_delay_alu instid0(VALU_DEP_1) | instskip(NEXT) | instid1(VALU_DEP_1)
	v_and_or_b32 v6, 0x7f800000, v7, v6
	v_cndmask_b32_e32 v5, 0, v6, vcc_lo
	s_delay_alu instid0(VALU_DEP_1)
	v_and_or_b32 v1, 0x80000000, v1, v5
.LBB17_1241:
	s_mov_b32 s12, 0
.LBB17_1242:
	s_delay_alu instid0(SALU_CYCLE_1)
	s_and_not1_b32 vcc_lo, exec_lo, s12
	s_cbranch_vccnz .LBB17_1244
; %bb.1243:
	global_load_u8 v1, v[2:3], off
	s_wait_loadcnt 0x0
	v_lshlrev_b32_e32 v5, 25, v1
	v_lshlrev_b16 v1, 8, v1
	s_delay_alu instid0(VALU_DEP_1) | instskip(SKIP_1) | instid1(VALU_DEP_2)
	v_and_or_b32 v7, 0x7f00, v1, 0.5
	v_bfe_i32 v1, v1, 0, 16
	v_dual_add_f32 v7, -0.5, v7 :: v_dual_lshrrev_b32 v6, 4, v5
	v_cmp_gt_u32_e32 vcc_lo, 0x8000000, v5
	s_delay_alu instid0(VALU_DEP_2) | instskip(NEXT) | instid1(VALU_DEP_1)
	v_or_b32_e32 v6, 0x70000000, v6
	v_mul_f32_e32 v6, 0x7800000, v6
	s_delay_alu instid0(VALU_DEP_1) | instskip(NEXT) | instid1(VALU_DEP_1)
	v_cndmask_b32_e32 v5, v6, v7, vcc_lo
	v_and_or_b32 v1, 0x80000000, v1, v5
.LBB17_1244:
	s_mov_b32 s12, 0
	s_mov_b32 s13, -1
.LBB17_1245:
	s_and_not1_b32 vcc_lo, exec_lo, s12
	s_mov_b32 s12, 0
	s_cbranch_vccnz .LBB17_1256
; %bb.1246:
	s_cmp_gt_i32 s9, 14
	s_cbranch_scc0 .LBB17_1249
; %bb.1247:
	s_cmp_eq_u32 s9, 15
	s_cbranch_scc0 .LBB17_1252
; %bb.1248:
	global_load_u16 v1, v[2:3], off
	s_mov_b32 s0, 0
	s_mov_b32 s13, -1
	s_wait_loadcnt 0x0
	v_lshlrev_b32_e32 v1, 16, v1
	s_branch .LBB17_1254
.LBB17_1249:
	s_mov_b32 s12, -1
	s_branch .LBB17_1253
.LBB17_1250:
	s_or_saveexec_b32 s13, s13
	v_mov_b32_e32 v1, 0x7f800001
	s_xor_b32 exec_lo, exec_lo, s13
	s_cbranch_execz .LBB17_1231
.LBB17_1251:
	v_cmp_ne_u16_e32 vcc_lo, 0, v5
	v_mov_b32_e32 v1, 0
	s_and_not1_b32 s12, s12, exec_lo
	s_and_b32 s14, vcc_lo, exec_lo
	s_delay_alu instid0(SALU_CYCLE_1)
	s_or_b32 s12, s12, s14
	s_or_b32 exec_lo, exec_lo, s13
	s_and_saveexec_b32 s13, s12
	s_cbranch_execnz .LBB17_1232
	s_branch .LBB17_1233
.LBB17_1252:
	s_mov_b32 s0, -1
.LBB17_1253:
                                        ; implicit-def: $vgpr1
.LBB17_1254:
	s_and_b32 vcc_lo, exec_lo, s12
	s_mov_b32 s12, 0
	s_cbranch_vccz .LBB17_1256
; %bb.1255:
	s_cmp_lg_u32 s9, 11
	s_mov_b32 s12, -1
	s_cselect_b32 s0, -1, 0
.LBB17_1256:
	s_delay_alu instid0(SALU_CYCLE_1)
	s_and_b32 vcc_lo, exec_lo, s0
	s_cbranch_vccnz .LBB17_1323
; %bb.1257:
	s_and_not1_b32 vcc_lo, exec_lo, s12
	s_cbranch_vccnz .LBB17_1259
.LBB17_1258:
	global_load_u8 v1, v[2:3], off
	s_mov_b32 s13, -1
	s_wait_loadcnt 0x0
	v_cmp_ne_u16_e32 vcc_lo, 0, v1
	v_cndmask_b32_e64 v1, 0, 1.0, vcc_lo
.LBB17_1259:
	s_branch .LBB17_1185
.LBB17_1260:
	s_cmp_lt_i32 s9, 5
	s_cbranch_scc1 .LBB17_1265
; %bb.1261:
	s_cmp_lt_i32 s9, 8
	s_cbranch_scc1 .LBB17_1266
; %bb.1262:
	;; [unrolled: 3-line block ×3, first 2 shown]
	s_cmp_gt_i32 s9, 9
	s_cbranch_scc0 .LBB17_1268
; %bb.1264:
	global_load_b64 v[6:7], v[2:3], off
	s_mov_b32 s0, 0
	s_wait_loadcnt 0x0
	v_cvt_f32_f64_e32 v1, v[6:7]
	s_branch .LBB17_1269
.LBB17_1265:
                                        ; implicit-def: $vgpr1
	s_branch .LBB17_1287
.LBB17_1266:
	s_mov_b32 s0, -1
                                        ; implicit-def: $vgpr1
	s_branch .LBB17_1275
.LBB17_1267:
	s_mov_b32 s0, -1
                                        ; implicit-def: $vgpr1
	s_branch .LBB17_1272
.LBB17_1268:
	s_mov_b32 s0, -1
                                        ; implicit-def: $vgpr1
.LBB17_1269:
	s_delay_alu instid0(SALU_CYCLE_1)
	s_and_not1_b32 vcc_lo, exec_lo, s0
	s_cbranch_vccnz .LBB17_1271
; %bb.1270:
	global_load_b32 v1, v[2:3], off
.LBB17_1271:
	s_mov_b32 s0, 0
.LBB17_1272:
	s_delay_alu instid0(SALU_CYCLE_1)
	s_and_not1_b32 vcc_lo, exec_lo, s0
	s_cbranch_vccnz .LBB17_1274
; %bb.1273:
	s_wait_loadcnt 0x0
	global_load_b32 v1, v[2:3], off
	s_wait_loadcnt 0x0
	v_cvt_f32_f16_e32 v1, v1
.LBB17_1274:
	s_mov_b32 s0, 0
.LBB17_1275:
	s_delay_alu instid0(SALU_CYCLE_1)
	s_and_not1_b32 vcc_lo, exec_lo, s0
	s_cbranch_vccnz .LBB17_1286
; %bb.1276:
	s_cmp_lt_i32 s9, 6
	s_cbranch_scc1 .LBB17_1279
; %bb.1277:
	s_cmp_gt_i32 s9, 6
	s_cbranch_scc0 .LBB17_1280
; %bb.1278:
	global_load_b64 v[6:7], v[2:3], off
	s_mov_b32 s0, 0
	s_wait_loadcnt 0x0
	v_cvt_f32_f64_e32 v1, v[6:7]
	s_branch .LBB17_1281
.LBB17_1279:
	s_mov_b32 s0, -1
                                        ; implicit-def: $vgpr1
	s_branch .LBB17_1284
.LBB17_1280:
	s_mov_b32 s0, -1
                                        ; implicit-def: $vgpr1
.LBB17_1281:
	s_delay_alu instid0(SALU_CYCLE_1)
	s_and_not1_b32 vcc_lo, exec_lo, s0
	s_cbranch_vccnz .LBB17_1283
; %bb.1282:
	s_wait_loadcnt 0x0
	global_load_b32 v1, v[2:3], off
.LBB17_1283:
	s_mov_b32 s0, 0
.LBB17_1284:
	s_delay_alu instid0(SALU_CYCLE_1)
	s_and_not1_b32 vcc_lo, exec_lo, s0
	s_cbranch_vccnz .LBB17_1286
; %bb.1285:
	s_wait_loadcnt 0x0
	global_load_u16 v1, v[2:3], off
	s_wait_loadcnt 0x0
	v_cvt_f32_f16_e32 v1, v1
.LBB17_1286:
	s_cbranch_execnz .LBB17_1306
.LBB17_1287:
	s_cmp_lt_i32 s9, 2
	s_cbranch_scc1 .LBB17_1291
; %bb.1288:
	s_cmp_lt_i32 s9, 3
	s_cbranch_scc1 .LBB17_1292
; %bb.1289:
	s_cmp_gt_i32 s9, 3
	s_cbranch_scc0 .LBB17_1293
; %bb.1290:
	global_load_b64 v[6:7], v[2:3], off
	s_mov_b32 s0, 0
	s_wait_loadcnt 0x0
	v_xor_b32_e32 v1, v6, v7
	v_cls_i32_e32 v5, v7
	s_delay_alu instid0(VALU_DEP_2) | instskip(NEXT) | instid1(VALU_DEP_1)
	v_ashrrev_i32_e32 v1, 31, v1
	v_add_nc_u32_e32 v1, 32, v1
	s_delay_alu instid0(VALU_DEP_1) | instskip(NEXT) | instid1(VALU_DEP_1)
	v_add_min_u32_e64 v1, v5, -1, v1
	v_lshlrev_b64_e32 v[6:7], v1, v[6:7]
	v_sub_nc_u32_e32 v1, 32, v1
	s_delay_alu instid0(VALU_DEP_2) | instskip(NEXT) | instid1(VALU_DEP_1)
	v_min_u32_e32 v5, 1, v6
	v_or_b32_e32 v5, v7, v5
	s_delay_alu instid0(VALU_DEP_1) | instskip(NEXT) | instid1(VALU_DEP_1)
	v_cvt_f32_i32_e32 v5, v5
	v_ldexp_f32 v1, v5, v1
	s_branch .LBB17_1294
.LBB17_1291:
	s_mov_b32 s0, -1
                                        ; implicit-def: $vgpr1
	s_branch .LBB17_1300
.LBB17_1292:
	s_mov_b32 s0, -1
                                        ; implicit-def: $vgpr1
	s_branch .LBB17_1297
.LBB17_1293:
	s_mov_b32 s0, -1
                                        ; implicit-def: $vgpr1
.LBB17_1294:
	s_delay_alu instid0(SALU_CYCLE_1)
	s_and_not1_b32 vcc_lo, exec_lo, s0
	s_cbranch_vccnz .LBB17_1296
; %bb.1295:
	s_wait_loadcnt 0x0
	global_load_b32 v1, v[2:3], off
	s_wait_loadcnt 0x0
	v_cvt_f32_i32_e32 v1, v1
.LBB17_1296:
	s_mov_b32 s0, 0
.LBB17_1297:
	s_delay_alu instid0(SALU_CYCLE_1)
	s_and_not1_b32 vcc_lo, exec_lo, s0
	s_cbranch_vccnz .LBB17_1299
; %bb.1298:
	s_wait_loadcnt 0x0
	global_load_i16 v1, v[2:3], off
	s_wait_loadcnt 0x0
	v_cvt_f32_i32_e32 v1, v1
.LBB17_1299:
	s_mov_b32 s0, 0
.LBB17_1300:
	s_delay_alu instid0(SALU_CYCLE_1)
	s_and_not1_b32 vcc_lo, exec_lo, s0
	s_cbranch_vccnz .LBB17_1306
; %bb.1301:
	s_cmp_gt_i32 s9, 0
	s_mov_b32 s0, 0
	s_cbranch_scc0 .LBB17_1303
; %bb.1302:
	s_wait_loadcnt 0x0
	global_load_i8 v1, v[2:3], off
	s_wait_loadcnt 0x0
	v_cvt_f32_i32_e32 v1, v1
	s_branch .LBB17_1304
.LBB17_1303:
	s_mov_b32 s0, -1
                                        ; implicit-def: $vgpr1
.LBB17_1304:
	s_delay_alu instid0(SALU_CYCLE_1)
	s_and_not1_b32 vcc_lo, exec_lo, s0
	s_cbranch_vccnz .LBB17_1306
; %bb.1305:
	s_wait_loadcnt 0x0
	global_load_u8 v1, v[2:3], off
	s_wait_loadcnt 0x0
	v_cvt_f32_ubyte0_e32 v1, v1
.LBB17_1306:
.LBB17_1307:
	s_wait_loadcnt 0x0
	s_delay_alu instid0(VALU_DEP_1) | instskip(SKIP_3) | instid1(SALU_CYCLE_1)
	v_cmp_ge_f32_e64 s0, 0x41000000, |v1|
	s_wait_xcnt 0x0
	v_mul_f32_e64 v3, 0x3fb8aa3b, |v1|
                                        ; implicit-def: $vgpr2
	s_and_saveexec_b32 s12, s0
	s_xor_b32 s0, exec_lo, s12
	s_cbranch_execz .LBB17_1309
; %bb.1308:
	v_fma_f32 v2, |v1|, 0.5, -2.0
	s_mov_b32 s12, 0xa2a2e5b9
	v_rndne_f32_e32 v7, v3
	v_fma_f32 v9, 0x3fb8aa3b, |v1|, -v3
	v_cmp_ngt_f32_e64 vcc_lo, 0xc2ce8ed0, |v1|
	v_fmaak_f32 v5, s12, v2, 0x24199b15
	s_delay_alu instid0(VALU_DEP_4) | instskip(NEXT) | instid1(VALU_DEP_4)
	v_sub_f32_e32 v3, v3, v7
	v_fma_f32 v9, 0x32a5705f, |v1|, v9
	v_cvt_i32_f32_e32 v7, v7
	s_delay_alu instid0(VALU_DEP_4) | instskip(NEXT) | instid1(VALU_DEP_1)
	v_fmaak_f32 v6, v2, v5, 0x22a2e5b9
	v_dual_add_f32 v3, v3, v9 :: v_dual_add_f32 v6, 0xa58c275c, v6
	s_delay_alu instid0(VALU_DEP_1) | instskip(SKIP_1) | instid1(TRANS32_DEP_1)
	v_exp_f32_e32 v3, v3
	v_nop
	v_ldexp_f32 v3, v3, v7
	s_delay_alu instid0(VALU_DEP_1) | instskip(SKIP_1) | instid1(VALU_DEP_2)
	v_dual_fma_f32 v5, v2, v6, -v5 :: v_dual_cndmask_b32 v3, 0, v3, vcc_lo
	v_cmp_nlt_f32_e64 vcc_lo, 0x42b17218, |v1|
	v_cndmask_b32_e32 v1, 0x7f800000, v3, vcc_lo
	s_delay_alu instid0(VALU_DEP_3) | instskip(NEXT) | instid1(VALU_DEP_1)
	v_add_f32_e32 v5, 0x26f736c5, v5
                                        ; implicit-def: $vgpr3
	v_fma_f32 v6, v2, v5, -v6
	s_delay_alu instid0(VALU_DEP_1) | instskip(NEXT) | instid1(VALU_DEP_1)
	v_add_f32_e32 v6, 0xa8528116, v6
	v_fma_f32 v5, v2, v6, -v5
	s_delay_alu instid0(VALU_DEP_1) | instskip(NEXT) | instid1(VALU_DEP_1)
	v_add_f32_e32 v5, 0x29acda32, v5
	;; [unrolled: 3-line block ×26, first 2 shown]
	v_sub_f32_e32 v2, v2, v5
	s_delay_alu instid0(VALU_DEP_1) | instskip(NEXT) | instid1(VALU_DEP_1)
	v_mul_f32_e32 v2, 0.5, v2
	v_mul_f32_e32 v2, v1, v2
                                        ; implicit-def: $vgpr1
.LBB17_1309:
	s_and_not1_saveexec_b32 s12, s0
	s_cbranch_execz .LBB17_1311
; %bb.1310:
	v_and_b32_e32 v2, 0x7fffffff, v1
	s_mov_b32 s0, 0xa3056dbb
	v_fma_f32 v10, 0x3fb8aa3b, |v1|, -v3
	s_delay_alu instid0(VALU_DEP_2) | instskip(SKIP_1) | instid1(VALU_DEP_3)
	v_div_scale_f32 v5, null, v2, v2, 0x42000000
	v_div_scale_f32 v2, vcc_lo, 0x42000000, v2, 0x42000000
	v_fma_f32 v10, 0x32a5705f, |v1|, v10
	s_delay_alu instid0(VALU_DEP_3) | instskip(SKIP_1) | instid1(TRANS32_DEP_1)
	v_rcp_f32_e32 v6, v5
	v_nop
	v_fma_f32 v7, -v5, v6, 1.0
	s_delay_alu instid0(VALU_DEP_1) | instskip(NEXT) | instid1(VALU_DEP_1)
	v_fmac_f32_e32 v6, v7, v6
	v_mul_f32_e32 v7, v2, v6
	s_delay_alu instid0(VALU_DEP_1) | instskip(NEXT) | instid1(VALU_DEP_1)
	v_fma_f32 v9, -v5, v7, v2
	v_fmac_f32_e32 v7, v9, v6
	v_rndne_f32_e32 v9, v3
	s_delay_alu instid0(VALU_DEP_1) | instskip(SKIP_1) | instid1(VALU_DEP_2)
	v_dual_fma_f32 v2, -v5, v7, v2 :: v_dual_sub_f32 v3, v3, v9
	v_cvt_i32_f32_e32 v9, v9
	v_div_fmas_f32 v2, v2, v6, v7
	v_mul_f32_e64 v7, 0x4f800000, |v1|
	v_cmp_gt_f32_e64 vcc_lo, 0xf800000, |v1|
	v_add_f32_e32 v3, v3, v10
	s_delay_alu instid0(VALU_DEP_4) | instskip(NEXT) | instid1(VALU_DEP_3)
	v_div_fixup_f32 v2, v2, |v1|, 0x42000000
	v_cndmask_b32_e64 v7, |v1|, v7, vcc_lo
	s_delay_alu instid0(VALU_DEP_3) | instskip(NEXT) | instid1(VALU_DEP_2)
	v_exp_f32_e32 v3, v3
	v_add_f32_e32 v2, -2.0, v2
	s_delay_alu instid0(VALU_DEP_2) | instskip(NEXT) | instid1(VALU_DEP_1)
	v_sqrt_f32_e32 v11, v7
	v_fmaak_f32 v5, s0, v2, 0xa2b236d3
	s_delay_alu instid0(TRANS32_DEP_2) | instskip(NEXT) | instid1(TRANS32_DEP_1)
	v_ldexp_f32 v3, v3, v9
	v_add_nc_u32_e32 v12, -1, v11
	s_delay_alu instid0(VALU_DEP_3) | instskip(NEXT) | instid1(VALU_DEP_2)
	v_fmaak_f32 v6, v2, v5, 0x23056dbb
	v_dual_add_nc_u32 v10, 1, v11 :: v_dual_fma_f32 v13, -v12, v11, v7
	s_delay_alu instid0(VALU_DEP_2) | instskip(NEXT) | instid1(VALU_DEP_2)
	v_add_f32_e32 v6, 0x244df0c1, v6
	v_fma_f32 v14, -v10, v11, v7
	s_delay_alu instid0(VALU_DEP_3) | instskip(NEXT) | instid1(VALU_DEP_1)
	v_cmp_ge_f32_e64 s0, 0, v13
	v_dual_fma_f32 v5, v2, v6, -v5 :: v_dual_cndmask_b32 v11, v11, v12, s0
	s_delay_alu instid0(VALU_DEP_1) | instskip(NEXT) | instid1(VALU_DEP_4)
	v_add_f32_e32 v5, 0x241f9ee8, v5
	v_cmp_lt_f32_e64 s0, 0, v14
	s_delay_alu instid0(VALU_DEP_2) | instskip(NEXT) | instid1(VALU_DEP_1)
	v_fma_f32 v6, v2, v5, -v6
	v_add_f32_e32 v6, 0xa5a3005d, v6
	s_delay_alu instid0(VALU_DEP_1) | instskip(NEXT) | instid1(VALU_DEP_1)
	v_fma_f32 v5, v2, v6, -v5
	v_add_f32_e32 v5, 0xa5c5773f, v5
	s_delay_alu instid0(VALU_DEP_1) | instskip(NEXT) | instid1(VALU_DEP_1)
	;; [unrolled: 3-line block ×19, first 2 shown]
	v_fma_f32 v5, v2, v6, -v5
	v_add_f32_e32 v5, 0x3b5ccc65, v5
	s_delay_alu instid0(VALU_DEP_1) | instskip(SKIP_1) | instid1(VALU_DEP_2)
	v_dual_fma_f32 v2, v2, v5, -v6 :: v_dual_cndmask_b32 v5, v11, v10, s0
	v_cmp_ngt_f32_e64 s0, 0xc2ce8ed0, |v1|
	v_add_f32_e32 v2, 0x3f4df315, v2
	s_delay_alu instid0(VALU_DEP_3) | instskip(NEXT) | instid1(VALU_DEP_3)
	v_mul_f32_e32 v9, 0x37800000, v5
	v_cndmask_b32_e64 v3, 0, v3, s0
	v_cmp_nlt_f32_e64 s0, 0x42b17218, |v1|
	s_delay_alu instid0(VALU_DEP_4) | instskip(NEXT) | instid1(VALU_DEP_2)
	v_sub_f32_e32 v2, v2, v6
	v_cndmask_b32_e64 v1, 0x7f800000, v3, s0
	s_delay_alu instid0(VALU_DEP_2) | instskip(SKIP_1) | instid1(VALU_DEP_1)
	v_dual_cndmask_b32 v3, v5, v9 :: v_dual_mul_f32 v2, 0.5, v2
	v_cmp_class_f32_e64 vcc_lo, v7, 0x260
	v_dual_mul_f32 v1, v1, v2 :: v_dual_cndmask_b32 v3, v3, v7, vcc_lo
	s_delay_alu instid0(VALU_DEP_1) | instskip(NEXT) | instid1(VALU_DEP_1)
	v_div_scale_f32 v2, null, v3, v3, v1
	v_rcp_f32_e32 v5, v2
	v_nop
	s_delay_alu instid0(TRANS32_DEP_1) | instskip(NEXT) | instid1(VALU_DEP_1)
	v_fma_f32 v6, -v2, v5, 1.0
	v_fmac_f32_e32 v5, v6, v5
	v_div_scale_f32 v6, vcc_lo, v1, v3, v1
	s_delay_alu instid0(VALU_DEP_1) | instskip(NEXT) | instid1(VALU_DEP_1)
	v_mul_f32_e32 v7, v6, v5
	v_fma_f32 v9, -v2, v7, v6
	s_delay_alu instid0(VALU_DEP_1) | instskip(NEXT) | instid1(VALU_DEP_1)
	v_fmac_f32_e32 v7, v9, v5
	v_fma_f32 v2, -v2, v7, v6
	s_delay_alu instid0(VALU_DEP_1) | instskip(NEXT) | instid1(VALU_DEP_1)
	v_div_fmas_f32 v2, v2, v5, v7
	v_div_fixup_f32 v2, v2, v3, v1
.LBB17_1311:
	s_or_b32 exec_lo, exec_lo, s12
	v_add_nc_u32_e32 v6, s3, v4
	s_cmp_lt_i32 s9, 11
	s_delay_alu instid0(VALU_DEP_1) | instskip(NEXT) | instid1(VALU_DEP_1)
	v_ashrrev_i32_e32 v7, 31, v6
	v_add_nc_u64_e32 v[4:5], s[6:7], v[6:7]
	s_cbranch_scc1 .LBB17_1318
; %bb.1312:
	s_cmp_gt_i32 s9, 25
	s_mov_b32 s12, 0
	s_cbranch_scc0 .LBB17_1320
; %bb.1313:
	s_cmp_gt_i32 s9, 28
	s_cbranch_scc0 .LBB17_1321
; %bb.1314:
	s_cmp_gt_i32 s9, 43
	;; [unrolled: 3-line block ×3, first 2 shown]
	s_cbranch_scc0 .LBB17_1324
; %bb.1316:
	s_cmp_eq_u32 s9, 46
	s_mov_b32 s14, 0
	s_cbranch_scc0 .LBB17_1325
; %bb.1317:
	global_load_b32 v1, v[4:5], off
	s_mov_b32 s0, 0
	s_mov_b32 s13, -1
	s_wait_loadcnt 0x0
	v_lshlrev_b32_e32 v1, 16, v1
	s_branch .LBB17_1327
.LBB17_1318:
	s_mov_b32 s13, 0
                                        ; implicit-def: $vgpr1
	s_cbranch_execnz .LBB17_1393
.LBB17_1319:
	s_and_not1_b32 vcc_lo, exec_lo, s13
	s_cbranch_vccnz .LBB17_1658
	s_branch .LBB17_1441
.LBB17_1320:
	s_mov_b32 s14, -1
	s_mov_b32 s13, 0
	s_mov_b32 s0, 0
                                        ; implicit-def: $vgpr1
	s_branch .LBB17_1356
.LBB17_1321:
	s_mov_b32 s14, -1
	s_mov_b32 s13, 0
	s_mov_b32 s0, 0
                                        ; implicit-def: $vgpr1
	s_branch .LBB17_1337
.LBB17_1322:
	s_mov_b32 s14, -1
	s_mov_b32 s13, 0
	s_mov_b32 s0, 0
                                        ; implicit-def: $vgpr1
	s_branch .LBB17_1332
.LBB17_1323:
	s_or_b32 s1, s1, exec_lo
	s_trap 2
	s_cbranch_execz .LBB17_1258
	s_branch .LBB17_1259
.LBB17_1324:
	s_mov_b32 s14, -1
	s_mov_b32 s13, 0
	s_mov_b32 s0, 0
	s_branch .LBB17_1326
.LBB17_1325:
	s_mov_b32 s0, -1
	s_mov_b32 s13, 0
.LBB17_1326:
                                        ; implicit-def: $vgpr1
.LBB17_1327:
	s_and_b32 vcc_lo, exec_lo, s14
	s_cbranch_vccz .LBB17_1331
; %bb.1328:
	s_cmp_eq_u32 s9, 44
	s_cbranch_scc0 .LBB17_1330
; %bb.1329:
	global_load_u8 v1, v[4:5], off
	s_mov_b32 s0, 0
	s_mov_b32 s13, -1
	s_wait_loadcnt 0x0
	v_lshlrev_b32_e32 v3, 23, v1
	v_cmp_ne_u32_e32 vcc_lo, 0xff, v1
	s_delay_alu instid0(VALU_DEP_2) | instskip(SKIP_1) | instid1(VALU_DEP_2)
	v_cndmask_b32_e32 v3, 0x7f800001, v3, vcc_lo
	v_cmp_ne_u32_e32 vcc_lo, 0, v1
	v_cndmask_b32_e32 v1, 0x400000, v3, vcc_lo
	s_branch .LBB17_1331
.LBB17_1330:
	s_mov_b32 s0, -1
                                        ; implicit-def: $vgpr1
.LBB17_1331:
	s_mov_b32 s14, 0
.LBB17_1332:
	s_delay_alu instid0(SALU_CYCLE_1)
	s_and_b32 vcc_lo, exec_lo, s14
	s_cbranch_vccz .LBB17_1336
; %bb.1333:
	s_cmp_eq_u32 s9, 29
	s_cbranch_scc0 .LBB17_1335
; %bb.1334:
	global_load_b64 v[10:11], v[4:5], off
	s_mov_b32 s0, 0
	s_mov_b32 s13, -1
	s_mov_b32 s14, 0
	s_wait_loadcnt 0x0
	v_clz_i32_u32_e32 v1, v11
	s_delay_alu instid0(VALU_DEP_1) | instskip(NEXT) | instid1(VALU_DEP_1)
	v_min_u32_e32 v1, 32, v1
	v_lshlrev_b64_e32 v[10:11], v1, v[10:11]
	v_sub_nc_u32_e32 v1, 32, v1
	s_delay_alu instid0(VALU_DEP_2) | instskip(NEXT) | instid1(VALU_DEP_1)
	v_min_u32_e32 v3, 1, v10
	v_or_b32_e32 v3, v11, v3
	s_delay_alu instid0(VALU_DEP_1) | instskip(NEXT) | instid1(VALU_DEP_1)
	v_cvt_f32_u32_e32 v3, v3
	v_ldexp_f32 v1, v3, v1
	s_branch .LBB17_1337
.LBB17_1335:
	s_mov_b32 s0, -1
                                        ; implicit-def: $vgpr1
.LBB17_1336:
	s_mov_b32 s14, 0
.LBB17_1337:
	s_delay_alu instid0(SALU_CYCLE_1)
	s_and_b32 vcc_lo, exec_lo, s14
	s_cbranch_vccz .LBB17_1355
; %bb.1338:
	s_cmp_lt_i32 s9, 27
	s_cbranch_scc1 .LBB17_1341
; %bb.1339:
	s_cmp_gt_i32 s9, 27
	s_cbranch_scc0 .LBB17_1342
; %bb.1340:
	global_load_b32 v1, v[4:5], off
	s_mov_b32 s13, 0
	s_wait_loadcnt 0x0
	v_cvt_f32_u32_e32 v1, v1
	s_branch .LBB17_1343
.LBB17_1341:
	s_mov_b32 s13, -1
                                        ; implicit-def: $vgpr1
	s_branch .LBB17_1346
.LBB17_1342:
	s_mov_b32 s13, -1
                                        ; implicit-def: $vgpr1
.LBB17_1343:
	s_delay_alu instid0(SALU_CYCLE_1)
	s_and_not1_b32 vcc_lo, exec_lo, s13
	s_cbranch_vccnz .LBB17_1345
; %bb.1344:
	global_load_u16 v1, v[4:5], off
	s_wait_loadcnt 0x0
	v_cvt_f32_u32_e32 v1, v1
.LBB17_1345:
	s_mov_b32 s13, 0
.LBB17_1346:
	s_delay_alu instid0(SALU_CYCLE_1)
	s_and_not1_b32 vcc_lo, exec_lo, s13
	s_cbranch_vccnz .LBB17_1354
; %bb.1347:
	global_load_u8 v3, v[4:5], off
	s_mov_b32 s13, 0
	s_mov_b32 s14, exec_lo
	s_wait_loadcnt 0x0
	v_cmpx_lt_i16_e32 0x7f, v3
	s_xor_b32 s14, exec_lo, s14
	s_cbranch_execz .LBB17_1368
; %bb.1348:
	s_mov_b32 s13, -1
	s_mov_b32 s15, exec_lo
	v_cmpx_eq_u16_e32 0x80, v3
; %bb.1349:
	s_xor_b32 s13, exec_lo, -1
; %bb.1350:
	s_or_b32 exec_lo, exec_lo, s15
	s_delay_alu instid0(SALU_CYCLE_1)
	s_and_b32 s13, s13, exec_lo
	s_or_saveexec_b32 s14, s14
	v_mov_b32_e32 v1, 0x7f800001
	s_xor_b32 exec_lo, exec_lo, s14
	s_cbranch_execnz .LBB17_1369
.LBB17_1351:
	s_or_b32 exec_lo, exec_lo, s14
	s_and_saveexec_b32 s14, s13
	s_cbranch_execz .LBB17_1353
.LBB17_1352:
	v_and_b32_e32 v1, 0xffff, v3
	s_delay_alu instid0(VALU_DEP_1) | instskip(SKIP_1) | instid1(VALU_DEP_2)
	v_dual_lshlrev_b32 v3, 24, v3 :: v_dual_bitop2_b32 v7, 7, v1 bitop3:0x40
	v_bfe_u32 v11, v1, 3, 4
	v_and_b32_e32 v3, 0x80000000, v3
	s_delay_alu instid0(VALU_DEP_3) | instskip(NEXT) | instid1(VALU_DEP_3)
	v_clz_i32_u32_e32 v9, v7
	v_cmp_eq_u32_e32 vcc_lo, 0, v11
	s_delay_alu instid0(VALU_DEP_2) | instskip(NEXT) | instid1(VALU_DEP_1)
	v_min_u32_e32 v9, 32, v9
	v_subrev_nc_u32_e32 v10, 28, v9
	v_sub_nc_u32_e32 v9, 29, v9
	s_delay_alu instid0(VALU_DEP_2) | instskip(NEXT) | instid1(VALU_DEP_2)
	v_lshlrev_b32_e32 v1, v10, v1
	v_cndmask_b32_e32 v9, v11, v9, vcc_lo
	s_delay_alu instid0(VALU_DEP_2) | instskip(NEXT) | instid1(VALU_DEP_1)
	v_and_b32_e32 v1, 7, v1
	v_cndmask_b32_e32 v1, v7, v1, vcc_lo
	s_delay_alu instid0(VALU_DEP_3) | instskip(NEXT) | instid1(VALU_DEP_2)
	v_lshl_add_u32 v7, v9, 23, 0x3b800000
	v_lshlrev_b32_e32 v1, 20, v1
	s_delay_alu instid0(VALU_DEP_1)
	v_or3_b32 v1, v3, v7, v1
.LBB17_1353:
	s_or_b32 exec_lo, exec_lo, s14
.LBB17_1354:
	s_mov_b32 s13, -1
.LBB17_1355:
	s_mov_b32 s14, 0
.LBB17_1356:
	s_delay_alu instid0(SALU_CYCLE_1)
	s_and_b32 vcc_lo, exec_lo, s14
	s_cbranch_vccz .LBB17_1389
; %bb.1357:
	s_cmp_gt_i32 s9, 22
	s_cbranch_scc0 .LBB17_1367
; %bb.1358:
	s_cmp_lt_i32 s9, 24
	s_cbranch_scc1 .LBB17_1370
; %bb.1359:
	s_cmp_gt_i32 s9, 24
	s_cbranch_scc0 .LBB17_1371
; %bb.1360:
	global_load_u8 v3, v[4:5], off
	s_mov_b32 s13, exec_lo
	s_wait_loadcnt 0x0
	v_cmpx_lt_i16_e32 0x7f, v3
	s_xor_b32 s13, exec_lo, s13
	s_cbranch_execz .LBB17_1383
; %bb.1361:
	s_mov_b32 s12, -1
	s_mov_b32 s14, exec_lo
	v_cmpx_eq_u16_e32 0x80, v3
; %bb.1362:
	s_xor_b32 s12, exec_lo, -1
; %bb.1363:
	s_or_b32 exec_lo, exec_lo, s14
	s_delay_alu instid0(SALU_CYCLE_1)
	s_and_b32 s12, s12, exec_lo
	s_or_saveexec_b32 s13, s13
	v_mov_b32_e32 v1, 0x7f800001
	s_xor_b32 exec_lo, exec_lo, s13
	s_cbranch_execnz .LBB17_1384
.LBB17_1364:
	s_or_b32 exec_lo, exec_lo, s13
	s_and_saveexec_b32 s13, s12
	s_cbranch_execz .LBB17_1366
.LBB17_1365:
	v_and_b32_e32 v1, 0xffff, v3
	s_delay_alu instid0(VALU_DEP_1) | instskip(SKIP_1) | instid1(VALU_DEP_2)
	v_dual_lshlrev_b32 v3, 24, v3 :: v_dual_bitop2_b32 v7, 3, v1 bitop3:0x40
	v_bfe_u32 v11, v1, 2, 5
	v_and_b32_e32 v3, 0x80000000, v3
	s_delay_alu instid0(VALU_DEP_3) | instskip(NEXT) | instid1(VALU_DEP_3)
	v_clz_i32_u32_e32 v9, v7
	v_cmp_eq_u32_e32 vcc_lo, 0, v11
	s_delay_alu instid0(VALU_DEP_2) | instskip(NEXT) | instid1(VALU_DEP_1)
	v_min_u32_e32 v9, 32, v9
	v_subrev_nc_u32_e32 v10, 29, v9
	v_sub_nc_u32_e32 v9, 30, v9
	s_delay_alu instid0(VALU_DEP_2) | instskip(NEXT) | instid1(VALU_DEP_2)
	v_lshlrev_b32_e32 v1, v10, v1
	v_cndmask_b32_e32 v9, v11, v9, vcc_lo
	s_delay_alu instid0(VALU_DEP_2) | instskip(NEXT) | instid1(VALU_DEP_1)
	v_and_b32_e32 v1, 3, v1
	v_cndmask_b32_e32 v1, v7, v1, vcc_lo
	s_delay_alu instid0(VALU_DEP_3) | instskip(NEXT) | instid1(VALU_DEP_2)
	v_lshl_add_u32 v7, v9, 23, 0x37800000
	v_lshlrev_b32_e32 v1, 21, v1
	s_delay_alu instid0(VALU_DEP_1)
	v_or3_b32 v1, v3, v7, v1
.LBB17_1366:
	s_or_b32 exec_lo, exec_lo, s13
	s_mov_b32 s12, 0
	s_branch .LBB17_1372
.LBB17_1367:
	s_mov_b32 s12, -1
                                        ; implicit-def: $vgpr1
	s_branch .LBB17_1378
.LBB17_1368:
	s_or_saveexec_b32 s14, s14
	v_mov_b32_e32 v1, 0x7f800001
	s_xor_b32 exec_lo, exec_lo, s14
	s_cbranch_execz .LBB17_1351
.LBB17_1369:
	v_cmp_ne_u16_e32 vcc_lo, 0, v3
	v_mov_b32_e32 v1, 0
	s_and_not1_b32 s13, s13, exec_lo
	s_and_b32 s15, vcc_lo, exec_lo
	s_delay_alu instid0(SALU_CYCLE_1)
	s_or_b32 s13, s13, s15
	s_or_b32 exec_lo, exec_lo, s14
	s_and_saveexec_b32 s14, s13
	s_cbranch_execnz .LBB17_1352
	s_branch .LBB17_1353
.LBB17_1370:
	s_mov_b32 s12, -1
                                        ; implicit-def: $vgpr1
	s_branch .LBB17_1375
.LBB17_1371:
	s_mov_b32 s12, -1
                                        ; implicit-def: $vgpr1
.LBB17_1372:
	s_delay_alu instid0(SALU_CYCLE_1)
	s_and_b32 vcc_lo, exec_lo, s12
	s_cbranch_vccz .LBB17_1374
; %bb.1373:
	global_load_u8 v1, v[4:5], off
	s_wait_loadcnt 0x0
	v_lshlrev_b32_e32 v1, 24, v1
	s_delay_alu instid0(VALU_DEP_1) | instskip(NEXT) | instid1(VALU_DEP_1)
	v_and_b32_e32 v3, 0x7f000000, v1
	v_clz_i32_u32_e32 v7, v3
	v_add_nc_u32_e32 v10, 0x1000000, v3
	v_cmp_ne_u32_e32 vcc_lo, 0, v3
	s_delay_alu instid0(VALU_DEP_3) | instskip(NEXT) | instid1(VALU_DEP_1)
	v_min_u32_e32 v7, 32, v7
	v_sub_nc_u32_e64 v7, v7, 4 clamp
	s_delay_alu instid0(VALU_DEP_1) | instskip(NEXT) | instid1(VALU_DEP_1)
	v_lshlrev_b32_e32 v9, v7, v3
	v_dual_lshlrev_b32 v7, 23, v7 :: v_dual_lshrrev_b32 v9, 4, v9
	s_delay_alu instid0(VALU_DEP_1) | instskip(NEXT) | instid1(VALU_DEP_1)
	v_dual_sub_nc_u32 v7, v9, v7 :: v_dual_ashrrev_i32 v9, 8, v10
	v_add_nc_u32_e32 v7, 0x3c000000, v7
	s_delay_alu instid0(VALU_DEP_1) | instskip(NEXT) | instid1(VALU_DEP_1)
	v_and_or_b32 v7, 0x7f800000, v9, v7
	v_cndmask_b32_e32 v3, 0, v7, vcc_lo
	s_delay_alu instid0(VALU_DEP_1)
	v_and_or_b32 v1, 0x80000000, v1, v3
.LBB17_1374:
	s_mov_b32 s12, 0
.LBB17_1375:
	s_delay_alu instid0(SALU_CYCLE_1)
	s_and_not1_b32 vcc_lo, exec_lo, s12
	s_cbranch_vccnz .LBB17_1377
; %bb.1376:
	global_load_u8 v1, v[4:5], off
	s_wait_loadcnt 0x0
	v_lshlrev_b32_e32 v3, 25, v1
	v_lshlrev_b16 v1, 8, v1
	s_delay_alu instid0(VALU_DEP_2) | instskip(NEXT) | instid1(VALU_DEP_2)
	v_cmp_gt_u32_e32 vcc_lo, 0x8000000, v3
	v_and_or_b32 v9, 0x7f00, v1, 0.5
	v_lshrrev_b32_e32 v7, 4, v3
	v_bfe_i32 v1, v1, 0, 16
	s_delay_alu instid0(VALU_DEP_3) | instskip(NEXT) | instid1(VALU_DEP_3)
	v_add_f32_e32 v9, -0.5, v9
	v_or_b32_e32 v7, 0x70000000, v7
	s_delay_alu instid0(VALU_DEP_1) | instskip(NEXT) | instid1(VALU_DEP_1)
	v_mul_f32_e32 v7, 0x7800000, v7
	v_cndmask_b32_e32 v3, v7, v9, vcc_lo
	s_delay_alu instid0(VALU_DEP_1)
	v_and_or_b32 v1, 0x80000000, v1, v3
.LBB17_1377:
	s_mov_b32 s12, 0
	s_mov_b32 s13, -1
.LBB17_1378:
	s_and_not1_b32 vcc_lo, exec_lo, s12
	s_mov_b32 s12, 0
	s_cbranch_vccnz .LBB17_1389
; %bb.1379:
	s_cmp_gt_i32 s9, 14
	s_cbranch_scc0 .LBB17_1382
; %bb.1380:
	s_cmp_eq_u32 s9, 15
	s_cbranch_scc0 .LBB17_1385
; %bb.1381:
	global_load_u16 v1, v[4:5], off
	s_mov_b32 s0, 0
	s_mov_b32 s13, -1
	s_wait_loadcnt 0x0
	v_lshlrev_b32_e32 v1, 16, v1
	s_branch .LBB17_1387
.LBB17_1382:
	s_mov_b32 s12, -1
	s_branch .LBB17_1386
.LBB17_1383:
	s_or_saveexec_b32 s13, s13
	v_mov_b32_e32 v1, 0x7f800001
	s_xor_b32 exec_lo, exec_lo, s13
	s_cbranch_execz .LBB17_1364
.LBB17_1384:
	v_cmp_ne_u16_e32 vcc_lo, 0, v3
	v_mov_b32_e32 v1, 0
	s_and_not1_b32 s12, s12, exec_lo
	s_and_b32 s14, vcc_lo, exec_lo
	s_delay_alu instid0(SALU_CYCLE_1)
	s_or_b32 s12, s12, s14
	s_or_b32 exec_lo, exec_lo, s13
	s_and_saveexec_b32 s13, s12
	s_cbranch_execnz .LBB17_1365
	s_branch .LBB17_1366
.LBB17_1385:
	s_mov_b32 s0, -1
.LBB17_1386:
                                        ; implicit-def: $vgpr1
.LBB17_1387:
	s_and_b32 vcc_lo, exec_lo, s12
	s_mov_b32 s12, 0
	s_cbranch_vccz .LBB17_1389
; %bb.1388:
	s_cmp_lg_u32 s9, 11
	s_mov_b32 s12, -1
	s_cselect_b32 s0, -1, 0
.LBB17_1389:
	s_delay_alu instid0(SALU_CYCLE_1)
	s_and_b32 vcc_lo, exec_lo, s0
	s_cbranch_vccnz .LBB17_1456
; %bb.1390:
	s_and_not1_b32 vcc_lo, exec_lo, s12
	s_cbranch_vccnz .LBB17_1392
.LBB17_1391:
	global_load_u8 v1, v[4:5], off
	s_mov_b32 s13, -1
	s_wait_loadcnt 0x0
	v_cmp_ne_u16_e32 vcc_lo, 0, v1
	v_cndmask_b32_e64 v1, 0, 1.0, vcc_lo
.LBB17_1392:
	s_branch .LBB17_1319
.LBB17_1393:
	s_cmp_lt_i32 s9, 5
	s_cbranch_scc1 .LBB17_1398
; %bb.1394:
	s_cmp_lt_i32 s9, 8
	s_cbranch_scc1 .LBB17_1399
; %bb.1395:
	;; [unrolled: 3-line block ×3, first 2 shown]
	s_cmp_gt_i32 s9, 9
	s_cbranch_scc0 .LBB17_1401
; %bb.1397:
	global_load_b64 v[10:11], v[4:5], off
	s_mov_b32 s0, 0
	s_wait_loadcnt 0x0
	v_cvt_f32_f64_e32 v1, v[10:11]
	s_branch .LBB17_1402
.LBB17_1398:
	s_mov_b32 s0, -1
                                        ; implicit-def: $vgpr1
	s_branch .LBB17_1420
.LBB17_1399:
	s_mov_b32 s0, -1
                                        ; implicit-def: $vgpr1
	s_branch .LBB17_1408
.LBB17_1400:
	s_mov_b32 s0, -1
                                        ; implicit-def: $vgpr1
	s_branch .LBB17_1405
.LBB17_1401:
	s_mov_b32 s0, -1
                                        ; implicit-def: $vgpr1
.LBB17_1402:
	s_delay_alu instid0(SALU_CYCLE_1)
	s_and_not1_b32 vcc_lo, exec_lo, s0
	s_cbranch_vccnz .LBB17_1404
; %bb.1403:
	global_load_b32 v1, v[4:5], off
.LBB17_1404:
	s_mov_b32 s0, 0
.LBB17_1405:
	s_delay_alu instid0(SALU_CYCLE_1)
	s_and_not1_b32 vcc_lo, exec_lo, s0
	s_cbranch_vccnz .LBB17_1407
; %bb.1406:
	s_wait_loadcnt 0x0
	global_load_b32 v1, v[4:5], off
	s_wait_loadcnt 0x0
	v_cvt_f32_f16_e32 v1, v1
.LBB17_1407:
	s_mov_b32 s0, 0
.LBB17_1408:
	s_delay_alu instid0(SALU_CYCLE_1)
	s_and_not1_b32 vcc_lo, exec_lo, s0
	s_cbranch_vccnz .LBB17_1419
; %bb.1409:
	s_cmp_lt_i32 s9, 6
	s_cbranch_scc1 .LBB17_1412
; %bb.1410:
	s_cmp_gt_i32 s9, 6
	s_cbranch_scc0 .LBB17_1413
; %bb.1411:
	global_load_b64 v[10:11], v[4:5], off
	s_mov_b32 s0, 0
	s_wait_loadcnt 0x0
	v_cvt_f32_f64_e32 v1, v[10:11]
	s_branch .LBB17_1414
.LBB17_1412:
	s_mov_b32 s0, -1
                                        ; implicit-def: $vgpr1
	s_branch .LBB17_1417
.LBB17_1413:
	s_mov_b32 s0, -1
                                        ; implicit-def: $vgpr1
.LBB17_1414:
	s_delay_alu instid0(SALU_CYCLE_1)
	s_and_not1_b32 vcc_lo, exec_lo, s0
	s_cbranch_vccnz .LBB17_1416
; %bb.1415:
	s_wait_loadcnt 0x0
	global_load_b32 v1, v[4:5], off
.LBB17_1416:
	s_mov_b32 s0, 0
.LBB17_1417:
	s_delay_alu instid0(SALU_CYCLE_1)
	s_and_not1_b32 vcc_lo, exec_lo, s0
	s_cbranch_vccnz .LBB17_1419
; %bb.1418:
	s_wait_loadcnt 0x0
	global_load_u16 v1, v[4:5], off
	s_wait_loadcnt 0x0
	v_cvt_f32_f16_e32 v1, v1
.LBB17_1419:
	s_mov_b32 s0, 0
.LBB17_1420:
	s_delay_alu instid0(SALU_CYCLE_1)
	s_and_not1_b32 vcc_lo, exec_lo, s0
	s_cbranch_vccnz .LBB17_1440
; %bb.1421:
	s_cmp_lt_i32 s9, 2
	s_cbranch_scc1 .LBB17_1425
; %bb.1422:
	s_cmp_lt_i32 s9, 3
	s_cbranch_scc1 .LBB17_1426
; %bb.1423:
	s_cmp_gt_i32 s9, 3
	s_cbranch_scc0 .LBB17_1427
; %bb.1424:
	global_load_b64 v[10:11], v[4:5], off
	s_mov_b32 s0, 0
	s_wait_loadcnt 0x0
	v_xor_b32_e32 v1, v10, v11
	v_cls_i32_e32 v3, v11
	s_delay_alu instid0(VALU_DEP_2) | instskip(NEXT) | instid1(VALU_DEP_1)
	v_ashrrev_i32_e32 v1, 31, v1
	v_add_nc_u32_e32 v1, 32, v1
	s_delay_alu instid0(VALU_DEP_1) | instskip(NEXT) | instid1(VALU_DEP_1)
	v_add_min_u32_e64 v1, v3, -1, v1
	v_lshlrev_b64_e32 v[10:11], v1, v[10:11]
	v_sub_nc_u32_e32 v1, 32, v1
	s_delay_alu instid0(VALU_DEP_2) | instskip(NEXT) | instid1(VALU_DEP_1)
	v_min_u32_e32 v3, 1, v10
	v_or_b32_e32 v3, v11, v3
	s_delay_alu instid0(VALU_DEP_1) | instskip(NEXT) | instid1(VALU_DEP_1)
	v_cvt_f32_i32_e32 v3, v3
	v_ldexp_f32 v1, v3, v1
	s_branch .LBB17_1428
.LBB17_1425:
	s_mov_b32 s0, -1
                                        ; implicit-def: $vgpr1
	s_branch .LBB17_1434
.LBB17_1426:
	s_mov_b32 s0, -1
                                        ; implicit-def: $vgpr1
	s_branch .LBB17_1431
.LBB17_1427:
	s_mov_b32 s0, -1
                                        ; implicit-def: $vgpr1
.LBB17_1428:
	s_delay_alu instid0(SALU_CYCLE_1)
	s_and_not1_b32 vcc_lo, exec_lo, s0
	s_cbranch_vccnz .LBB17_1430
; %bb.1429:
	s_wait_loadcnt 0x0
	global_load_b32 v1, v[4:5], off
	s_wait_loadcnt 0x0
	v_cvt_f32_i32_e32 v1, v1
.LBB17_1430:
	s_mov_b32 s0, 0
.LBB17_1431:
	s_delay_alu instid0(SALU_CYCLE_1)
	s_and_not1_b32 vcc_lo, exec_lo, s0
	s_cbranch_vccnz .LBB17_1433
; %bb.1432:
	s_wait_loadcnt 0x0
	global_load_i16 v1, v[4:5], off
	s_wait_loadcnt 0x0
	v_cvt_f32_i32_e32 v1, v1
.LBB17_1433:
	s_mov_b32 s0, 0
.LBB17_1434:
	s_delay_alu instid0(SALU_CYCLE_1)
	s_and_not1_b32 vcc_lo, exec_lo, s0
	s_cbranch_vccnz .LBB17_1440
; %bb.1435:
	s_cmp_gt_i32 s9, 0
	s_mov_b32 s0, 0
	s_cbranch_scc0 .LBB17_1437
; %bb.1436:
	s_wait_loadcnt 0x0
	global_load_i8 v1, v[4:5], off
	s_wait_loadcnt 0x0
	v_cvt_f32_i32_e32 v1, v1
	s_branch .LBB17_1438
.LBB17_1437:
	s_mov_b32 s0, -1
                                        ; implicit-def: $vgpr1
.LBB17_1438:
	s_delay_alu instid0(SALU_CYCLE_1)
	s_and_not1_b32 vcc_lo, exec_lo, s0
	s_cbranch_vccnz .LBB17_1440
; %bb.1439:
	s_wait_loadcnt 0x0
	global_load_u8 v1, v[4:5], off
	s_wait_loadcnt 0x0
	v_cvt_f32_ubyte0_e32 v1, v1
.LBB17_1440:
.LBB17_1441:
	s_wait_loadcnt 0x0
	s_delay_alu instid0(VALU_DEP_1) | instskip(SKIP_3) | instid1(SALU_CYCLE_1)
	v_cmp_ge_f32_e64 s0, 0x41000000, |v1|
	v_mul_f32_e64 v3, 0x3fb8aa3b, |v1|
                                        ; implicit-def: $vgpr4
	s_wait_xcnt 0x0
	s_and_saveexec_b32 s12, s0
	s_xor_b32 s0, exec_lo, s12
	s_cbranch_execz .LBB17_1443
; %bb.1442:
	v_rndne_f32_e32 v9, v3
	v_fma_f32 v10, 0x3fb8aa3b, |v1|, -v3
	v_fma_f32 v4, |v1|, 0.5, -2.0
	v_cmp_ngt_f32_e64 vcc_lo, 0xc2ce8ed0, |v1|
	s_mov_b32 s12, 0xa2a2e5b9
	v_sub_f32_e32 v3, v3, v9
	v_fma_f32 v10, 0x32a5705f, |v1|, v10
	v_cvt_i32_f32_e32 v9, v9
	s_delay_alu instid0(VALU_DEP_2) | instskip(NEXT) | instid1(VALU_DEP_1)
	v_add_f32_e32 v3, v3, v10
	v_exp_f32_e32 v3, v3
	v_nop
	s_delay_alu instid0(TRANS32_DEP_1) | instskip(NEXT) | instid1(VALU_DEP_1)
	v_ldexp_f32 v3, v3, v9
	v_cndmask_b32_e32 v3, 0, v3, vcc_lo
	v_cmp_nlt_f32_e64 vcc_lo, 0x42b17218, |v1|
	s_delay_alu instid0(VALU_DEP_2) | instskip(SKIP_1) | instid1(VALU_DEP_1)
	v_cndmask_b32_e32 v1, 0x7f800000, v3, vcc_lo
	v_fmaak_f32 v5, s12, v4, 0x24199b15
	v_fmaak_f32 v7, v4, v5, 0x22a2e5b9
	s_delay_alu instid0(VALU_DEP_1) | instskip(NEXT) | instid1(VALU_DEP_1)
	v_add_f32_e32 v7, 0xa58c275c, v7
	v_fma_f32 v5, v4, v7, -v5
	s_delay_alu instid0(VALU_DEP_1) | instskip(NEXT) | instid1(VALU_DEP_1)
	v_add_f32_e32 v5, 0x26f736c5, v5
	v_fma_f32 v7, v4, v5, -v7
	;; [unrolled: 3-line block ×27, first 2 shown]
	s_delay_alu instid0(VALU_DEP_1) | instskip(NEXT) | instid1(VALU_DEP_1)
	v_add_f32_e32 v4, 0x3f2d4275, v4
	v_sub_f32_e32 v4, v4, v5
	s_delay_alu instid0(VALU_DEP_1) | instskip(NEXT) | instid1(VALU_DEP_1)
	v_mul_f32_e32 v3, 0.5, v4
	v_mul_f32_e32 v4, v1, v3
                                        ; implicit-def: $vgpr1
                                        ; implicit-def: $vgpr3
.LBB17_1443:
	s_and_not1_saveexec_b32 s12, s0
	s_cbranch_execz .LBB17_1445
; %bb.1444:
	v_and_b32_e32 v4, 0x7fffffff, v1
	s_mov_b32 s0, 0xa3056dbb
	v_fma_f32 v11, 0x3fb8aa3b, |v1|, -v3
	s_delay_alu instid0(VALU_DEP_2) | instskip(SKIP_1) | instid1(VALU_DEP_3)
	v_div_scale_f32 v5, null, v4, v4, 0x42000000
	v_div_scale_f32 v4, vcc_lo, 0x42000000, v4, 0x42000000
	v_fma_f32 v11, 0x32a5705f, |v1|, v11
	s_delay_alu instid0(VALU_DEP_3) | instskip(SKIP_1) | instid1(TRANS32_DEP_1)
	v_rcp_f32_e32 v7, v5
	v_nop
	v_fma_f32 v9, -v5, v7, 1.0
	s_delay_alu instid0(VALU_DEP_1) | instskip(NEXT) | instid1(VALU_DEP_1)
	v_fmac_f32_e32 v7, v9, v7
	v_mul_f32_e32 v9, v4, v7
	s_delay_alu instid0(VALU_DEP_1) | instskip(NEXT) | instid1(VALU_DEP_1)
	v_fma_f32 v10, -v5, v9, v4
	v_fmac_f32_e32 v9, v10, v7
	v_rndne_f32_e32 v10, v3
	s_delay_alu instid0(VALU_DEP_1) | instskip(SKIP_1) | instid1(VALU_DEP_2)
	v_dual_fma_f32 v4, -v5, v9, v4 :: v_dual_sub_f32 v3, v3, v10
	v_cvt_i32_f32_e32 v10, v10
	v_div_fmas_f32 v4, v4, v7, v9
	v_mul_f32_e64 v9, 0x4f800000, |v1|
	v_cmp_gt_f32_e64 vcc_lo, 0xf800000, |v1|
	s_delay_alu instid0(VALU_DEP_3) | instskip(NEXT) | instid1(VALU_DEP_2)
	v_div_fixup_f32 v4, v4, |v1|, 0x42000000
	v_cndmask_b32_e64 v9, |v1|, v9, vcc_lo
	s_delay_alu instid0(VALU_DEP_2) | instskip(NEXT) | instid1(VALU_DEP_2)
	v_add_f32_e32 v4, -2.0, v4
	v_sqrt_f32_e32 v12, v9
	s_delay_alu instid0(VALU_DEP_1) | instskip(NEXT) | instid1(TRANS32_DEP_1)
	v_fmaak_f32 v5, s0, v4, 0xa2b236d3
	v_add_nc_u32_e32 v13, -1, v12
	s_delay_alu instid0(VALU_DEP_2) | instskip(SKIP_1) | instid1(VALU_DEP_3)
	v_fmaak_f32 v7, v4, v5, 0x23056dbb
	v_dual_add_f32 v3, v3, v11 :: v_dual_add_nc_u32 v11, 1, v12
	v_fma_f32 v14, -v13, v12, v9
	s_delay_alu instid0(VALU_DEP_3) | instskip(NEXT) | instid1(VALU_DEP_3)
	v_add_f32_e32 v7, 0x244df0c1, v7
	v_fma_f32 v15, -v11, v12, v9
	s_delay_alu instid0(VALU_DEP_3) | instskip(NEXT) | instid1(VALU_DEP_3)
	v_cmp_ge_f32_e64 s0, 0, v14
	v_fma_f32 v5, v4, v7, -v5
	s_delay_alu instid0(VALU_DEP_2) | instskip(NEXT) | instid1(VALU_DEP_2)
	v_cndmask_b32_e64 v12, v12, v13, s0
	v_add_f32_e32 v5, 0x241f9ee8, v5
	v_exp_f32_e32 v3, v3
	v_cmp_lt_f32_e64 s0, 0, v15
	s_delay_alu instid0(VALU_DEP_2) | instskip(NEXT) | instid1(TRANS32_DEP_1)
	v_fma_f32 v7, v4, v5, -v7
	v_ldexp_f32 v3, v3, v10
	s_delay_alu instid0(VALU_DEP_2) | instskip(NEXT) | instid1(VALU_DEP_1)
	v_add_f32_e32 v7, 0xa5a3005d, v7
	v_fma_f32 v5, v4, v7, -v5
	s_delay_alu instid0(VALU_DEP_1) | instskip(NEXT) | instid1(VALU_DEP_1)
	v_add_f32_e32 v5, 0xa5c5773f, v5
	v_fma_f32 v7, v4, v5, -v7
	s_delay_alu instid0(VALU_DEP_1) | instskip(NEXT) | instid1(VALU_DEP_1)
	v_add_f32_e32 v7, 0x26ff73ed, v7
	v_fma_f32 v5, v4, v7, -v5
	s_delay_alu instid0(VALU_DEP_1) | instskip(NEXT) | instid1(VALU_DEP_1)
	v_add_f32_e32 v5, 0x2789548d, v5
	v_fma_f32 v7, v4, v5, -v7
	s_delay_alu instid0(VALU_DEP_1) | instskip(NEXT) | instid1(VALU_DEP_1)
	v_add_f32_e32 v7, 0xa82c1ff4, v7
	v_fma_f32 v5, v4, v7, -v5
	s_delay_alu instid0(VALU_DEP_1) | instskip(NEXT) | instid1(VALU_DEP_1)
	v_add_f32_e32 v5, 0xa93aecce, v5
	v_fma_f32 v7, v4, v5, -v7
	s_delay_alu instid0(VALU_DEP_1) | instskip(NEXT) | instid1(VALU_DEP_1)
	v_add_f32_e32 v7, 0x288ab7f8, v7
	v_fma_f32 v5, v4, v7, -v5
	s_delay_alu instid0(VALU_DEP_1) | instskip(NEXT) | instid1(VALU_DEP_1)
	v_add_f32_e32 v5, 0x2ad8e463, v5
	v_fma_f32 v7, v4, v5, -v7
	s_delay_alu instid0(VALU_DEP_1) | instskip(NEXT) | instid1(VALU_DEP_1)
	v_add_f32_e32 v7, 0x2b4a1a40, v7
	v_fma_f32 v5, v4, v7, -v5
	s_delay_alu instid0(VALU_DEP_1) | instskip(NEXT) | instid1(VALU_DEP_1)
	v_add_f32_e32 v5, 0xabfc8218, v5
	v_fma_f32 v7, v4, v5, -v7
	s_delay_alu instid0(VALU_DEP_1) | instskip(NEXT) | instid1(VALU_DEP_1)
	v_add_f32_e32 v7, 0xad687eba, v7
	v_fma_f32 v5, v4, v7, -v5
	s_delay_alu instid0(VALU_DEP_1) | instskip(NEXT) | instid1(VALU_DEP_1)
	v_add_f32_e32 v5, 0xae0a88e8, v5
	v_fma_f32 v7, v4, v5, -v7
	s_delay_alu instid0(VALU_DEP_1) | instskip(NEXT) | instid1(VALU_DEP_1)
	v_add_f32_e32 v7, 0x2d5127f5, v7
	v_fma_f32 v5, v4, v7, -v5
	s_delay_alu instid0(VALU_DEP_1) | instskip(NEXT) | instid1(VALU_DEP_1)
	v_add_f32_e32 v5, 0x3007ce66, v5
	v_fma_f32 v7, v4, v5, -v7
	s_delay_alu instid0(VALU_DEP_1) | instskip(NEXT) | instid1(VALU_DEP_1)
	v_add_f32_e32 v7, 0x31696325, v7
	v_fma_f32 v5, v4, v7, -v5
	s_delay_alu instid0(VALU_DEP_1) | instskip(NEXT) | instid1(VALU_DEP_1)
	v_add_f32_e32 v5, 0x32c2b494, v5
	v_fma_f32 v7, v4, v5, -v7
	s_delay_alu instid0(VALU_DEP_1) | instskip(NEXT) | instid1(VALU_DEP_1)
	v_add_f32_e32 v7, 0x345c003f, v7
	v_fma_f32 v5, v4, v7, -v5
	s_delay_alu instid0(VALU_DEP_1) | instskip(NEXT) | instid1(VALU_DEP_1)
	v_add_f32_e32 v5, 0x3642095e, v5
	v_fma_f32 v7, v4, v5, -v7
	s_delay_alu instid0(VALU_DEP_1) | instskip(NEXT) | instid1(VALU_DEP_1)
	v_add_f32_e32 v7, 0x38907d1c, v7
	v_fma_f32 v5, v4, v7, -v5
	s_delay_alu instid0(VALU_DEP_1) | instskip(NEXT) | instid1(VALU_DEP_1)
	v_add_f32_e32 v5, 0x3b5ccc65, v5
	v_fma_f32 v4, v4, v5, -v7
	v_cndmask_b32_e64 v5, v12, v11, s0
	v_cmp_ngt_f32_e64 s0, 0xc2ce8ed0, |v1|
	s_delay_alu instid0(VALU_DEP_3) | instskip(NEXT) | instid1(VALU_DEP_3)
	v_add_f32_e32 v4, 0x3f4df315, v4
	v_mul_f32_e32 v10, 0x37800000, v5
	s_delay_alu instid0(VALU_DEP_3) | instskip(SKIP_1) | instid1(VALU_DEP_4)
	v_cndmask_b32_e64 v3, 0, v3, s0
	v_cmp_nlt_f32_e64 s0, 0x42b17218, |v1|
	v_sub_f32_e32 v4, v4, v7
	s_delay_alu instid0(VALU_DEP_2) | instskip(NEXT) | instid1(VALU_DEP_2)
	v_cndmask_b32_e64 v1, 0x7f800000, v3, s0
	v_dual_cndmask_b32 v3, v5, v10 :: v_dual_mul_f32 v4, 0.5, v4
	v_cmp_class_f32_e64 vcc_lo, v9, 0x260
	s_delay_alu instid0(VALU_DEP_1) | instskip(NEXT) | instid1(VALU_DEP_1)
	v_dual_mul_f32 v1, v1, v4 :: v_dual_cndmask_b32 v3, v3, v9, vcc_lo
	v_div_scale_f32 v4, null, v3, v3, v1
	s_delay_alu instid0(VALU_DEP_1) | instskip(SKIP_1) | instid1(TRANS32_DEP_1)
	v_rcp_f32_e32 v5, v4
	v_nop
	v_fma_f32 v7, -v4, v5, 1.0
	s_delay_alu instid0(VALU_DEP_1) | instskip(SKIP_1) | instid1(VALU_DEP_1)
	v_fmac_f32_e32 v5, v7, v5
	v_div_scale_f32 v7, vcc_lo, v1, v3, v1
	v_mul_f32_e32 v9, v7, v5
	s_delay_alu instid0(VALU_DEP_1) | instskip(NEXT) | instid1(VALU_DEP_1)
	v_fma_f32 v10, -v4, v9, v7
	v_fmac_f32_e32 v9, v10, v5
	s_delay_alu instid0(VALU_DEP_1) | instskip(NEXT) | instid1(VALU_DEP_1)
	v_fma_f32 v4, -v4, v9, v7
	v_div_fmas_f32 v4, v4, v5, v9
	s_delay_alu instid0(VALU_DEP_1)
	v_div_fixup_f32 v4, v4, v3, v1
.LBB17_1445:
	s_or_b32 exec_lo, exec_lo, s12
	v_add_nc_u32_e32 v6, s3, v6
	s_cmp_lt_i32 s9, 11
	s_delay_alu instid0(VALU_DEP_1) | instskip(NEXT) | instid1(VALU_DEP_1)
	v_ashrrev_i32_e32 v7, 31, v6
	v_add_nc_u64_e32 v[6:7], s[6:7], v[6:7]
	s_cbranch_scc1 .LBB17_1452
; %bb.1446:
	s_cmp_gt_i32 s9, 25
	s_mov_b32 s3, 0
	s_cbranch_scc0 .LBB17_1453
; %bb.1447:
	s_cmp_gt_i32 s9, 28
	s_cbranch_scc0 .LBB17_1454
; %bb.1448:
	s_cmp_gt_i32 s9, 43
	;; [unrolled: 3-line block ×3, first 2 shown]
	s_cbranch_scc0 .LBB17_1457
; %bb.1450:
	s_cmp_eq_u32 s9, 46
	s_mov_b32 s7, 0
	s_cbranch_scc0 .LBB17_1458
; %bb.1451:
	global_load_b32 v1, v[6:7], off
	s_mov_b32 s0, 0
	s_mov_b32 s6, -1
	s_wait_loadcnt 0x0
	v_lshlrev_b32_e32 v1, 16, v1
	s_branch .LBB17_1460
.LBB17_1452:
	s_mov_b32 s0, -1
	s_mov_b32 s6, 0
                                        ; implicit-def: $vgpr1
	s_branch .LBB17_1526
.LBB17_1453:
	s_mov_b32 s7, -1
	s_mov_b32 s6, 0
	s_mov_b32 s0, 0
                                        ; implicit-def: $vgpr1
	s_branch .LBB17_1489
.LBB17_1454:
	s_mov_b32 s7, -1
	s_mov_b32 s6, 0
	s_mov_b32 s0, 0
                                        ; implicit-def: $vgpr1
	s_branch .LBB17_1470
.LBB17_1455:
	s_mov_b32 s7, -1
	s_mov_b32 s6, 0
	s_mov_b32 s0, 0
                                        ; implicit-def: $vgpr1
	s_branch .LBB17_1465
.LBB17_1456:
	s_or_b32 s1, s1, exec_lo
	s_trap 2
	s_cbranch_execz .LBB17_1391
	s_branch .LBB17_1392
.LBB17_1457:
	s_mov_b32 s7, -1
	s_mov_b32 s6, 0
	s_mov_b32 s0, 0
	s_branch .LBB17_1459
.LBB17_1458:
	s_mov_b32 s0, -1
	s_mov_b32 s6, 0
.LBB17_1459:
                                        ; implicit-def: $vgpr1
.LBB17_1460:
	s_and_b32 vcc_lo, exec_lo, s7
	s_cbranch_vccz .LBB17_1464
; %bb.1461:
	s_cmp_eq_u32 s9, 44
	s_cbranch_scc0 .LBB17_1463
; %bb.1462:
	global_load_u8 v1, v[6:7], off
	s_mov_b32 s0, 0
	s_mov_b32 s6, -1
	s_wait_loadcnt 0x0
	v_lshlrev_b32_e32 v3, 23, v1
	v_cmp_ne_u32_e32 vcc_lo, 0xff, v1
	s_delay_alu instid0(VALU_DEP_2) | instskip(SKIP_1) | instid1(VALU_DEP_2)
	v_cndmask_b32_e32 v3, 0x7f800001, v3, vcc_lo
	v_cmp_ne_u32_e32 vcc_lo, 0, v1
	v_cndmask_b32_e32 v1, 0x400000, v3, vcc_lo
	s_branch .LBB17_1464
.LBB17_1463:
	s_mov_b32 s0, -1
                                        ; implicit-def: $vgpr1
.LBB17_1464:
	s_mov_b32 s7, 0
.LBB17_1465:
	s_delay_alu instid0(SALU_CYCLE_1)
	s_and_b32 vcc_lo, exec_lo, s7
	s_cbranch_vccz .LBB17_1469
; %bb.1466:
	s_cmp_eq_u32 s9, 29
	s_cbranch_scc0 .LBB17_1468
; %bb.1467:
	global_load_b64 v[10:11], v[6:7], off
	s_mov_b32 s0, 0
	s_mov_b32 s6, -1
	s_mov_b32 s7, 0
	s_wait_loadcnt 0x0
	v_clz_i32_u32_e32 v1, v11
	s_delay_alu instid0(VALU_DEP_1) | instskip(NEXT) | instid1(VALU_DEP_1)
	v_min_u32_e32 v1, 32, v1
	v_lshlrev_b64_e32 v[10:11], v1, v[10:11]
	v_sub_nc_u32_e32 v1, 32, v1
	s_delay_alu instid0(VALU_DEP_2) | instskip(NEXT) | instid1(VALU_DEP_1)
	v_min_u32_e32 v3, 1, v10
	v_or_b32_e32 v3, v11, v3
	s_delay_alu instid0(VALU_DEP_1) | instskip(NEXT) | instid1(VALU_DEP_1)
	v_cvt_f32_u32_e32 v3, v3
	v_ldexp_f32 v1, v3, v1
	s_branch .LBB17_1470
.LBB17_1468:
	s_mov_b32 s0, -1
                                        ; implicit-def: $vgpr1
.LBB17_1469:
	s_mov_b32 s7, 0
.LBB17_1470:
	s_delay_alu instid0(SALU_CYCLE_1)
	s_and_b32 vcc_lo, exec_lo, s7
	s_cbranch_vccz .LBB17_1488
; %bb.1471:
	s_cmp_lt_i32 s9, 27
	s_cbranch_scc1 .LBB17_1474
; %bb.1472:
	s_cmp_gt_i32 s9, 27
	s_cbranch_scc0 .LBB17_1475
; %bb.1473:
	global_load_b32 v1, v[6:7], off
	s_mov_b32 s6, 0
	s_wait_loadcnt 0x0
	v_cvt_f32_u32_e32 v1, v1
	s_branch .LBB17_1476
.LBB17_1474:
	s_mov_b32 s6, -1
                                        ; implicit-def: $vgpr1
	s_branch .LBB17_1479
.LBB17_1475:
	s_mov_b32 s6, -1
                                        ; implicit-def: $vgpr1
.LBB17_1476:
	s_delay_alu instid0(SALU_CYCLE_1)
	s_and_not1_b32 vcc_lo, exec_lo, s6
	s_cbranch_vccnz .LBB17_1478
; %bb.1477:
	global_load_u16 v1, v[6:7], off
	s_wait_loadcnt 0x0
	v_cvt_f32_u32_e32 v1, v1
.LBB17_1478:
	s_mov_b32 s6, 0
.LBB17_1479:
	s_delay_alu instid0(SALU_CYCLE_1)
	s_and_not1_b32 vcc_lo, exec_lo, s6
	s_cbranch_vccnz .LBB17_1487
; %bb.1480:
	global_load_u8 v3, v[6:7], off
	s_mov_b32 s6, 0
	s_mov_b32 s7, exec_lo
	s_wait_loadcnt 0x0
	v_cmpx_lt_i16_e32 0x7f, v3
	s_xor_b32 s7, exec_lo, s7
	s_cbranch_execz .LBB17_1501
; %bb.1481:
	s_mov_b32 s6, -1
	s_mov_b32 s12, exec_lo
	v_cmpx_eq_u16_e32 0x80, v3
; %bb.1482:
	s_xor_b32 s6, exec_lo, -1
; %bb.1483:
	s_or_b32 exec_lo, exec_lo, s12
	s_delay_alu instid0(SALU_CYCLE_1)
	s_and_b32 s6, s6, exec_lo
	s_or_saveexec_b32 s7, s7
	v_mov_b32_e32 v1, 0x7f800001
	s_xor_b32 exec_lo, exec_lo, s7
	s_cbranch_execnz .LBB17_1502
.LBB17_1484:
	s_or_b32 exec_lo, exec_lo, s7
	s_and_saveexec_b32 s7, s6
	s_cbranch_execz .LBB17_1486
.LBB17_1485:
	v_and_b32_e32 v1, 0xffff, v3
	s_delay_alu instid0(VALU_DEP_1) | instskip(SKIP_1) | instid1(VALU_DEP_2)
	v_dual_lshlrev_b32 v3, 24, v3 :: v_dual_bitop2_b32 v5, 7, v1 bitop3:0x40
	v_bfe_u32 v11, v1, 3, 4
	v_and_b32_e32 v3, 0x80000000, v3
	s_delay_alu instid0(VALU_DEP_3) | instskip(NEXT) | instid1(VALU_DEP_3)
	v_clz_i32_u32_e32 v9, v5
	v_cmp_eq_u32_e32 vcc_lo, 0, v11
	s_delay_alu instid0(VALU_DEP_2) | instskip(NEXT) | instid1(VALU_DEP_1)
	v_min_u32_e32 v9, 32, v9
	v_subrev_nc_u32_e32 v10, 28, v9
	v_sub_nc_u32_e32 v9, 29, v9
	s_delay_alu instid0(VALU_DEP_2) | instskip(NEXT) | instid1(VALU_DEP_2)
	v_lshlrev_b32_e32 v1, v10, v1
	v_cndmask_b32_e32 v9, v11, v9, vcc_lo
	s_delay_alu instid0(VALU_DEP_2) | instskip(NEXT) | instid1(VALU_DEP_1)
	v_and_b32_e32 v1, 7, v1
	v_cndmask_b32_e32 v1, v5, v1, vcc_lo
	s_delay_alu instid0(VALU_DEP_3) | instskip(NEXT) | instid1(VALU_DEP_2)
	v_lshl_add_u32 v5, v9, 23, 0x3b800000
	v_lshlrev_b32_e32 v1, 20, v1
	s_delay_alu instid0(VALU_DEP_1)
	v_or3_b32 v1, v3, v5, v1
.LBB17_1486:
	s_or_b32 exec_lo, exec_lo, s7
.LBB17_1487:
	s_mov_b32 s6, -1
.LBB17_1488:
	s_mov_b32 s7, 0
.LBB17_1489:
	s_delay_alu instid0(SALU_CYCLE_1)
	s_and_b32 vcc_lo, exec_lo, s7
	s_cbranch_vccz .LBB17_1522
; %bb.1490:
	s_cmp_gt_i32 s9, 22
	s_cbranch_scc0 .LBB17_1500
; %bb.1491:
	s_cmp_lt_i32 s9, 24
	s_cbranch_scc1 .LBB17_1503
; %bb.1492:
	s_cmp_gt_i32 s9, 24
	s_cbranch_scc0 .LBB17_1504
; %bb.1493:
	global_load_u8 v3, v[6:7], off
	s_mov_b32 s6, exec_lo
	s_wait_loadcnt 0x0
	v_cmpx_lt_i16_e32 0x7f, v3
	s_xor_b32 s6, exec_lo, s6
	s_cbranch_execz .LBB17_1516
; %bb.1494:
	s_mov_b32 s3, -1
	s_mov_b32 s7, exec_lo
	v_cmpx_eq_u16_e32 0x80, v3
; %bb.1495:
	s_xor_b32 s3, exec_lo, -1
; %bb.1496:
	s_or_b32 exec_lo, exec_lo, s7
	s_delay_alu instid0(SALU_CYCLE_1)
	s_and_b32 s3, s3, exec_lo
	s_or_saveexec_b32 s6, s6
	v_mov_b32_e32 v1, 0x7f800001
	s_xor_b32 exec_lo, exec_lo, s6
	s_cbranch_execnz .LBB17_1517
.LBB17_1497:
	s_or_b32 exec_lo, exec_lo, s6
	s_and_saveexec_b32 s6, s3
	s_cbranch_execz .LBB17_1499
.LBB17_1498:
	v_and_b32_e32 v1, 0xffff, v3
	s_delay_alu instid0(VALU_DEP_1) | instskip(SKIP_1) | instid1(VALU_DEP_2)
	v_dual_lshlrev_b32 v3, 24, v3 :: v_dual_bitop2_b32 v5, 3, v1 bitop3:0x40
	v_bfe_u32 v11, v1, 2, 5
	v_and_b32_e32 v3, 0x80000000, v3
	s_delay_alu instid0(VALU_DEP_3) | instskip(NEXT) | instid1(VALU_DEP_3)
	v_clz_i32_u32_e32 v9, v5
	v_cmp_eq_u32_e32 vcc_lo, 0, v11
	s_delay_alu instid0(VALU_DEP_2) | instskip(NEXT) | instid1(VALU_DEP_1)
	v_min_u32_e32 v9, 32, v9
	v_subrev_nc_u32_e32 v10, 29, v9
	v_sub_nc_u32_e32 v9, 30, v9
	s_delay_alu instid0(VALU_DEP_2) | instskip(NEXT) | instid1(VALU_DEP_2)
	v_lshlrev_b32_e32 v1, v10, v1
	v_cndmask_b32_e32 v9, v11, v9, vcc_lo
	s_delay_alu instid0(VALU_DEP_2) | instskip(NEXT) | instid1(VALU_DEP_1)
	v_and_b32_e32 v1, 3, v1
	v_cndmask_b32_e32 v1, v5, v1, vcc_lo
	s_delay_alu instid0(VALU_DEP_3) | instskip(NEXT) | instid1(VALU_DEP_2)
	v_lshl_add_u32 v5, v9, 23, 0x37800000
	v_lshlrev_b32_e32 v1, 21, v1
	s_delay_alu instid0(VALU_DEP_1)
	v_or3_b32 v1, v3, v5, v1
.LBB17_1499:
	s_or_b32 exec_lo, exec_lo, s6
	s_mov_b32 s3, 0
	s_branch .LBB17_1505
.LBB17_1500:
	s_mov_b32 s3, -1
                                        ; implicit-def: $vgpr1
	s_branch .LBB17_1511
.LBB17_1501:
	s_or_saveexec_b32 s7, s7
	v_mov_b32_e32 v1, 0x7f800001
	s_xor_b32 exec_lo, exec_lo, s7
	s_cbranch_execz .LBB17_1484
.LBB17_1502:
	v_cmp_ne_u16_e32 vcc_lo, 0, v3
	v_mov_b32_e32 v1, 0
	s_and_not1_b32 s6, s6, exec_lo
	s_and_b32 s12, vcc_lo, exec_lo
	s_delay_alu instid0(SALU_CYCLE_1)
	s_or_b32 s6, s6, s12
	s_or_b32 exec_lo, exec_lo, s7
	s_and_saveexec_b32 s7, s6
	s_cbranch_execnz .LBB17_1485
	s_branch .LBB17_1486
.LBB17_1503:
	s_mov_b32 s3, -1
                                        ; implicit-def: $vgpr1
	s_branch .LBB17_1508
.LBB17_1504:
	s_mov_b32 s3, -1
                                        ; implicit-def: $vgpr1
.LBB17_1505:
	s_delay_alu instid0(SALU_CYCLE_1)
	s_and_b32 vcc_lo, exec_lo, s3
	s_cbranch_vccz .LBB17_1507
; %bb.1506:
	global_load_u8 v1, v[6:7], off
	s_wait_loadcnt 0x0
	v_lshlrev_b32_e32 v1, 24, v1
	s_delay_alu instid0(VALU_DEP_1) | instskip(NEXT) | instid1(VALU_DEP_1)
	v_and_b32_e32 v3, 0x7f000000, v1
	v_clz_i32_u32_e32 v5, v3
	v_cmp_ne_u32_e32 vcc_lo, 0, v3
	v_add_nc_u32_e32 v10, 0x1000000, v3
	s_delay_alu instid0(VALU_DEP_3) | instskip(NEXT) | instid1(VALU_DEP_1)
	v_min_u32_e32 v5, 32, v5
	v_sub_nc_u32_e64 v5, v5, 4 clamp
	s_delay_alu instid0(VALU_DEP_1) | instskip(NEXT) | instid1(VALU_DEP_1)
	v_dual_lshlrev_b32 v9, v5, v3 :: v_dual_lshlrev_b32 v5, 23, v5
	v_lshrrev_b32_e32 v9, 4, v9
	s_delay_alu instid0(VALU_DEP_1) | instskip(NEXT) | instid1(VALU_DEP_1)
	v_dual_sub_nc_u32 v5, v9, v5 :: v_dual_ashrrev_i32 v9, 8, v10
	v_add_nc_u32_e32 v5, 0x3c000000, v5
	s_delay_alu instid0(VALU_DEP_1) | instskip(NEXT) | instid1(VALU_DEP_1)
	v_and_or_b32 v5, 0x7f800000, v9, v5
	v_cndmask_b32_e32 v3, 0, v5, vcc_lo
	s_delay_alu instid0(VALU_DEP_1)
	v_and_or_b32 v1, 0x80000000, v1, v3
.LBB17_1507:
	s_mov_b32 s3, 0
.LBB17_1508:
	s_delay_alu instid0(SALU_CYCLE_1)
	s_and_not1_b32 vcc_lo, exec_lo, s3
	s_cbranch_vccnz .LBB17_1510
; %bb.1509:
	global_load_u8 v1, v[6:7], off
	s_wait_loadcnt 0x0
	v_lshlrev_b32_e32 v3, 25, v1
	v_lshlrev_b16 v1, 8, v1
	s_delay_alu instid0(VALU_DEP_2) | instskip(NEXT) | instid1(VALU_DEP_2)
	v_cmp_gt_u32_e32 vcc_lo, 0x8000000, v3
	v_and_or_b32 v9, 0x7f00, v1, 0.5
	v_lshrrev_b32_e32 v5, 4, v3
	v_bfe_i32 v1, v1, 0, 16
	s_delay_alu instid0(VALU_DEP_3) | instskip(NEXT) | instid1(VALU_DEP_3)
	v_add_f32_e32 v9, -0.5, v9
	v_or_b32_e32 v5, 0x70000000, v5
	s_delay_alu instid0(VALU_DEP_1) | instskip(NEXT) | instid1(VALU_DEP_1)
	v_mul_f32_e32 v5, 0x7800000, v5
	v_cndmask_b32_e32 v3, v5, v9, vcc_lo
	s_delay_alu instid0(VALU_DEP_1)
	v_and_or_b32 v1, 0x80000000, v1, v3
.LBB17_1510:
	s_mov_b32 s3, 0
	s_mov_b32 s6, -1
.LBB17_1511:
	s_and_not1_b32 vcc_lo, exec_lo, s3
	s_mov_b32 s3, 0
	s_cbranch_vccnz .LBB17_1522
; %bb.1512:
	s_cmp_gt_i32 s9, 14
	s_cbranch_scc0 .LBB17_1515
; %bb.1513:
	s_cmp_eq_u32 s9, 15
	s_cbranch_scc0 .LBB17_1518
; %bb.1514:
	global_load_u16 v1, v[6:7], off
	s_mov_b32 s0, 0
	s_mov_b32 s6, -1
	s_wait_loadcnt 0x0
	v_lshlrev_b32_e32 v1, 16, v1
	s_branch .LBB17_1520
.LBB17_1515:
	s_mov_b32 s3, -1
	s_branch .LBB17_1519
.LBB17_1516:
	s_or_saveexec_b32 s6, s6
	v_mov_b32_e32 v1, 0x7f800001
	s_xor_b32 exec_lo, exec_lo, s6
	s_cbranch_execz .LBB17_1497
.LBB17_1517:
	v_cmp_ne_u16_e32 vcc_lo, 0, v3
	v_mov_b32_e32 v1, 0
	s_and_not1_b32 s3, s3, exec_lo
	s_and_b32 s7, vcc_lo, exec_lo
	s_delay_alu instid0(SALU_CYCLE_1)
	s_or_b32 s3, s3, s7
	s_or_b32 exec_lo, exec_lo, s6
	s_and_saveexec_b32 s6, s3
	s_cbranch_execnz .LBB17_1498
	s_branch .LBB17_1499
.LBB17_1518:
	s_mov_b32 s0, -1
.LBB17_1519:
                                        ; implicit-def: $vgpr1
.LBB17_1520:
	s_and_b32 vcc_lo, exec_lo, s3
	s_mov_b32 s3, 0
	s_cbranch_vccz .LBB17_1522
; %bb.1521:
	s_cmp_lg_u32 s9, 11
	s_mov_b32 s3, -1
	s_cselect_b32 s0, -1, 0
.LBB17_1522:
	s_delay_alu instid0(SALU_CYCLE_1)
	s_and_b32 vcc_lo, exec_lo, s0
	s_cbranch_vccnz .LBB17_2060
; %bb.1523:
	s_and_not1_b32 vcc_lo, exec_lo, s3
	s_cbranch_vccnz .LBB17_1525
.LBB17_1524:
	global_load_u8 v1, v[6:7], off
	s_mov_b32 s6, -1
	s_wait_loadcnt 0x0
	v_cmp_ne_u16_e32 vcc_lo, 0, v1
	v_cndmask_b32_e64 v1, 0, 1.0, vcc_lo
.LBB17_1525:
	s_mov_b32 s0, 0
.LBB17_1526:
	s_delay_alu instid0(SALU_CYCLE_1)
	s_and_b32 vcc_lo, exec_lo, s0
	s_cbranch_vccz .LBB17_1575
; %bb.1527:
	s_cmp_lt_i32 s9, 5
	s_cbranch_scc1 .LBB17_1532
; %bb.1528:
	s_cmp_lt_i32 s9, 8
	s_cbranch_scc1 .LBB17_1533
	;; [unrolled: 3-line block ×3, first 2 shown]
; %bb.1530:
	s_cmp_gt_i32 s9, 9
	s_cbranch_scc0 .LBB17_1535
; %bb.1531:
	global_load_b64 v[10:11], v[6:7], off
	s_mov_b32 s0, 0
	s_wait_loadcnt 0x0
	v_cvt_f32_f64_e32 v1, v[10:11]
	s_branch .LBB17_1536
.LBB17_1532:
	s_mov_b32 s0, -1
                                        ; implicit-def: $vgpr1
	s_branch .LBB17_1554
.LBB17_1533:
	s_mov_b32 s0, -1
                                        ; implicit-def: $vgpr1
	s_branch .LBB17_1542
.LBB17_1534:
	s_mov_b32 s0, -1
                                        ; implicit-def: $vgpr1
	s_branch .LBB17_1539
.LBB17_1535:
	s_mov_b32 s0, -1
                                        ; implicit-def: $vgpr1
.LBB17_1536:
	s_delay_alu instid0(SALU_CYCLE_1)
	s_and_not1_b32 vcc_lo, exec_lo, s0
	s_cbranch_vccnz .LBB17_1538
; %bb.1537:
	global_load_b32 v1, v[6:7], off
.LBB17_1538:
	s_mov_b32 s0, 0
.LBB17_1539:
	s_delay_alu instid0(SALU_CYCLE_1)
	s_and_not1_b32 vcc_lo, exec_lo, s0
	s_cbranch_vccnz .LBB17_1541
; %bb.1540:
	s_wait_loadcnt 0x0
	global_load_b32 v1, v[6:7], off
	s_wait_loadcnt 0x0
	v_cvt_f32_f16_e32 v1, v1
.LBB17_1541:
	s_mov_b32 s0, 0
.LBB17_1542:
	s_delay_alu instid0(SALU_CYCLE_1)
	s_and_not1_b32 vcc_lo, exec_lo, s0
	s_cbranch_vccnz .LBB17_1553
; %bb.1543:
	s_cmp_lt_i32 s9, 6
	s_cbranch_scc1 .LBB17_1546
; %bb.1544:
	s_cmp_gt_i32 s9, 6
	s_cbranch_scc0 .LBB17_1547
; %bb.1545:
	global_load_b64 v[10:11], v[6:7], off
	s_mov_b32 s0, 0
	s_wait_loadcnt 0x0
	v_cvt_f32_f64_e32 v1, v[10:11]
	s_branch .LBB17_1548
.LBB17_1546:
	s_mov_b32 s0, -1
                                        ; implicit-def: $vgpr1
	s_branch .LBB17_1551
.LBB17_1547:
	s_mov_b32 s0, -1
                                        ; implicit-def: $vgpr1
.LBB17_1548:
	s_delay_alu instid0(SALU_CYCLE_1)
	s_and_not1_b32 vcc_lo, exec_lo, s0
	s_cbranch_vccnz .LBB17_1550
; %bb.1549:
	s_wait_loadcnt 0x0
	global_load_b32 v1, v[6:7], off
.LBB17_1550:
	s_mov_b32 s0, 0
.LBB17_1551:
	s_delay_alu instid0(SALU_CYCLE_1)
	s_and_not1_b32 vcc_lo, exec_lo, s0
	s_cbranch_vccnz .LBB17_1553
; %bb.1552:
	s_wait_loadcnt 0x0
	global_load_u16 v1, v[6:7], off
	s_wait_loadcnt 0x0
	v_cvt_f32_f16_e32 v1, v1
.LBB17_1553:
	s_mov_b32 s0, 0
.LBB17_1554:
	s_delay_alu instid0(SALU_CYCLE_1)
	s_and_not1_b32 vcc_lo, exec_lo, s0
	s_cbranch_vccnz .LBB17_1574
; %bb.1555:
	s_cmp_lt_i32 s9, 2
	s_cbranch_scc1 .LBB17_1559
; %bb.1556:
	s_cmp_lt_i32 s9, 3
	s_cbranch_scc1 .LBB17_1560
; %bb.1557:
	s_cmp_gt_i32 s9, 3
	s_cbranch_scc0 .LBB17_1561
; %bb.1558:
	global_load_b64 v[10:11], v[6:7], off
	s_mov_b32 s0, 0
	s_wait_loadcnt 0x0
	v_xor_b32_e32 v1, v10, v11
	v_cls_i32_e32 v3, v11
	s_delay_alu instid0(VALU_DEP_2) | instskip(NEXT) | instid1(VALU_DEP_1)
	v_ashrrev_i32_e32 v1, 31, v1
	v_add_nc_u32_e32 v1, 32, v1
	s_delay_alu instid0(VALU_DEP_1) | instskip(NEXT) | instid1(VALU_DEP_1)
	v_add_min_u32_e64 v1, v3, -1, v1
	v_lshlrev_b64_e32 v[10:11], v1, v[10:11]
	v_sub_nc_u32_e32 v1, 32, v1
	s_delay_alu instid0(VALU_DEP_2) | instskip(NEXT) | instid1(VALU_DEP_1)
	v_min_u32_e32 v3, 1, v10
	v_or_b32_e32 v3, v11, v3
	s_delay_alu instid0(VALU_DEP_1) | instskip(NEXT) | instid1(VALU_DEP_1)
	v_cvt_f32_i32_e32 v3, v3
	v_ldexp_f32 v1, v3, v1
	s_branch .LBB17_1562
.LBB17_1559:
	s_mov_b32 s0, -1
                                        ; implicit-def: $vgpr1
	s_branch .LBB17_1568
.LBB17_1560:
	s_mov_b32 s0, -1
                                        ; implicit-def: $vgpr1
	s_branch .LBB17_1565
.LBB17_1561:
	s_mov_b32 s0, -1
                                        ; implicit-def: $vgpr1
.LBB17_1562:
	s_delay_alu instid0(SALU_CYCLE_1)
	s_and_not1_b32 vcc_lo, exec_lo, s0
	s_cbranch_vccnz .LBB17_1564
; %bb.1563:
	s_wait_loadcnt 0x0
	global_load_b32 v1, v[6:7], off
	s_wait_loadcnt 0x0
	v_cvt_f32_i32_e32 v1, v1
.LBB17_1564:
	s_mov_b32 s0, 0
.LBB17_1565:
	s_delay_alu instid0(SALU_CYCLE_1)
	s_and_not1_b32 vcc_lo, exec_lo, s0
	s_cbranch_vccnz .LBB17_1567
; %bb.1566:
	s_wait_loadcnt 0x0
	global_load_i16 v1, v[6:7], off
	s_wait_loadcnt 0x0
	v_cvt_f32_i32_e32 v1, v1
.LBB17_1567:
	s_mov_b32 s0, 0
.LBB17_1568:
	s_delay_alu instid0(SALU_CYCLE_1)
	s_and_not1_b32 vcc_lo, exec_lo, s0
	s_cbranch_vccnz .LBB17_1574
; %bb.1569:
	s_cmp_gt_i32 s9, 0
	s_mov_b32 s0, 0
	s_cbranch_scc0 .LBB17_1571
; %bb.1570:
	s_wait_loadcnt 0x0
	global_load_i8 v1, v[6:7], off
	s_wait_loadcnt 0x0
	v_cvt_f32_i32_e32 v1, v1
	s_branch .LBB17_1572
.LBB17_1571:
	s_mov_b32 s0, -1
                                        ; implicit-def: $vgpr1
.LBB17_1572:
	s_delay_alu instid0(SALU_CYCLE_1)
	s_and_not1_b32 vcc_lo, exec_lo, s0
	s_cbranch_vccnz .LBB17_1574
; %bb.1573:
	s_wait_loadcnt 0x0
	global_load_u8 v1, v[6:7], off
	s_wait_loadcnt 0x0
	v_cvt_f32_ubyte0_e32 v1, v1
.LBB17_1574:
	s_mov_b32 s6, -1
.LBB17_1575:
	s_delay_alu instid0(SALU_CYCLE_1)
	s_and_not1_b32 vcc_lo, exec_lo, s6
	s_cbranch_vccnz .LBB17_1658
; %bb.1576:
	s_wait_loadcnt 0x0
	s_delay_alu instid0(VALU_DEP_1) | instskip(SKIP_3) | instid1(SALU_CYCLE_1)
	v_cmp_ge_f32_e64 s0, 0x41000000, |v1|
	v_mul_f32_e64 v3, 0x3fb8aa3b, |v1|
                                        ; implicit-def: $vgpr6
	s_wait_xcnt 0x0
	s_and_saveexec_b32 s3, s0
	s_xor_b32 s0, exec_lo, s3
	s_cbranch_execz .LBB17_1578
; %bb.1577:
	v_fma_f32 v5, |v1|, 0.5, -2.0
	v_rndne_f32_e32 v9, v3
	v_fma_f32 v10, 0x3fb8aa3b, |v1|, -v3
	s_mov_b32 s3, 0xa2a2e5b9
	v_cmp_ngt_f32_e64 vcc_lo, 0xc2ce8ed0, |v1|
	s_delay_alu instid0(VALU_DEP_3) | instskip(NEXT) | instid1(VALU_DEP_3)
	v_sub_f32_e32 v3, v3, v9
	v_fma_f32 v10, 0x32a5705f, |v1|, v10
	v_fmaak_f32 v6, s3, v5, 0x24199b15
	v_cvt_i32_f32_e32 v9, v9
	s_delay_alu instid0(VALU_DEP_3) | instskip(NEXT) | instid1(VALU_DEP_3)
	v_add_f32_e32 v3, v3, v10
	v_fmaak_f32 v7, v5, v6, 0x22a2e5b9
	s_delay_alu instid0(VALU_DEP_2) | instskip(NEXT) | instid1(VALU_DEP_1)
	v_exp_f32_e32 v3, v3
	v_add_f32_e32 v7, 0xa58c275c, v7
	s_delay_alu instid0(VALU_DEP_1) | instskip(NEXT) | instid1(TRANS32_DEP_1)
	v_fma_f32 v6, v5, v7, -v6
	v_ldexp_f32 v3, v3, v9
	s_delay_alu instid0(VALU_DEP_1) | instskip(SKIP_1) | instid1(VALU_DEP_2)
	v_dual_add_f32 v6, 0x26f736c5, v6 :: v_dual_cndmask_b32 v3, 0, v3
	v_cmp_nlt_f32_e64 vcc_lo, 0x42b17218, |v1|
	v_fma_f32 v7, v5, v6, -v7
	s_delay_alu instid0(VALU_DEP_3) | instskip(NEXT) | instid1(VALU_DEP_2)
	v_cndmask_b32_e32 v1, 0x7f800000, v3, vcc_lo
	v_add_f32_e32 v7, 0xa8528116, v7
	s_delay_alu instid0(VALU_DEP_1) | instskip(NEXT) | instid1(VALU_DEP_1)
	v_fma_f32 v6, v5, v7, -v6
	v_add_f32_e32 v6, 0x29acda32, v6
	s_delay_alu instid0(VALU_DEP_1) | instskip(NEXT) | instid1(VALU_DEP_1)
	v_fma_f32 v7, v5, v6, -v7
	v_add_f32_e32 v7, 0xab08b263, v7
	s_delay_alu instid0(VALU_DEP_1) | instskip(NEXT) | instid1(VALU_DEP_1)
	v_fma_f32 v6, v5, v7, -v6
	v_add_f32_e32 v6, 0x2c4ff17f, v6
	s_delay_alu instid0(VALU_DEP_1) | instskip(NEXT) | instid1(VALU_DEP_1)
	v_fma_f32 v7, v5, v6, -v7
	v_add_f32_e32 v7, 0xad97e4ac, v7
	s_delay_alu instid0(VALU_DEP_1) | instskip(NEXT) | instid1(VALU_DEP_1)
	v_fma_f32 v6, v5, v7, -v6
	v_add_f32_e32 v6, 0x2ed4c5f6, v6
	s_delay_alu instid0(VALU_DEP_1) | instskip(NEXT) | instid1(VALU_DEP_1)
	v_fma_f32 v7, v5, v6, -v7
	v_add_f32_e32 v7, 0xb00ea7f1, v7
	s_delay_alu instid0(VALU_DEP_1) | instskip(NEXT) | instid1(VALU_DEP_1)
	v_fma_f32 v6, v5, v7, -v6
	v_add_f32_e32 v6, 0x3136c81d, v6
	s_delay_alu instid0(VALU_DEP_1) | instskip(NEXT) | instid1(VALU_DEP_1)
	v_fma_f32 v7, v5, v6, -v7
	v_add_f32_e32 v7, 0xb25f57b4, v7
	s_delay_alu instid0(VALU_DEP_1) | instskip(NEXT) | instid1(VALU_DEP_1)
	v_fma_f32 v6, v5, v7, -v6
	v_add_f32_e32 v6, 0x3381dbb5, v6
	s_delay_alu instid0(VALU_DEP_1) | instskip(NEXT) | instid1(VALU_DEP_1)
	v_fma_f32 v7, v5, v6, -v7
	v_add_f32_e32 v7, 0xb48f631c, v7
	s_delay_alu instid0(VALU_DEP_1) | instskip(NEXT) | instid1(VALU_DEP_1)
	v_fma_f32 v6, v5, v7, -v6
	v_add_f32_e32 v6, 0x3595f925, v6
	s_delay_alu instid0(VALU_DEP_1) | instskip(NEXT) | instid1(VALU_DEP_1)
	v_fma_f32 v7, v5, v6, -v7
	v_add_f32_e32 v7, 0xb694337e, v7
	s_delay_alu instid0(VALU_DEP_1) | instskip(NEXT) | instid1(VALU_DEP_1)
	v_fma_f32 v6, v5, v7, -v6
	v_add_f32_e32 v6, 0x3789fac6, v6
	s_delay_alu instid0(VALU_DEP_1) | instskip(NEXT) | instid1(VALU_DEP_1)
	v_fma_f32 v7, v5, v6, -v7
	v_add_f32_e32 v7, 0xb8715933, v7
	s_delay_alu instid0(VALU_DEP_1) | instskip(NEXT) | instid1(VALU_DEP_1)
	v_fma_f32 v6, v5, v7, -v6
	v_add_f32_e32 v6, 0x3945a8dc, v6
	s_delay_alu instid0(VALU_DEP_1) | instskip(NEXT) | instid1(VALU_DEP_1)
	v_fma_f32 v7, v5, v6, -v7
	v_add_f32_e32 v7, 0xba1717e9, v7
	s_delay_alu instid0(VALU_DEP_1) | instskip(NEXT) | instid1(VALU_DEP_1)
	v_fma_f32 v6, v5, v7, -v6
	v_add_f32_e32 v6, 0x3ad6e3ac, v6
	s_delay_alu instid0(VALU_DEP_1) | instskip(NEXT) | instid1(VALU_DEP_1)
	v_fma_f32 v7, v5, v6, -v7
	v_add_f32_e32 v7, 0xbb8db2f1, v7
	s_delay_alu instid0(VALU_DEP_1) | instskip(NEXT) | instid1(VALU_DEP_1)
	v_fma_f32 v6, v5, v7, -v6
	v_add_f32_e32 v6, 0x3c2ccb10, v6
	s_delay_alu instid0(VALU_DEP_1) | instskip(NEXT) | instid1(VALU_DEP_1)
	v_fma_f32 v7, v5, v6, -v7
	v_add_f32_e32 v7, 0xbcc274f8, v7
	s_delay_alu instid0(VALU_DEP_1) | instskip(NEXT) | instid1(VALU_DEP_1)
	v_fma_f32 v6, v5, v7, -v6
	v_add_f32_e32 v6, 0x3d49f456, v6
	s_delay_alu instid0(VALU_DEP_1) | instskip(NEXT) | instid1(VALU_DEP_1)
	v_fma_f32 v7, v5, v6, -v7
	v_add_f32_e32 v7, 0xbdc25b82, v7
	s_delay_alu instid0(VALU_DEP_1) | instskip(NEXT) | instid1(VALU_DEP_1)
	v_fma_f32 v6, v5, v7, -v6
	v_add_f32_e32 v6, 0x3e2fbd64, v6
	s_delay_alu instid0(VALU_DEP_1) | instskip(NEXT) | instid1(VALU_DEP_1)
	v_fma_f32 v7, v5, v6, -v7
	v_add_f32_e32 v7, 0xbe9bff5e, v7
	s_delay_alu instid0(VALU_DEP_1) | instskip(NEXT) | instid1(VALU_DEP_1)
	v_fma_f32 v5, v5, v7, -v6
	v_add_f32_e32 v5, 0x3f2d4275, v5
	s_delay_alu instid0(VALU_DEP_1) | instskip(NEXT) | instid1(VALU_DEP_1)
	v_sub_f32_e32 v5, v5, v6
	v_mul_f32_e32 v3, 0.5, v5
	s_delay_alu instid0(VALU_DEP_1)
	v_mul_f32_e32 v6, v1, v3
                                        ; implicit-def: $vgpr1
                                        ; implicit-def: $vgpr3
.LBB17_1578:
	s_and_not1_saveexec_b32 s3, s0
	s_cbranch_execz .LBB17_1580
; %bb.1579:
	v_and_b32_e32 v5, 0x7fffffff, v1
	s_mov_b32 s0, 0xa3056dbb
	v_fma_f32 v11, 0x3fb8aa3b, |v1|, -v3
	s_delay_alu instid0(VALU_DEP_2) | instskip(SKIP_1) | instid1(VALU_DEP_3)
	v_div_scale_f32 v6, null, v5, v5, 0x42000000
	v_div_scale_f32 v5, vcc_lo, 0x42000000, v5, 0x42000000
	v_fma_f32 v11, 0x32a5705f, |v1|, v11
	s_delay_alu instid0(VALU_DEP_3) | instskip(SKIP_1) | instid1(TRANS32_DEP_1)
	v_rcp_f32_e32 v7, v6
	v_nop
	v_fma_f32 v9, -v6, v7, 1.0
	s_delay_alu instid0(VALU_DEP_1) | instskip(NEXT) | instid1(VALU_DEP_1)
	v_fmac_f32_e32 v7, v9, v7
	v_mul_f32_e32 v9, v5, v7
	s_delay_alu instid0(VALU_DEP_1) | instskip(NEXT) | instid1(VALU_DEP_1)
	v_fma_f32 v10, -v6, v9, v5
	v_fmac_f32_e32 v9, v10, v7
	v_rndne_f32_e32 v10, v3
	s_delay_alu instid0(VALU_DEP_1) | instskip(SKIP_1) | instid1(VALU_DEP_2)
	v_dual_fma_f32 v5, -v6, v9, v5 :: v_dual_sub_f32 v3, v3, v10
	v_cvt_i32_f32_e32 v10, v10
	v_div_fmas_f32 v5, v5, v7, v9
	v_mul_f32_e64 v9, 0x4f800000, |v1|
	v_cmp_gt_f32_e64 vcc_lo, 0xf800000, |v1|
	v_add_f32_e32 v3, v3, v11
	s_delay_alu instid0(VALU_DEP_4) | instskip(NEXT) | instid1(VALU_DEP_3)
	v_div_fixup_f32 v5, v5, |v1|, 0x42000000
	v_cndmask_b32_e64 v9, |v1|, v9, vcc_lo
	s_delay_alu instid0(VALU_DEP_3) | instskip(NEXT) | instid1(VALU_DEP_2)
	v_exp_f32_e32 v3, v3
	v_add_f32_e32 v5, -2.0, v5
	s_delay_alu instid0(VALU_DEP_2) | instskip(NEXT) | instid1(VALU_DEP_1)
	v_sqrt_f32_e32 v12, v9
	v_fmaak_f32 v6, s0, v5, 0xa2b236d3
	s_delay_alu instid0(TRANS32_DEP_2) | instskip(NEXT) | instid1(TRANS32_DEP_1)
	v_ldexp_f32 v3, v3, v10
	v_add_nc_u32_e32 v13, -1, v12
	s_delay_alu instid0(VALU_DEP_3) | instskip(NEXT) | instid1(VALU_DEP_2)
	v_fmaak_f32 v7, v5, v6, 0x23056dbb
	v_dual_add_nc_u32 v11, 1, v12 :: v_dual_fma_f32 v14, -v13, v12, v9
	s_delay_alu instid0(VALU_DEP_2) | instskip(NEXT) | instid1(VALU_DEP_2)
	v_add_f32_e32 v7, 0x244df0c1, v7
	v_fma_f32 v15, -v11, v12, v9
	s_delay_alu instid0(VALU_DEP_3) | instskip(NEXT) | instid1(VALU_DEP_1)
	v_cmp_ge_f32_e64 s0, 0, v14
	v_dual_fma_f32 v6, v5, v7, -v6 :: v_dual_cndmask_b32 v12, v12, v13, s0
	s_delay_alu instid0(VALU_DEP_1) | instskip(NEXT) | instid1(VALU_DEP_4)
	v_add_f32_e32 v6, 0x241f9ee8, v6
	v_cmp_lt_f32_e64 s0, 0, v15
	s_delay_alu instid0(VALU_DEP_2) | instskip(NEXT) | instid1(VALU_DEP_1)
	v_fma_f32 v7, v5, v6, -v7
	v_add_f32_e32 v7, 0xa5a3005d, v7
	s_delay_alu instid0(VALU_DEP_1) | instskip(NEXT) | instid1(VALU_DEP_1)
	v_fma_f32 v6, v5, v7, -v6
	v_add_f32_e32 v6, 0xa5c5773f, v6
	s_delay_alu instid0(VALU_DEP_1) | instskip(NEXT) | instid1(VALU_DEP_1)
	;; [unrolled: 3-line block ×19, first 2 shown]
	v_fma_f32 v6, v5, v7, -v6
	v_add_f32_e32 v6, 0x3b5ccc65, v6
	s_delay_alu instid0(VALU_DEP_1) | instskip(SKIP_1) | instid1(VALU_DEP_2)
	v_dual_fma_f32 v5, v5, v6, -v7 :: v_dual_cndmask_b32 v6, v12, v11, s0
	v_cmp_ngt_f32_e64 s0, 0xc2ce8ed0, |v1|
	v_add_f32_e32 v5, 0x3f4df315, v5
	s_delay_alu instid0(VALU_DEP_3) | instskip(NEXT) | instid1(VALU_DEP_3)
	v_mul_f32_e32 v10, 0x37800000, v6
	v_cndmask_b32_e64 v3, 0, v3, s0
	v_cmp_nlt_f32_e64 s0, 0x42b17218, |v1|
	s_delay_alu instid0(VALU_DEP_4) | instskip(NEXT) | instid1(VALU_DEP_2)
	v_sub_f32_e32 v5, v5, v7
	v_cndmask_b32_e64 v1, 0x7f800000, v3, s0
	s_delay_alu instid0(VALU_DEP_2) | instskip(SKIP_1) | instid1(VALU_DEP_2)
	v_dual_cndmask_b32 v3, v6, v10, vcc_lo :: v_dual_mul_f32 v5, 0.5, v5
	v_cmp_class_f32_e64 vcc_lo, v9, 0x260
	v_mul_f32_e32 v1, v1, v5
	s_delay_alu instid0(VALU_DEP_3) | instskip(NEXT) | instid1(VALU_DEP_1)
	v_cndmask_b32_e32 v3, v3, v9, vcc_lo
	v_div_scale_f32 v5, null, v3, v3, v1
	s_delay_alu instid0(VALU_DEP_1) | instskip(SKIP_1) | instid1(TRANS32_DEP_1)
	v_rcp_f32_e32 v6, v5
	v_nop
	v_fma_f32 v7, -v5, v6, 1.0
	s_delay_alu instid0(VALU_DEP_1) | instskip(SKIP_1) | instid1(VALU_DEP_1)
	v_fmac_f32_e32 v6, v7, v6
	v_div_scale_f32 v7, vcc_lo, v1, v3, v1
	v_mul_f32_e32 v9, v7, v6
	s_delay_alu instid0(VALU_DEP_1) | instskip(NEXT) | instid1(VALU_DEP_1)
	v_fma_f32 v10, -v5, v9, v7
	v_fmac_f32_e32 v9, v10, v6
	s_delay_alu instid0(VALU_DEP_1) | instskip(NEXT) | instid1(VALU_DEP_1)
	v_fma_f32 v5, -v5, v9, v7
	v_div_fmas_f32 v5, v5, v6, v9
	s_delay_alu instid0(VALU_DEP_1)
	v_div_fixup_f32 v6, v5, v3, v1
.LBB17_1580:
	s_or_b32 exec_lo, exec_lo, s3
	v_mul_lo_u32 v8, s2, v8
	s_and_b32 s12, s8, 0xff
	s_delay_alu instid0(SALU_CYCLE_1) | instskip(NEXT) | instid1(VALU_DEP_1)
	s_cmp_lt_i32 s12, 11
	v_ashrrev_i32_e32 v9, 31, v8
	s_delay_alu instid0(VALU_DEP_1)
	v_add_nc_u64_e32 v[10:11], s[4:5], v[8:9]
	s_cbranch_scc1 .LBB17_1703
; %bb.1581:
	s_and_b32 s3, 0xffff, s12
	s_mov_b32 s8, -1
	s_mov_b32 s6, 0
	s_cmp_gt_i32 s3, 25
	s_mov_b32 s7, 0
	s_mov_b32 s0, 0
	s_cbranch_scc0 .LBB17_1614
; %bb.1582:
	s_cmp_gt_i32 s3, 28
	s_cbranch_scc0 .LBB17_1597
; %bb.1583:
	s_cmp_gt_i32 s3, 43
	;; [unrolled: 3-line block ×3, first 2 shown]
	s_cbranch_scc0 .LBB17_1587
; %bb.1585:
	s_mov_b32 s0, -1
	s_mov_b32 s8, 0
	s_cmp_eq_u32 s3, 46
	s_cbranch_scc0 .LBB17_1587
; %bb.1586:
	v_bfe_u32 v1, v0, 16, 1
	v_cmp_o_f32_e32 vcc_lo, v0, v0
	s_mov_b32 s0, 0
	s_mov_b32 s7, -1
	s_delay_alu instid0(VALU_DEP_2) | instskip(NEXT) | instid1(VALU_DEP_1)
	v_add3_u32 v1, v0, v1, 0x7fff
	v_lshrrev_b32_e32 v1, 16, v1
	s_delay_alu instid0(VALU_DEP_1)
	v_cndmask_b32_e32 v1, 0x7fc0, v1, vcc_lo
	global_store_b32 v[10:11], v1, off
.LBB17_1587:
	s_and_b32 vcc_lo, exec_lo, s8
	s_cbranch_vccz .LBB17_1592
; %bb.1588:
	s_cmp_eq_u32 s3, 44
	s_mov_b32 s0, -1
	s_cbranch_scc0 .LBB17_1592
; %bb.1589:
	v_bfe_u32 v3, v0, 23, 8
	s_wait_xcnt 0x0
	v_mov_b32_e32 v1, 0xff
	s_mov_b32 s7, exec_lo
	s_delay_alu instid0(VALU_DEP_2)
	v_cmpx_ne_u32_e32 0xff, v3
	s_cbranch_execz .LBB17_1591
; %bb.1590:
	v_and_b32_e32 v1, 0x400000, v0
	v_and_or_b32 v3, 0x3fffff, v0, v3
	s_delay_alu instid0(VALU_DEP_2) | instskip(NEXT) | instid1(VALU_DEP_2)
	v_cmp_ne_u32_e32 vcc_lo, 0, v1
	v_cmp_ne_u32_e64 s0, 0, v3
	v_lshrrev_b32_e32 v1, 23, v0
	s_and_b32 s0, vcc_lo, s0
	s_delay_alu instid0(SALU_CYCLE_1) | instskip(NEXT) | instid1(VALU_DEP_1)
	v_cndmask_b32_e64 v3, 0, 1, s0
	v_add_nc_u32_e32 v1, v1, v3
.LBB17_1591:
	s_or_b32 exec_lo, exec_lo, s7
	s_mov_b32 s0, 0
	s_mov_b32 s7, -1
	global_store_b8 v[10:11], v1, off
.LBB17_1592:
	s_mov_b32 s8, 0
.LBB17_1593:
	s_delay_alu instid0(SALU_CYCLE_1)
	s_and_b32 vcc_lo, exec_lo, s8
	s_cbranch_vccz .LBB17_1596
; %bb.1594:
	s_cmp_eq_u32 s3, 29
	s_mov_b32 s0, -1
	s_cbranch_scc0 .LBB17_1596
; %bb.1595:
	s_wait_xcnt 0x0
	v_trunc_f32_e32 v1, v0
	s_mov_b32 s0, 0
	s_mov_b32 s7, -1
	s_delay_alu instid0(VALU_DEP_1) | instskip(NEXT) | instid1(VALU_DEP_1)
	v_mul_f32_e32 v3, 0x2f800000, v1
	v_floor_f32_e32 v3, v3
	s_delay_alu instid0(VALU_DEP_1) | instskip(SKIP_1) | instid1(VALU_DEP_2)
	v_fmamk_f32 v1, v3, 0xcf800000, v1
	v_cvt_u32_f32_e32 v13, v3
	v_cvt_u32_f32_e32 v12, v1
	global_store_b64 v[10:11], v[12:13], off
.LBB17_1596:
	s_mov_b32 s8, 0
.LBB17_1597:
	s_delay_alu instid0(SALU_CYCLE_1)
	s_and_b32 vcc_lo, exec_lo, s8
	s_cbranch_vccz .LBB17_1613
; %bb.1598:
	s_cmp_lt_i32 s3, 27
	s_mov_b32 s7, -1
	s_cbranch_scc1 .LBB17_1604
; %bb.1599:
	s_wait_xcnt 0x0
	v_cvt_u32_f32_e32 v1, v0
	s_cmp_gt_i32 s3, 27
	s_cbranch_scc0 .LBB17_1601
; %bb.1600:
	s_mov_b32 s7, 0
	global_store_b32 v[10:11], v1, off
.LBB17_1601:
	s_and_not1_b32 vcc_lo, exec_lo, s7
	s_cbranch_vccnz .LBB17_1603
; %bb.1602:
	global_store_b16 v[10:11], v1, off
.LBB17_1603:
	s_mov_b32 s7, 0
.LBB17_1604:
	s_delay_alu instid0(SALU_CYCLE_1)
	s_and_not1_b32 vcc_lo, exec_lo, s7
	s_cbranch_vccnz .LBB17_1612
; %bb.1605:
	s_wait_xcnt 0x0
	v_and_b32_e32 v1, 0x7fffffff, v0
	v_mov_b32_e32 v3, 0x80
	s_mov_b32 s7, exec_lo
	s_delay_alu instid0(VALU_DEP_2)
	v_cmpx_gt_u32_e32 0x43800000, v1
	s_cbranch_execz .LBB17_1611
; %bb.1606:
	v_cmp_lt_u32_e32 vcc_lo, 0x3bffffff, v1
	s_mov_b32 s8, 0
                                        ; implicit-def: $vgpr1
	s_and_saveexec_b32 s9, vcc_lo
	s_delay_alu instid0(SALU_CYCLE_1)
	s_xor_b32 s9, exec_lo, s9
	s_cbranch_execz .LBB17_2061
; %bb.1607:
	v_bfe_u32 v1, v0, 20, 1
	s_mov_b32 s8, exec_lo
	s_delay_alu instid0(VALU_DEP_1) | instskip(NEXT) | instid1(VALU_DEP_1)
	v_add3_u32 v1, v0, v1, 0x487ffff
	v_lshrrev_b32_e32 v1, 20, v1
	s_and_not1_saveexec_b32 s9, s9
	s_cbranch_execnz .LBB17_2062
.LBB17_1608:
	s_or_b32 exec_lo, exec_lo, s9
	v_mov_b32_e32 v3, 0
	s_and_saveexec_b32 s9, s8
.LBB17_1609:
	v_lshrrev_b32_e32 v3, 24, v0
	s_delay_alu instid0(VALU_DEP_1)
	v_and_or_b32 v3, 0x80, v3, v1
.LBB17_1610:
	s_or_b32 exec_lo, exec_lo, s9
.LBB17_1611:
	s_delay_alu instid0(SALU_CYCLE_1)
	s_or_b32 exec_lo, exec_lo, s7
	global_store_b8 v[10:11], v3, off
.LBB17_1612:
	s_mov_b32 s7, -1
.LBB17_1613:
	s_mov_b32 s8, 0
.LBB17_1614:
	s_delay_alu instid0(SALU_CYCLE_1)
	s_and_b32 vcc_lo, exec_lo, s8
	s_cbranch_vccz .LBB17_1654
; %bb.1615:
	s_cmp_gt_i32 s3, 22
	s_mov_b32 s6, -1
	s_cbranch_scc0 .LBB17_1647
; %bb.1616:
	s_cmp_lt_i32 s3, 24
	s_cbranch_scc1 .LBB17_1636
; %bb.1617:
	s_cmp_gt_i32 s3, 24
	s_cbranch_scc0 .LBB17_1625
; %bb.1618:
	s_wait_xcnt 0x0
	v_and_b32_e32 v1, 0x7fffffff, v0
	v_mov_b32_e32 v3, 0x80
	s_mov_b32 s6, exec_lo
	s_delay_alu instid0(VALU_DEP_2)
	v_cmpx_gt_u32_e32 0x47800000, v1
	s_cbranch_execz .LBB17_1624
; %bb.1619:
	v_cmp_lt_u32_e32 vcc_lo, 0x37ffffff, v1
	s_mov_b32 s7, 0
                                        ; implicit-def: $vgpr1
	s_and_saveexec_b32 s8, vcc_lo
	s_delay_alu instid0(SALU_CYCLE_1)
	s_xor_b32 s8, exec_lo, s8
	s_cbranch_execz .LBB17_2064
; %bb.1620:
	v_bfe_u32 v1, v0, 21, 1
	s_mov_b32 s7, exec_lo
	s_delay_alu instid0(VALU_DEP_1) | instskip(NEXT) | instid1(VALU_DEP_1)
	v_add3_u32 v1, v0, v1, 0x88fffff
	v_lshrrev_b32_e32 v1, 21, v1
	s_and_not1_saveexec_b32 s8, s8
	s_cbranch_execnz .LBB17_2065
.LBB17_1621:
	s_or_b32 exec_lo, exec_lo, s8
	v_mov_b32_e32 v3, 0
	s_and_saveexec_b32 s8, s7
.LBB17_1622:
	v_lshrrev_b32_e32 v3, 24, v0
	s_delay_alu instid0(VALU_DEP_1)
	v_and_or_b32 v3, 0x80, v3, v1
.LBB17_1623:
	s_or_b32 exec_lo, exec_lo, s8
.LBB17_1624:
	s_delay_alu instid0(SALU_CYCLE_1)
	s_or_b32 exec_lo, exec_lo, s6
	s_mov_b32 s6, 0
	global_store_b8 v[10:11], v3, off
.LBB17_1625:
	s_and_b32 vcc_lo, exec_lo, s6
	s_cbranch_vccz .LBB17_1635
; %bb.1626:
	s_wait_xcnt 0x0
	v_and_b32_e32 v3, 0x7fffffff, v0
	s_mov_b32 s6, exec_lo
                                        ; implicit-def: $vgpr1
	s_delay_alu instid0(VALU_DEP_1)
	v_cmpx_gt_u32_e32 0x43f00000, v3
	s_xor_b32 s6, exec_lo, s6
	s_cbranch_execz .LBB17_1632
; %bb.1627:
	s_mov_b32 s7, exec_lo
                                        ; implicit-def: $vgpr1
	v_cmpx_lt_u32_e32 0x3c7fffff, v3
	s_xor_b32 s7, exec_lo, s7
; %bb.1628:
	v_bfe_u32 v1, v0, 20, 1
	s_delay_alu instid0(VALU_DEP_1) | instskip(NEXT) | instid1(VALU_DEP_1)
	v_add3_u32 v1, v0, v1, 0x407ffff
	v_and_b32_e32 v3, 0xff00000, v1
	v_lshrrev_b32_e32 v1, 20, v1
	s_delay_alu instid0(VALU_DEP_2) | instskip(NEXT) | instid1(VALU_DEP_2)
	v_cmp_ne_u32_e32 vcc_lo, 0x7f00000, v3
	v_cndmask_b32_e32 v1, 0x7e, v1, vcc_lo
; %bb.1629:
	s_and_not1_saveexec_b32 s7, s7
; %bb.1630:
	v_add_f32_e64 v1, 0x46800000, |v0|
; %bb.1631:
	s_or_b32 exec_lo, exec_lo, s7
                                        ; implicit-def: $vgpr3
.LBB17_1632:
	s_and_not1_saveexec_b32 s6, s6
; %bb.1633:
	v_mov_b32_e32 v1, 0x7f
	v_cmp_lt_u32_e32 vcc_lo, 0x7f800000, v3
	s_delay_alu instid0(VALU_DEP_2)
	v_cndmask_b32_e32 v1, 0x7e, v1, vcc_lo
; %bb.1634:
	s_or_b32 exec_lo, exec_lo, s6
	v_lshrrev_b32_e32 v3, 24, v0
	s_delay_alu instid0(VALU_DEP_1)
	v_and_or_b32 v1, 0x80, v3, v1
	global_store_b8 v[10:11], v1, off
.LBB17_1635:
	s_mov_b32 s6, 0
.LBB17_1636:
	s_delay_alu instid0(SALU_CYCLE_1)
	s_and_not1_b32 vcc_lo, exec_lo, s6
	s_cbranch_vccnz .LBB17_1646
; %bb.1637:
	s_wait_xcnt 0x0
	v_and_b32_e32 v3, 0x7fffffff, v0
	s_mov_b32 s6, exec_lo
                                        ; implicit-def: $vgpr1
	s_delay_alu instid0(VALU_DEP_1)
	v_cmpx_gt_u32_e32 0x47800000, v3
	s_xor_b32 s6, exec_lo, s6
	s_cbranch_execz .LBB17_1643
; %bb.1638:
	s_mov_b32 s7, exec_lo
                                        ; implicit-def: $vgpr1
	v_cmpx_lt_u32_e32 0x387fffff, v3
	s_xor_b32 s7, exec_lo, s7
; %bb.1639:
	v_bfe_u32 v1, v0, 21, 1
	s_delay_alu instid0(VALU_DEP_1) | instskip(NEXT) | instid1(VALU_DEP_1)
	v_add3_u32 v1, v0, v1, 0x80fffff
	v_lshrrev_b32_e32 v1, 21, v1
; %bb.1640:
	s_and_not1_saveexec_b32 s7, s7
; %bb.1641:
	v_add_f32_e64 v1, 0x43000000, |v0|
; %bb.1642:
	s_or_b32 exec_lo, exec_lo, s7
                                        ; implicit-def: $vgpr3
.LBB17_1643:
	s_and_not1_saveexec_b32 s6, s6
; %bb.1644:
	v_mov_b32_e32 v1, 0x7f
	v_cmp_lt_u32_e32 vcc_lo, 0x7f800000, v3
	s_delay_alu instid0(VALU_DEP_2)
	v_cndmask_b32_e32 v1, 0x7c, v1, vcc_lo
; %bb.1645:
	s_or_b32 exec_lo, exec_lo, s6
	v_lshrrev_b32_e32 v3, 24, v0
	s_delay_alu instid0(VALU_DEP_1)
	v_and_or_b32 v1, 0x80, v3, v1
	global_store_b8 v[10:11], v1, off
.LBB17_1646:
	s_mov_b32 s6, 0
	s_mov_b32 s7, -1
.LBB17_1647:
	s_and_not1_b32 vcc_lo, exec_lo, s6
	s_mov_b32 s6, 0
	s_cbranch_vccnz .LBB17_1654
; %bb.1648:
	s_cmp_gt_i32 s3, 14
	s_mov_b32 s6, -1
	s_cbranch_scc0 .LBB17_1652
; %bb.1649:
	s_cmp_eq_u32 s3, 15
	s_mov_b32 s0, -1
	s_cbranch_scc0 .LBB17_1651
; %bb.1650:
	s_wait_xcnt 0x0
	v_bfe_u32 v1, v0, 16, 1
	v_cmp_o_f32_e32 vcc_lo, v0, v0
	s_mov_b32 s0, 0
	s_mov_b32 s7, -1
	s_delay_alu instid0(VALU_DEP_2) | instskip(NEXT) | instid1(VALU_DEP_1)
	v_add3_u32 v1, v0, v1, 0x7fff
	v_lshrrev_b32_e32 v1, 16, v1
	s_delay_alu instid0(VALU_DEP_1)
	v_cndmask_b32_e32 v1, 0x7fc0, v1, vcc_lo
	global_store_b16 v[10:11], v1, off
.LBB17_1651:
	s_mov_b32 s6, 0
.LBB17_1652:
	s_delay_alu instid0(SALU_CYCLE_1)
	s_and_b32 vcc_lo, exec_lo, s6
	s_mov_b32 s6, 0
	s_cbranch_vccz .LBB17_1654
; %bb.1653:
	s_cmp_lg_u32 s3, 11
	s_mov_b32 s6, -1
	s_cselect_b32 s0, -1, 0
.LBB17_1654:
	s_delay_alu instid0(SALU_CYCLE_1)
	s_and_b32 vcc_lo, exec_lo, s0
	s_cbranch_vccnz .LBB17_2063
; %bb.1655:
	s_and_not1_b32 vcc_lo, exec_lo, s6
	s_cbranch_vccnz .LBB17_1657
.LBB17_1656:
	v_cmp_neq_f32_e32 vcc_lo, 0, v0
	s_mov_b32 s7, -1
	s_wait_xcnt 0x0
	v_cndmask_b32_e64 v1, 0, 1, vcc_lo
	global_store_b8 v[10:11], v1, off
.LBB17_1657:
	s_mov_b32 s0, 0
	s_branch .LBB17_1704
.LBB17_1658:
	s_mov_b32 s0, 0
	s_mov_b32 s3, 0
                                        ; implicit-def: $sgpr12
                                        ; implicit-def: $vgpr0_vgpr1
                                        ; implicit-def: $vgpr6
.LBB17_1659:
	s_and_not1_b32 s2, s11, exec_lo
	s_and_b32 s4, s1, exec_lo
	s_and_b32 s0, s0, exec_lo
	;; [unrolled: 1-line block ×3, first 2 shown]
	s_or_b32 s11, s2, s4
.LBB17_1660:
	s_wait_xcnt 0x0
	s_or_b32 exec_lo, exec_lo, s10
	s_and_saveexec_b32 s2, s11
	s_cbranch_execz .LBB17_1663
; %bb.1661:
	; divergent unreachable
	s_or_b32 exec_lo, exec_lo, s2
	s_and_saveexec_b32 s2, s1
	s_delay_alu instid0(SALU_CYCLE_1)
	s_xor_b32 s1, exec_lo, s2
	s_cbranch_execnz .LBB17_1664
.LBB17_1662:
	s_or_b32 exec_lo, exec_lo, s1
	s_and_saveexec_b32 s1, s0
	s_cbranch_execnz .LBB17_1665
	s_branch .LBB17_1702
.LBB17_1663:
	s_or_b32 exec_lo, exec_lo, s2
	s_and_saveexec_b32 s2, s1
	s_delay_alu instid0(SALU_CYCLE_1)
	s_xor_b32 s1, exec_lo, s2
	s_cbranch_execz .LBB17_1662
.LBB17_1664:
	v_cmp_neq_f32_e32 vcc_lo, 0, v6
	s_wait_loadcnt 0x0
	v_cndmask_b32_e64 v2, 0, 1, vcc_lo
	global_store_b8 v[0:1], v2, off
	s_wait_xcnt 0x0
	s_or_b32 exec_lo, exec_lo, s1
	s_and_saveexec_b32 s1, s0
	s_cbranch_execz .LBB17_1702
.LBB17_1665:
	s_sext_i32_i16 s1, s12
	s_mov_b32 s0, -1
	s_cmp_lt_i32 s1, 5
	s_cbranch_scc1 .LBB17_1686
; %bb.1666:
	s_cmp_lt_i32 s1, 8
	s_cbranch_scc1 .LBB17_1676
; %bb.1667:
	;; [unrolled: 3-line block ×3, first 2 shown]
	s_cmp_gt_i32 s1, 9
	s_cbranch_scc0 .LBB17_1670
; %bb.1669:
	s_wait_loadcnt 0x0
	v_cvt_f64_f32_e32 v[2:3], v6
	v_mov_b32_e32 v4, 0
	s_mov_b32 s0, 0
	s_delay_alu instid0(VALU_DEP_1)
	v_mov_b32_e32 v5, v4
	global_store_b128 v[0:1], v[2:5], off
.LBB17_1670:
	s_and_not1_b32 vcc_lo, exec_lo, s0
	s_cbranch_vccnz .LBB17_1672
; %bb.1671:
	v_mov_b32_e32 v7, 0
	s_wait_loadcnt 0x0
	global_store_b64 v[0:1], v[6:7], off
.LBB17_1672:
	s_mov_b32 s0, 0
.LBB17_1673:
	s_delay_alu instid0(SALU_CYCLE_1)
	s_and_not1_b32 vcc_lo, exec_lo, s0
	s_cbranch_vccnz .LBB17_1675
; %bb.1674:
	s_wait_loadcnt 0x0
	v_cvt_f16_f32_e32 v2, v6
	s_delay_alu instid0(VALU_DEP_1)
	v_and_b32_e32 v2, 0xffff, v2
	global_store_b32 v[0:1], v2, off
.LBB17_1675:
	s_mov_b32 s0, 0
.LBB17_1676:
	s_delay_alu instid0(SALU_CYCLE_1)
	s_and_not1_b32 vcc_lo, exec_lo, s0
	s_cbranch_vccnz .LBB17_1685
; %bb.1677:
	s_sext_i32_i16 s1, s12
	s_mov_b32 s0, -1
	s_cmp_lt_i32 s1, 6
	s_cbranch_scc1 .LBB17_1683
; %bb.1678:
	s_cmp_gt_i32 s1, 6
	s_cbranch_scc0 .LBB17_1680
; %bb.1679:
	s_wait_loadcnt 0x0
	v_cvt_f64_f32_e32 v[2:3], v6
	s_mov_b32 s0, 0
	global_store_b64 v[0:1], v[2:3], off
.LBB17_1680:
	s_and_not1_b32 vcc_lo, exec_lo, s0
	s_cbranch_vccnz .LBB17_1682
; %bb.1681:
	s_wait_loadcnt 0x0
	global_store_b32 v[0:1], v6, off
.LBB17_1682:
	s_mov_b32 s0, 0
.LBB17_1683:
	s_delay_alu instid0(SALU_CYCLE_1)
	s_and_not1_b32 vcc_lo, exec_lo, s0
	s_cbranch_vccnz .LBB17_1685
; %bb.1684:
	s_wait_loadcnt 0x0
	v_cvt_f16_f32_e32 v2, v6
	global_store_b16 v[0:1], v2, off
.LBB17_1685:
	s_mov_b32 s0, 0
.LBB17_1686:
	s_delay_alu instid0(SALU_CYCLE_1)
	s_and_not1_b32 vcc_lo, exec_lo, s0
	s_cbranch_vccnz .LBB17_1702
; %bb.1687:
	s_sext_i32_i16 s1, s12
	s_mov_b32 s0, -1
	s_cmp_lt_i32 s1, 2
	s_cbranch_scc1 .LBB17_1697
; %bb.1688:
	s_cmp_lt_i32 s1, 3
	s_cbranch_scc1 .LBB17_1694
; %bb.1689:
	s_cmp_gt_i32 s1, 3
	s_cbranch_scc0 .LBB17_1691
; %bb.1690:
	s_wait_loadcnt 0x0
	v_trunc_f32_e32 v2, v6
	s_mov_b32 s0, 0
	s_delay_alu instid0(VALU_DEP_1) | instskip(NEXT) | instid1(VALU_DEP_1)
	v_mul_f32_e64 v3, 0x2f800000, |v2|
	v_floor_f32_e32 v3, v3
	s_delay_alu instid0(VALU_DEP_1) | instskip(SKIP_2) | instid1(VALU_DEP_3)
	v_fma_f32 v4, 0xcf800000, v3, |v2|
	v_ashrrev_i32_e32 v2, 31, v2
	v_cvt_u32_f32_e32 v5, v3
	v_cvt_u32_f32_e32 v4, v4
	s_delay_alu instid0(VALU_DEP_2) | instskip(NEXT) | instid1(VALU_DEP_2)
	v_dual_mov_b32 v3, v2 :: v_dual_bitop2_b32 v5, v5, v2 bitop3:0x14
	v_xor_b32_e32 v4, v4, v2
	s_delay_alu instid0(VALU_DEP_1)
	v_sub_nc_u64_e32 v[2:3], v[4:5], v[2:3]
	global_store_b64 v[0:1], v[2:3], off
.LBB17_1691:
	s_and_not1_b32 vcc_lo, exec_lo, s0
	s_cbranch_vccnz .LBB17_1693
; %bb.1692:
	s_wait_loadcnt 0x0
	v_cvt_i32_f32_e32 v2, v6
	global_store_b32 v[0:1], v2, off
.LBB17_1693:
	s_mov_b32 s0, 0
.LBB17_1694:
	s_delay_alu instid0(SALU_CYCLE_1)
	s_and_not1_b32 vcc_lo, exec_lo, s0
	s_cbranch_vccnz .LBB17_1696
; %bb.1695:
	s_wait_loadcnt 0x0
	v_cvt_i32_f32_e32 v2, v6
	global_store_b16 v[0:1], v2, off
.LBB17_1696:
	s_mov_b32 s0, 0
.LBB17_1697:
	s_delay_alu instid0(SALU_CYCLE_1)
	s_and_not1_b32 vcc_lo, exec_lo, s0
	s_cbranch_vccnz .LBB17_1702
; %bb.1698:
	s_sext_i32_i16 s0, s12
	s_delay_alu instid0(SALU_CYCLE_1)
	s_cmp_gt_i32 s0, 0
	s_mov_b32 s0, -1
	s_cbranch_scc0 .LBB17_1700
; %bb.1699:
	s_wait_loadcnt 0x0
	v_cvt_i32_f32_e32 v2, v6
	s_mov_b32 s0, 0
	global_store_b8 v[0:1], v2, off
.LBB17_1700:
	s_and_not1_b32 vcc_lo, exec_lo, s0
	s_cbranch_vccnz .LBB17_1702
; %bb.1701:
	s_wait_loadcnt 0x0
	v_trunc_f32_e32 v2, v6
	s_delay_alu instid0(VALU_DEP_1) | instskip(NEXT) | instid1(VALU_DEP_1)
	v_mul_f32_e64 v3, 0x2f800000, |v2|
	v_floor_f32_e32 v3, v3
	s_delay_alu instid0(VALU_DEP_1) | instskip(SKIP_1) | instid1(VALU_DEP_2)
	v_fma_f32 v3, 0xcf800000, v3, |v2|
	v_ashrrev_i32_e32 v2, 31, v2
	v_cvt_u32_f32_e32 v3, v3
	s_delay_alu instid0(VALU_DEP_1) | instskip(NEXT) | instid1(VALU_DEP_1)
	v_xor_b32_e32 v3, v3, v2
	v_sub_nc_u32_e32 v2, v3, v2
	global_store_b8 v[0:1], v2, off
	s_endpgm
.LBB17_1702:
	s_endpgm
.LBB17_1703:
	s_mov_b32 s0, -1
	s_mov_b32 s7, 0
.LBB17_1704:
	s_and_b32 vcc_lo, exec_lo, s0
	s_cbranch_vccz .LBB17_1743
; %bb.1705:
	s_and_b32 s0, 0xffff, s12
	s_mov_b32 s3, -1
	s_cmp_lt_i32 s0, 5
	s_cbranch_scc1 .LBB17_1726
; %bb.1706:
	s_cmp_lt_i32 s0, 8
	s_cbranch_scc1 .LBB17_1716
; %bb.1707:
	;; [unrolled: 3-line block ×3, first 2 shown]
	s_cmp_gt_i32 s0, 9
	s_cbranch_scc0 .LBB17_1710
; %bb.1709:
	s_wait_xcnt 0x0
	v_cvt_f64_f32_e32 v[12:13], v0
	v_mov_b32_e32 v14, 0
	s_mov_b32 s3, 0
	s_delay_alu instid0(VALU_DEP_1)
	v_mov_b32_e32 v15, v14
	global_store_b128 v[10:11], v[12:15], off
.LBB17_1710:
	s_and_not1_b32 vcc_lo, exec_lo, s3
	s_cbranch_vccnz .LBB17_1712
; %bb.1711:
	s_wait_xcnt 0x0
	v_mov_b32_e32 v1, 0
	global_store_b64 v[10:11], v[0:1], off
.LBB17_1712:
	s_mov_b32 s3, 0
.LBB17_1713:
	s_delay_alu instid0(SALU_CYCLE_1)
	s_and_not1_b32 vcc_lo, exec_lo, s3
	s_cbranch_vccnz .LBB17_1715
; %bb.1714:
	s_wait_xcnt 0x0
	v_cvt_f16_f32_e32 v1, v0
	s_delay_alu instid0(VALU_DEP_1)
	v_and_b32_e32 v1, 0xffff, v1
	global_store_b32 v[10:11], v1, off
.LBB17_1715:
	s_mov_b32 s3, 0
.LBB17_1716:
	s_delay_alu instid0(SALU_CYCLE_1)
	s_and_not1_b32 vcc_lo, exec_lo, s3
	s_cbranch_vccnz .LBB17_1725
; %bb.1717:
	s_cmp_lt_i32 s0, 6
	s_mov_b32 s3, -1
	s_cbranch_scc1 .LBB17_1723
; %bb.1718:
	s_cmp_gt_i32 s0, 6
	s_cbranch_scc0 .LBB17_1720
; %bb.1719:
	s_wait_xcnt 0x0
	v_cvt_f64_f32_e32 v[12:13], v0
	s_mov_b32 s3, 0
	global_store_b64 v[10:11], v[12:13], off
.LBB17_1720:
	s_and_not1_b32 vcc_lo, exec_lo, s3
	s_cbranch_vccnz .LBB17_1722
; %bb.1721:
	global_store_b32 v[10:11], v0, off
.LBB17_1722:
	s_mov_b32 s3, 0
.LBB17_1723:
	s_delay_alu instid0(SALU_CYCLE_1)
	s_and_not1_b32 vcc_lo, exec_lo, s3
	s_cbranch_vccnz .LBB17_1725
; %bb.1724:
	s_wait_xcnt 0x0
	v_cvt_f16_f32_e32 v1, v0
	global_store_b16 v[10:11], v1, off
.LBB17_1725:
	s_mov_b32 s3, 0
.LBB17_1726:
	s_delay_alu instid0(SALU_CYCLE_1)
	s_and_not1_b32 vcc_lo, exec_lo, s3
	s_cbranch_vccnz .LBB17_1742
; %bb.1727:
	s_cmp_lt_i32 s0, 2
	s_mov_b32 s3, -1
	s_cbranch_scc1 .LBB17_1737
; %bb.1728:
	s_cmp_lt_i32 s0, 3
	s_cbranch_scc1 .LBB17_1734
; %bb.1729:
	s_cmp_gt_i32 s0, 3
	s_cbranch_scc0 .LBB17_1731
; %bb.1730:
	s_wait_xcnt 0x0
	v_trunc_f32_e32 v1, v0
	s_mov_b32 s3, 0
	s_delay_alu instid0(VALU_DEP_1) | instskip(SKIP_1) | instid1(VALU_DEP_2)
	v_mul_f32_e64 v3, 0x2f800000, |v1|
	v_ashrrev_i32_e32 v12, 31, v1
	v_floor_f32_e32 v3, v3
	s_delay_alu instid0(VALU_DEP_1) | instskip(SKIP_1) | instid1(VALU_DEP_4)
	v_fma_f32 v5, 0xcf800000, v3, |v1|
	v_cvt_u32_f32_e32 v1, v3
	v_mov_b32_e32 v13, v12
	s_delay_alu instid0(VALU_DEP_3) | instskip(NEXT) | instid1(VALU_DEP_3)
	v_cvt_u32_f32_e32 v3, v5
	v_xor_b32_e32 v15, v1, v12
	s_delay_alu instid0(VALU_DEP_2) | instskip(NEXT) | instid1(VALU_DEP_1)
	v_xor_b32_e32 v14, v3, v12
	v_sub_nc_u64_e32 v[12:13], v[14:15], v[12:13]
	global_store_b64 v[10:11], v[12:13], off
.LBB17_1731:
	s_and_not1_b32 vcc_lo, exec_lo, s3
	s_cbranch_vccnz .LBB17_1733
; %bb.1732:
	s_wait_xcnt 0x0
	v_cvt_i32_f32_e32 v1, v0
	global_store_b32 v[10:11], v1, off
.LBB17_1733:
	s_mov_b32 s3, 0
.LBB17_1734:
	s_delay_alu instid0(SALU_CYCLE_1)
	s_and_not1_b32 vcc_lo, exec_lo, s3
	s_cbranch_vccnz .LBB17_1736
; %bb.1735:
	s_wait_xcnt 0x0
	v_cvt_i32_f32_e32 v1, v0
	global_store_b16 v[10:11], v1, off
.LBB17_1736:
	s_mov_b32 s3, 0
.LBB17_1737:
	s_delay_alu instid0(SALU_CYCLE_1)
	s_and_not1_b32 vcc_lo, exec_lo, s3
	s_cbranch_vccnz .LBB17_1742
; %bb.1738:
	s_cmp_gt_i32 s0, 0
	s_mov_b32 s0, -1
	s_cbranch_scc0 .LBB17_1740
; %bb.1739:
	s_wait_xcnt 0x0
	v_cvt_i32_f32_e32 v1, v0
	s_mov_b32 s0, 0
	global_store_b8 v[10:11], v1, off
.LBB17_1740:
	s_and_not1_b32 vcc_lo, exec_lo, s0
	s_cbranch_vccnz .LBB17_1742
; %bb.1741:
	s_wait_xcnt 0x0
	v_trunc_f32_e32 v0, v0
	s_delay_alu instid0(VALU_DEP_1) | instskip(NEXT) | instid1(VALU_DEP_1)
	v_mul_f32_e64 v1, 0x2f800000, |v0|
	v_floor_f32_e32 v1, v1
	s_delay_alu instid0(VALU_DEP_1) | instskip(SKIP_1) | instid1(VALU_DEP_2)
	v_fma_f32 v1, 0xcf800000, v1, |v0|
	v_ashrrev_i32_e32 v0, 31, v0
	v_cvt_u32_f32_e32 v1, v1
	s_delay_alu instid0(VALU_DEP_1) | instskip(NEXT) | instid1(VALU_DEP_1)
	v_xor_b32_e32 v1, v1, v0
	v_sub_nc_u32_e32 v0, v1, v0
	global_store_b8 v[10:11], v0, off
.LBB17_1742:
	s_mov_b32 s7, -1
.LBB17_1743:
	s_delay_alu instid0(SALU_CYCLE_1)
	s_and_not1_b32 vcc_lo, exec_lo, s7
	s_cbranch_vccnz .LBB17_2058
; %bb.1744:
	s_lshl_b32 s2, s2, 7
	s_cmp_lt_i32 s12, 11
	s_wait_xcnt 0x0
	v_add_nc_u32_e32 v0, s2, v8
	s_delay_alu instid0(VALU_DEP_1) | instskip(NEXT) | instid1(VALU_DEP_1)
	v_ashrrev_i32_e32 v1, 31, v0
	v_add_nc_u64_e32 v[8:9], s[4:5], v[0:1]
	s_cbranch_scc1 .LBB17_1822
; %bb.1745:
	s_and_b32 s3, 0xffff, s12
	s_mov_b32 s8, -1
	s_mov_b32 s6, 0
	s_cmp_gt_i32 s3, 25
	s_mov_b32 s7, 0
	s_mov_b32 s0, 0
	s_cbranch_scc0 .LBB17_1778
; %bb.1746:
	s_cmp_gt_i32 s3, 28
	s_cbranch_scc0 .LBB17_1761
; %bb.1747:
	s_cmp_gt_i32 s3, 43
	;; [unrolled: 3-line block ×3, first 2 shown]
	s_cbranch_scc0 .LBB17_1751
; %bb.1749:
	s_mov_b32 s0, -1
	s_mov_b32 s8, 0
	s_cmp_eq_u32 s3, 46
	s_cbranch_scc0 .LBB17_1751
; %bb.1750:
	v_bfe_u32 v1, v2, 16, 1
	v_cmp_o_f32_e32 vcc_lo, v2, v2
	s_mov_b32 s0, 0
	s_mov_b32 s7, -1
	s_delay_alu instid0(VALU_DEP_2) | instskip(NEXT) | instid1(VALU_DEP_1)
	v_add3_u32 v1, v2, v1, 0x7fff
	v_lshrrev_b32_e32 v1, 16, v1
	s_delay_alu instid0(VALU_DEP_1)
	v_cndmask_b32_e32 v1, 0x7fc0, v1, vcc_lo
	global_store_b32 v[8:9], v1, off
.LBB17_1751:
	s_and_b32 vcc_lo, exec_lo, s8
	s_cbranch_vccz .LBB17_1756
; %bb.1752:
	s_cmp_eq_u32 s3, 44
	s_mov_b32 s0, -1
	s_cbranch_scc0 .LBB17_1756
; %bb.1753:
	v_bfe_u32 v3, v2, 23, 8
	s_wait_xcnt 0x0
	v_mov_b32_e32 v1, 0xff
	s_mov_b32 s7, exec_lo
	s_delay_alu instid0(VALU_DEP_2)
	v_cmpx_ne_u32_e32 0xff, v3
	s_cbranch_execz .LBB17_1755
; %bb.1754:
	v_and_b32_e32 v1, 0x400000, v2
	v_and_or_b32 v3, 0x3fffff, v2, v3
	s_delay_alu instid0(VALU_DEP_2) | instskip(NEXT) | instid1(VALU_DEP_2)
	v_cmp_ne_u32_e32 vcc_lo, 0, v1
	v_cmp_ne_u32_e64 s0, 0, v3
	v_lshrrev_b32_e32 v1, 23, v2
	s_and_b32 s0, vcc_lo, s0
	s_delay_alu instid0(SALU_CYCLE_1) | instskip(NEXT) | instid1(VALU_DEP_1)
	v_cndmask_b32_e64 v3, 0, 1, s0
	v_add_nc_u32_e32 v1, v1, v3
.LBB17_1755:
	s_or_b32 exec_lo, exec_lo, s7
	s_mov_b32 s0, 0
	s_mov_b32 s7, -1
	global_store_b8 v[8:9], v1, off
.LBB17_1756:
	s_mov_b32 s8, 0
.LBB17_1757:
	s_delay_alu instid0(SALU_CYCLE_1)
	s_and_b32 vcc_lo, exec_lo, s8
	s_cbranch_vccz .LBB17_1760
; %bb.1758:
	s_cmp_eq_u32 s3, 29
	s_mov_b32 s0, -1
	s_cbranch_scc0 .LBB17_1760
; %bb.1759:
	s_wait_xcnt 0x0
	v_trunc_f32_e32 v1, v2
	s_mov_b32 s0, 0
	s_mov_b32 s7, -1
	s_delay_alu instid0(VALU_DEP_1) | instskip(NEXT) | instid1(VALU_DEP_1)
	v_mul_f32_e32 v3, 0x2f800000, v1
	v_floor_f32_e32 v3, v3
	s_delay_alu instid0(VALU_DEP_1) | instskip(SKIP_1) | instid1(VALU_DEP_2)
	v_fmamk_f32 v1, v3, 0xcf800000, v1
	v_cvt_u32_f32_e32 v11, v3
	v_cvt_u32_f32_e32 v10, v1
	global_store_b64 v[8:9], v[10:11], off
.LBB17_1760:
	s_mov_b32 s8, 0
.LBB17_1761:
	s_delay_alu instid0(SALU_CYCLE_1)
	s_and_b32 vcc_lo, exec_lo, s8
	s_cbranch_vccz .LBB17_1777
; %bb.1762:
	s_cmp_lt_i32 s3, 27
	s_mov_b32 s7, -1
	s_cbranch_scc1 .LBB17_1768
; %bb.1763:
	s_wait_xcnt 0x0
	v_cvt_u32_f32_e32 v1, v2
	s_cmp_gt_i32 s3, 27
	s_cbranch_scc0 .LBB17_1765
; %bb.1764:
	s_mov_b32 s7, 0
	global_store_b32 v[8:9], v1, off
.LBB17_1765:
	s_and_not1_b32 vcc_lo, exec_lo, s7
	s_cbranch_vccnz .LBB17_1767
; %bb.1766:
	global_store_b16 v[8:9], v1, off
.LBB17_1767:
	s_mov_b32 s7, 0
.LBB17_1768:
	s_delay_alu instid0(SALU_CYCLE_1)
	s_and_not1_b32 vcc_lo, exec_lo, s7
	s_cbranch_vccnz .LBB17_1776
; %bb.1769:
	s_wait_xcnt 0x0
	v_and_b32_e32 v1, 0x7fffffff, v2
	v_mov_b32_e32 v3, 0x80
	s_mov_b32 s7, exec_lo
	s_delay_alu instid0(VALU_DEP_2)
	v_cmpx_gt_u32_e32 0x43800000, v1
	s_cbranch_execz .LBB17_1775
; %bb.1770:
	v_cmp_lt_u32_e32 vcc_lo, 0x3bffffff, v1
	s_mov_b32 s8, 0
                                        ; implicit-def: $vgpr1
	s_and_saveexec_b32 s9, vcc_lo
	s_delay_alu instid0(SALU_CYCLE_1)
	s_xor_b32 s9, exec_lo, s9
	s_cbranch_execz .LBB17_2066
; %bb.1771:
	v_bfe_u32 v1, v2, 20, 1
	s_mov_b32 s8, exec_lo
	s_delay_alu instid0(VALU_DEP_1) | instskip(NEXT) | instid1(VALU_DEP_1)
	v_add3_u32 v1, v2, v1, 0x487ffff
	v_lshrrev_b32_e32 v1, 20, v1
	s_and_not1_saveexec_b32 s9, s9
	s_cbranch_execnz .LBB17_2067
.LBB17_1772:
	s_or_b32 exec_lo, exec_lo, s9
	v_mov_b32_e32 v3, 0
	s_and_saveexec_b32 s9, s8
.LBB17_1773:
	v_lshrrev_b32_e32 v3, 24, v2
	s_delay_alu instid0(VALU_DEP_1)
	v_and_or_b32 v3, 0x80, v3, v1
.LBB17_1774:
	s_or_b32 exec_lo, exec_lo, s9
.LBB17_1775:
	s_delay_alu instid0(SALU_CYCLE_1)
	s_or_b32 exec_lo, exec_lo, s7
	global_store_b8 v[8:9], v3, off
.LBB17_1776:
	s_mov_b32 s7, -1
.LBB17_1777:
	s_mov_b32 s8, 0
.LBB17_1778:
	s_delay_alu instid0(SALU_CYCLE_1)
	s_and_b32 vcc_lo, exec_lo, s8
	s_cbranch_vccz .LBB17_1818
; %bb.1779:
	s_cmp_gt_i32 s3, 22
	s_mov_b32 s6, -1
	s_cbranch_scc0 .LBB17_1811
; %bb.1780:
	s_cmp_lt_i32 s3, 24
	s_cbranch_scc1 .LBB17_1800
; %bb.1781:
	s_cmp_gt_i32 s3, 24
	s_cbranch_scc0 .LBB17_1789
; %bb.1782:
	s_wait_xcnt 0x0
	v_and_b32_e32 v1, 0x7fffffff, v2
	v_mov_b32_e32 v3, 0x80
	s_mov_b32 s6, exec_lo
	s_delay_alu instid0(VALU_DEP_2)
	v_cmpx_gt_u32_e32 0x47800000, v1
	s_cbranch_execz .LBB17_1788
; %bb.1783:
	v_cmp_lt_u32_e32 vcc_lo, 0x37ffffff, v1
	s_mov_b32 s7, 0
                                        ; implicit-def: $vgpr1
	s_and_saveexec_b32 s8, vcc_lo
	s_delay_alu instid0(SALU_CYCLE_1)
	s_xor_b32 s8, exec_lo, s8
	s_cbranch_execz .LBB17_2069
; %bb.1784:
	v_bfe_u32 v1, v2, 21, 1
	s_mov_b32 s7, exec_lo
	s_delay_alu instid0(VALU_DEP_1) | instskip(NEXT) | instid1(VALU_DEP_1)
	v_add3_u32 v1, v2, v1, 0x88fffff
	v_lshrrev_b32_e32 v1, 21, v1
	s_and_not1_saveexec_b32 s8, s8
	s_cbranch_execnz .LBB17_2070
.LBB17_1785:
	s_or_b32 exec_lo, exec_lo, s8
	v_mov_b32_e32 v3, 0
	s_and_saveexec_b32 s8, s7
.LBB17_1786:
	v_lshrrev_b32_e32 v3, 24, v2
	s_delay_alu instid0(VALU_DEP_1)
	v_and_or_b32 v3, 0x80, v3, v1
.LBB17_1787:
	s_or_b32 exec_lo, exec_lo, s8
.LBB17_1788:
	s_delay_alu instid0(SALU_CYCLE_1)
	s_or_b32 exec_lo, exec_lo, s6
	s_mov_b32 s6, 0
	global_store_b8 v[8:9], v3, off
.LBB17_1789:
	s_and_b32 vcc_lo, exec_lo, s6
	s_cbranch_vccz .LBB17_1799
; %bb.1790:
	s_wait_xcnt 0x0
	v_and_b32_e32 v3, 0x7fffffff, v2
	s_mov_b32 s6, exec_lo
                                        ; implicit-def: $vgpr1
	s_delay_alu instid0(VALU_DEP_1)
	v_cmpx_gt_u32_e32 0x43f00000, v3
	s_xor_b32 s6, exec_lo, s6
	s_cbranch_execz .LBB17_1796
; %bb.1791:
	s_mov_b32 s7, exec_lo
                                        ; implicit-def: $vgpr1
	v_cmpx_lt_u32_e32 0x3c7fffff, v3
	s_xor_b32 s7, exec_lo, s7
; %bb.1792:
	v_bfe_u32 v1, v2, 20, 1
	s_delay_alu instid0(VALU_DEP_1) | instskip(NEXT) | instid1(VALU_DEP_1)
	v_add3_u32 v1, v2, v1, 0x407ffff
	v_and_b32_e32 v3, 0xff00000, v1
	v_lshrrev_b32_e32 v1, 20, v1
	s_delay_alu instid0(VALU_DEP_2) | instskip(NEXT) | instid1(VALU_DEP_2)
	v_cmp_ne_u32_e32 vcc_lo, 0x7f00000, v3
	v_cndmask_b32_e32 v1, 0x7e, v1, vcc_lo
; %bb.1793:
	s_and_not1_saveexec_b32 s7, s7
; %bb.1794:
	v_add_f32_e64 v1, 0x46800000, |v2|
; %bb.1795:
	s_or_b32 exec_lo, exec_lo, s7
                                        ; implicit-def: $vgpr3
.LBB17_1796:
	s_and_not1_saveexec_b32 s6, s6
; %bb.1797:
	v_mov_b32_e32 v1, 0x7f
	v_cmp_lt_u32_e32 vcc_lo, 0x7f800000, v3
	s_delay_alu instid0(VALU_DEP_2)
	v_cndmask_b32_e32 v1, 0x7e, v1, vcc_lo
; %bb.1798:
	s_or_b32 exec_lo, exec_lo, s6
	v_lshrrev_b32_e32 v3, 24, v2
	s_delay_alu instid0(VALU_DEP_1)
	v_and_or_b32 v1, 0x80, v3, v1
	global_store_b8 v[8:9], v1, off
.LBB17_1799:
	s_mov_b32 s6, 0
.LBB17_1800:
	s_delay_alu instid0(SALU_CYCLE_1)
	s_and_not1_b32 vcc_lo, exec_lo, s6
	s_cbranch_vccnz .LBB17_1810
; %bb.1801:
	s_wait_xcnt 0x0
	v_and_b32_e32 v3, 0x7fffffff, v2
	s_mov_b32 s6, exec_lo
                                        ; implicit-def: $vgpr1
	s_delay_alu instid0(VALU_DEP_1)
	v_cmpx_gt_u32_e32 0x47800000, v3
	s_xor_b32 s6, exec_lo, s6
	s_cbranch_execz .LBB17_1807
; %bb.1802:
	s_mov_b32 s7, exec_lo
                                        ; implicit-def: $vgpr1
	v_cmpx_lt_u32_e32 0x387fffff, v3
	s_xor_b32 s7, exec_lo, s7
; %bb.1803:
	v_bfe_u32 v1, v2, 21, 1
	s_delay_alu instid0(VALU_DEP_1) | instskip(NEXT) | instid1(VALU_DEP_1)
	v_add3_u32 v1, v2, v1, 0x80fffff
	v_lshrrev_b32_e32 v1, 21, v1
; %bb.1804:
	s_and_not1_saveexec_b32 s7, s7
; %bb.1805:
	v_add_f32_e64 v1, 0x43000000, |v2|
; %bb.1806:
	s_or_b32 exec_lo, exec_lo, s7
                                        ; implicit-def: $vgpr3
.LBB17_1807:
	s_and_not1_saveexec_b32 s6, s6
; %bb.1808:
	v_mov_b32_e32 v1, 0x7f
	v_cmp_lt_u32_e32 vcc_lo, 0x7f800000, v3
	s_delay_alu instid0(VALU_DEP_2)
	v_cndmask_b32_e32 v1, 0x7c, v1, vcc_lo
; %bb.1809:
	s_or_b32 exec_lo, exec_lo, s6
	v_lshrrev_b32_e32 v3, 24, v2
	s_delay_alu instid0(VALU_DEP_1)
	v_and_or_b32 v1, 0x80, v3, v1
	global_store_b8 v[8:9], v1, off
.LBB17_1810:
	s_mov_b32 s6, 0
	s_mov_b32 s7, -1
.LBB17_1811:
	s_and_not1_b32 vcc_lo, exec_lo, s6
	s_mov_b32 s6, 0
	s_cbranch_vccnz .LBB17_1818
; %bb.1812:
	s_cmp_gt_i32 s3, 14
	s_mov_b32 s6, -1
	s_cbranch_scc0 .LBB17_1816
; %bb.1813:
	s_cmp_eq_u32 s3, 15
	s_mov_b32 s0, -1
	s_cbranch_scc0 .LBB17_1815
; %bb.1814:
	s_wait_xcnt 0x0
	v_bfe_u32 v1, v2, 16, 1
	v_cmp_o_f32_e32 vcc_lo, v2, v2
	s_mov_b32 s0, 0
	s_mov_b32 s7, -1
	s_delay_alu instid0(VALU_DEP_2) | instskip(NEXT) | instid1(VALU_DEP_1)
	v_add3_u32 v1, v2, v1, 0x7fff
	v_lshrrev_b32_e32 v1, 16, v1
	s_delay_alu instid0(VALU_DEP_1)
	v_cndmask_b32_e32 v1, 0x7fc0, v1, vcc_lo
	global_store_b16 v[8:9], v1, off
.LBB17_1815:
	s_mov_b32 s6, 0
.LBB17_1816:
	s_delay_alu instid0(SALU_CYCLE_1)
	s_and_b32 vcc_lo, exec_lo, s6
	s_mov_b32 s6, 0
	s_cbranch_vccz .LBB17_1818
; %bb.1817:
	s_cmp_lg_u32 s3, 11
	s_mov_b32 s6, -1
	s_cselect_b32 s0, -1, 0
.LBB17_1818:
	s_delay_alu instid0(SALU_CYCLE_1)
	s_and_b32 vcc_lo, exec_lo, s0
	s_cbranch_vccnz .LBB17_2068
; %bb.1819:
	s_and_not1_b32 vcc_lo, exec_lo, s6
	s_cbranch_vccnz .LBB17_1821
.LBB17_1820:
	v_cmp_neq_f32_e32 vcc_lo, 0, v2
	s_mov_b32 s7, -1
	s_wait_xcnt 0x0
	v_cndmask_b32_e64 v1, 0, 1, vcc_lo
	global_store_b8 v[8:9], v1, off
.LBB17_1821:
	s_mov_b32 s0, 0
	s_branch .LBB17_1823
.LBB17_1822:
	s_mov_b32 s0, -1
	s_mov_b32 s7, 0
.LBB17_1823:
	s_and_b32 vcc_lo, exec_lo, s0
	s_cbranch_vccz .LBB17_1862
; %bb.1824:
	s_and_b32 s0, 0xffff, s12
	s_mov_b32 s3, -1
	s_cmp_lt_i32 s0, 5
	s_cbranch_scc1 .LBB17_1845
; %bb.1825:
	s_cmp_lt_i32 s0, 8
	s_cbranch_scc1 .LBB17_1835
; %bb.1826:
	;; [unrolled: 3-line block ×3, first 2 shown]
	s_cmp_gt_i32 s0, 9
	s_cbranch_scc0 .LBB17_1829
; %bb.1828:
	s_wait_xcnt 0x0
	v_cvt_f64_f32_e32 v[10:11], v2
	v_mov_b32_e32 v12, 0
	s_mov_b32 s3, 0
	s_delay_alu instid0(VALU_DEP_1)
	v_mov_b32_e32 v13, v12
	global_store_b128 v[8:9], v[10:13], off
.LBB17_1829:
	s_and_not1_b32 vcc_lo, exec_lo, s3
	s_cbranch_vccnz .LBB17_1831
; %bb.1830:
	s_wait_xcnt 0x0
	v_mov_b32_e32 v3, 0
	global_store_b64 v[8:9], v[2:3], off
.LBB17_1831:
	s_mov_b32 s3, 0
.LBB17_1832:
	s_delay_alu instid0(SALU_CYCLE_1)
	s_and_not1_b32 vcc_lo, exec_lo, s3
	s_cbranch_vccnz .LBB17_1834
; %bb.1833:
	s_wait_xcnt 0x0
	v_cvt_f16_f32_e32 v1, v2
	s_delay_alu instid0(VALU_DEP_1)
	v_and_b32_e32 v1, 0xffff, v1
	global_store_b32 v[8:9], v1, off
.LBB17_1834:
	s_mov_b32 s3, 0
.LBB17_1835:
	s_delay_alu instid0(SALU_CYCLE_1)
	s_and_not1_b32 vcc_lo, exec_lo, s3
	s_cbranch_vccnz .LBB17_1844
; %bb.1836:
	s_cmp_lt_i32 s0, 6
	s_mov_b32 s3, -1
	s_cbranch_scc1 .LBB17_1842
; %bb.1837:
	s_cmp_gt_i32 s0, 6
	s_cbranch_scc0 .LBB17_1839
; %bb.1838:
	s_wait_xcnt 0x0
	v_cvt_f64_f32_e32 v[10:11], v2
	s_mov_b32 s3, 0
	global_store_b64 v[8:9], v[10:11], off
.LBB17_1839:
	s_and_not1_b32 vcc_lo, exec_lo, s3
	s_cbranch_vccnz .LBB17_1841
; %bb.1840:
	global_store_b32 v[8:9], v2, off
.LBB17_1841:
	s_mov_b32 s3, 0
.LBB17_1842:
	s_delay_alu instid0(SALU_CYCLE_1)
	s_and_not1_b32 vcc_lo, exec_lo, s3
	s_cbranch_vccnz .LBB17_1844
; %bb.1843:
	s_wait_xcnt 0x0
	v_cvt_f16_f32_e32 v1, v2
	global_store_b16 v[8:9], v1, off
.LBB17_1844:
	s_mov_b32 s3, 0
.LBB17_1845:
	s_delay_alu instid0(SALU_CYCLE_1)
	s_and_not1_b32 vcc_lo, exec_lo, s3
	s_cbranch_vccnz .LBB17_1861
; %bb.1846:
	s_cmp_lt_i32 s0, 2
	s_mov_b32 s3, -1
	s_cbranch_scc1 .LBB17_1856
; %bb.1847:
	s_cmp_lt_i32 s0, 3
	s_cbranch_scc1 .LBB17_1853
; %bb.1848:
	s_cmp_gt_i32 s0, 3
	s_cbranch_scc0 .LBB17_1850
; %bb.1849:
	s_wait_xcnt 0x0
	v_trunc_f32_e32 v1, v2
	s_mov_b32 s3, 0
	s_delay_alu instid0(VALU_DEP_1) | instskip(SKIP_1) | instid1(VALU_DEP_2)
	v_mul_f32_e64 v3, 0x2f800000, |v1|
	v_ashrrev_i32_e32 v10, 31, v1
	v_floor_f32_e32 v3, v3
	s_delay_alu instid0(VALU_DEP_1) | instskip(SKIP_1) | instid1(VALU_DEP_4)
	v_fma_f32 v5, 0xcf800000, v3, |v1|
	v_cvt_u32_f32_e32 v1, v3
	v_mov_b32_e32 v11, v10
	s_delay_alu instid0(VALU_DEP_3) | instskip(NEXT) | instid1(VALU_DEP_3)
	v_cvt_u32_f32_e32 v3, v5
	v_xor_b32_e32 v13, v1, v10
	s_delay_alu instid0(VALU_DEP_2) | instskip(NEXT) | instid1(VALU_DEP_1)
	v_xor_b32_e32 v12, v3, v10
	v_sub_nc_u64_e32 v[10:11], v[12:13], v[10:11]
	global_store_b64 v[8:9], v[10:11], off
.LBB17_1850:
	s_and_not1_b32 vcc_lo, exec_lo, s3
	s_cbranch_vccnz .LBB17_1852
; %bb.1851:
	s_wait_xcnt 0x0
	v_cvt_i32_f32_e32 v1, v2
	global_store_b32 v[8:9], v1, off
.LBB17_1852:
	s_mov_b32 s3, 0
.LBB17_1853:
	s_delay_alu instid0(SALU_CYCLE_1)
	s_and_not1_b32 vcc_lo, exec_lo, s3
	s_cbranch_vccnz .LBB17_1855
; %bb.1854:
	s_wait_xcnt 0x0
	v_cvt_i32_f32_e32 v1, v2
	global_store_b16 v[8:9], v1, off
.LBB17_1855:
	s_mov_b32 s3, 0
.LBB17_1856:
	s_delay_alu instid0(SALU_CYCLE_1)
	s_and_not1_b32 vcc_lo, exec_lo, s3
	s_cbranch_vccnz .LBB17_1861
; %bb.1857:
	s_cmp_gt_i32 s0, 0
	s_mov_b32 s0, -1
	s_cbranch_scc0 .LBB17_1859
; %bb.1858:
	s_wait_xcnt 0x0
	v_cvt_i32_f32_e32 v1, v2
	s_mov_b32 s0, 0
	global_store_b8 v[8:9], v1, off
.LBB17_1859:
	s_and_not1_b32 vcc_lo, exec_lo, s0
	s_cbranch_vccnz .LBB17_1861
; %bb.1860:
	s_wait_xcnt 0x0
	v_trunc_f32_e32 v1, v2
	s_delay_alu instid0(VALU_DEP_1) | instskip(NEXT) | instid1(VALU_DEP_1)
	v_mul_f32_e64 v2, 0x2f800000, |v1|
	v_floor_f32_e32 v2, v2
	s_delay_alu instid0(VALU_DEP_1) | instskip(SKIP_1) | instid1(VALU_DEP_2)
	v_fma_f32 v2, 0xcf800000, v2, |v1|
	v_ashrrev_i32_e32 v1, 31, v1
	v_cvt_u32_f32_e32 v2, v2
	s_delay_alu instid0(VALU_DEP_1) | instskip(NEXT) | instid1(VALU_DEP_1)
	v_xor_b32_e32 v2, v2, v1
	v_sub_nc_u32_e32 v1, v2, v1
	global_store_b8 v[8:9], v1, off
.LBB17_1861:
	s_mov_b32 s7, -1
.LBB17_1862:
	s_delay_alu instid0(SALU_CYCLE_1)
	s_and_not1_b32 vcc_lo, exec_lo, s7
	s_cbranch_vccnz .LBB17_2058
; %bb.1863:
	v_add_nc_u32_e32 v0, s2, v0
	s_cmp_lt_i32 s12, 11
	s_wait_xcnt 0x0
	s_delay_alu instid0(VALU_DEP_1) | instskip(NEXT) | instid1(VALU_DEP_1)
	v_ashrrev_i32_e32 v1, 31, v0
	v_add_nc_u64_e32 v[2:3], s[4:5], v[0:1]
	s_cbranch_scc1 .LBB17_1941
; %bb.1864:
	s_and_b32 s3, 0xffff, s12
	s_mov_b32 s8, -1
	s_mov_b32 s6, 0
	s_cmp_gt_i32 s3, 25
	s_mov_b32 s7, 0
	s_mov_b32 s0, 0
	s_cbranch_scc0 .LBB17_1897
; %bb.1865:
	s_cmp_gt_i32 s3, 28
	s_cbranch_scc0 .LBB17_1880
; %bb.1866:
	s_cmp_gt_i32 s3, 43
	;; [unrolled: 3-line block ×3, first 2 shown]
	s_cbranch_scc0 .LBB17_1870
; %bb.1868:
	s_mov_b32 s0, -1
	s_mov_b32 s8, 0
	s_cmp_eq_u32 s3, 46
	s_cbranch_scc0 .LBB17_1870
; %bb.1869:
	v_bfe_u32 v1, v4, 16, 1
	v_cmp_o_f32_e32 vcc_lo, v4, v4
	s_mov_b32 s0, 0
	s_mov_b32 s7, -1
	s_delay_alu instid0(VALU_DEP_2) | instskip(NEXT) | instid1(VALU_DEP_1)
	v_add3_u32 v1, v4, v1, 0x7fff
	v_lshrrev_b32_e32 v1, 16, v1
	s_delay_alu instid0(VALU_DEP_1)
	v_cndmask_b32_e32 v1, 0x7fc0, v1, vcc_lo
	global_store_b32 v[2:3], v1, off
.LBB17_1870:
	s_and_b32 vcc_lo, exec_lo, s8
	s_cbranch_vccz .LBB17_1875
; %bb.1871:
	s_cmp_eq_u32 s3, 44
	s_mov_b32 s0, -1
	s_cbranch_scc0 .LBB17_1875
; %bb.1872:
	v_bfe_u32 v5, v4, 23, 8
	s_wait_xcnt 0x0
	v_mov_b32_e32 v1, 0xff
	s_mov_b32 s7, exec_lo
	s_delay_alu instid0(VALU_DEP_2)
	v_cmpx_ne_u32_e32 0xff, v5
	s_cbranch_execz .LBB17_1874
; %bb.1873:
	v_and_b32_e32 v1, 0x400000, v4
	v_and_or_b32 v5, 0x3fffff, v4, v5
	s_delay_alu instid0(VALU_DEP_2) | instskip(NEXT) | instid1(VALU_DEP_2)
	v_cmp_ne_u32_e32 vcc_lo, 0, v1
	v_cmp_ne_u32_e64 s0, 0, v5
	v_lshrrev_b32_e32 v1, 23, v4
	s_and_b32 s0, vcc_lo, s0
	s_delay_alu instid0(SALU_CYCLE_1) | instskip(NEXT) | instid1(VALU_DEP_1)
	v_cndmask_b32_e64 v5, 0, 1, s0
	v_add_nc_u32_e32 v1, v1, v5
.LBB17_1874:
	s_or_b32 exec_lo, exec_lo, s7
	s_mov_b32 s0, 0
	s_mov_b32 s7, -1
	global_store_b8 v[2:3], v1, off
.LBB17_1875:
	s_mov_b32 s8, 0
.LBB17_1876:
	s_delay_alu instid0(SALU_CYCLE_1)
	s_and_b32 vcc_lo, exec_lo, s8
	s_cbranch_vccz .LBB17_1879
; %bb.1877:
	s_cmp_eq_u32 s3, 29
	s_mov_b32 s0, -1
	s_cbranch_scc0 .LBB17_1879
; %bb.1878:
	s_wait_xcnt 0x0
	v_trunc_f32_e32 v1, v4
	s_mov_b32 s0, 0
	s_mov_b32 s7, -1
	s_delay_alu instid0(VALU_DEP_1) | instskip(NEXT) | instid1(VALU_DEP_1)
	v_mul_f32_e32 v5, 0x2f800000, v1
	v_floor_f32_e32 v5, v5
	s_delay_alu instid0(VALU_DEP_1) | instskip(SKIP_1) | instid1(VALU_DEP_2)
	v_fmamk_f32 v1, v5, 0xcf800000, v1
	v_cvt_u32_f32_e32 v9, v5
	v_cvt_u32_f32_e32 v8, v1
	global_store_b64 v[2:3], v[8:9], off
.LBB17_1879:
	s_mov_b32 s8, 0
.LBB17_1880:
	s_delay_alu instid0(SALU_CYCLE_1)
	s_and_b32 vcc_lo, exec_lo, s8
	s_cbranch_vccz .LBB17_1896
; %bb.1881:
	s_cmp_lt_i32 s3, 27
	s_mov_b32 s7, -1
	s_cbranch_scc1 .LBB17_1887
; %bb.1882:
	s_wait_xcnt 0x0
	v_cvt_u32_f32_e32 v1, v4
	s_cmp_gt_i32 s3, 27
	s_cbranch_scc0 .LBB17_1884
; %bb.1883:
	s_mov_b32 s7, 0
	global_store_b32 v[2:3], v1, off
.LBB17_1884:
	s_and_not1_b32 vcc_lo, exec_lo, s7
	s_cbranch_vccnz .LBB17_1886
; %bb.1885:
	global_store_b16 v[2:3], v1, off
.LBB17_1886:
	s_mov_b32 s7, 0
.LBB17_1887:
	s_delay_alu instid0(SALU_CYCLE_1)
	s_and_not1_b32 vcc_lo, exec_lo, s7
	s_cbranch_vccnz .LBB17_1895
; %bb.1888:
	s_wait_xcnt 0x0
	v_and_b32_e32 v1, 0x7fffffff, v4
	v_mov_b32_e32 v5, 0x80
	s_mov_b32 s7, exec_lo
	s_delay_alu instid0(VALU_DEP_2)
	v_cmpx_gt_u32_e32 0x43800000, v1
	s_cbranch_execz .LBB17_1894
; %bb.1889:
	v_cmp_lt_u32_e32 vcc_lo, 0x3bffffff, v1
	s_mov_b32 s8, 0
                                        ; implicit-def: $vgpr1
	s_and_saveexec_b32 s9, vcc_lo
	s_delay_alu instid0(SALU_CYCLE_1)
	s_xor_b32 s9, exec_lo, s9
	s_cbranch_execz .LBB17_2071
; %bb.1890:
	v_bfe_u32 v1, v4, 20, 1
	s_mov_b32 s8, exec_lo
	s_delay_alu instid0(VALU_DEP_1) | instskip(NEXT) | instid1(VALU_DEP_1)
	v_add3_u32 v1, v4, v1, 0x487ffff
	v_lshrrev_b32_e32 v1, 20, v1
	s_and_not1_saveexec_b32 s9, s9
	s_cbranch_execnz .LBB17_2072
.LBB17_1891:
	s_or_b32 exec_lo, exec_lo, s9
	v_mov_b32_e32 v5, 0
	s_and_saveexec_b32 s9, s8
.LBB17_1892:
	v_lshrrev_b32_e32 v5, 24, v4
	s_delay_alu instid0(VALU_DEP_1)
	v_and_or_b32 v5, 0x80, v5, v1
.LBB17_1893:
	s_or_b32 exec_lo, exec_lo, s9
.LBB17_1894:
	s_delay_alu instid0(SALU_CYCLE_1)
	s_or_b32 exec_lo, exec_lo, s7
	global_store_b8 v[2:3], v5, off
.LBB17_1895:
	s_mov_b32 s7, -1
.LBB17_1896:
	s_mov_b32 s8, 0
.LBB17_1897:
	s_delay_alu instid0(SALU_CYCLE_1)
	s_and_b32 vcc_lo, exec_lo, s8
	s_cbranch_vccz .LBB17_1937
; %bb.1898:
	s_cmp_gt_i32 s3, 22
	s_mov_b32 s6, -1
	s_cbranch_scc0 .LBB17_1930
; %bb.1899:
	s_cmp_lt_i32 s3, 24
	s_cbranch_scc1 .LBB17_1919
; %bb.1900:
	s_cmp_gt_i32 s3, 24
	s_cbranch_scc0 .LBB17_1908
; %bb.1901:
	s_wait_xcnt 0x0
	v_and_b32_e32 v1, 0x7fffffff, v4
	v_mov_b32_e32 v5, 0x80
	s_mov_b32 s6, exec_lo
	s_delay_alu instid0(VALU_DEP_2)
	v_cmpx_gt_u32_e32 0x47800000, v1
	s_cbranch_execz .LBB17_1907
; %bb.1902:
	v_cmp_lt_u32_e32 vcc_lo, 0x37ffffff, v1
	s_mov_b32 s7, 0
                                        ; implicit-def: $vgpr1
	s_and_saveexec_b32 s8, vcc_lo
	s_delay_alu instid0(SALU_CYCLE_1)
	s_xor_b32 s8, exec_lo, s8
	s_cbranch_execz .LBB17_2074
; %bb.1903:
	v_bfe_u32 v1, v4, 21, 1
	s_mov_b32 s7, exec_lo
	s_delay_alu instid0(VALU_DEP_1) | instskip(NEXT) | instid1(VALU_DEP_1)
	v_add3_u32 v1, v4, v1, 0x88fffff
	v_lshrrev_b32_e32 v1, 21, v1
	s_and_not1_saveexec_b32 s8, s8
	s_cbranch_execnz .LBB17_2075
.LBB17_1904:
	s_or_b32 exec_lo, exec_lo, s8
	v_mov_b32_e32 v5, 0
	s_and_saveexec_b32 s8, s7
.LBB17_1905:
	v_lshrrev_b32_e32 v5, 24, v4
	s_delay_alu instid0(VALU_DEP_1)
	v_and_or_b32 v5, 0x80, v5, v1
.LBB17_1906:
	s_or_b32 exec_lo, exec_lo, s8
.LBB17_1907:
	s_delay_alu instid0(SALU_CYCLE_1)
	s_or_b32 exec_lo, exec_lo, s6
	s_mov_b32 s6, 0
	global_store_b8 v[2:3], v5, off
.LBB17_1908:
	s_and_b32 vcc_lo, exec_lo, s6
	s_cbranch_vccz .LBB17_1918
; %bb.1909:
	s_wait_xcnt 0x0
	v_and_b32_e32 v5, 0x7fffffff, v4
	s_mov_b32 s6, exec_lo
                                        ; implicit-def: $vgpr1
	s_delay_alu instid0(VALU_DEP_1)
	v_cmpx_gt_u32_e32 0x43f00000, v5
	s_xor_b32 s6, exec_lo, s6
	s_cbranch_execz .LBB17_1915
; %bb.1910:
	s_mov_b32 s7, exec_lo
                                        ; implicit-def: $vgpr1
	v_cmpx_lt_u32_e32 0x3c7fffff, v5
	s_xor_b32 s7, exec_lo, s7
; %bb.1911:
	v_bfe_u32 v1, v4, 20, 1
	s_delay_alu instid0(VALU_DEP_1) | instskip(NEXT) | instid1(VALU_DEP_1)
	v_add3_u32 v1, v4, v1, 0x407ffff
	v_and_b32_e32 v5, 0xff00000, v1
	v_lshrrev_b32_e32 v1, 20, v1
	s_delay_alu instid0(VALU_DEP_2) | instskip(NEXT) | instid1(VALU_DEP_2)
	v_cmp_ne_u32_e32 vcc_lo, 0x7f00000, v5
	v_cndmask_b32_e32 v1, 0x7e, v1, vcc_lo
; %bb.1912:
	s_and_not1_saveexec_b32 s7, s7
; %bb.1913:
	v_add_f32_e64 v1, 0x46800000, |v4|
; %bb.1914:
	s_or_b32 exec_lo, exec_lo, s7
                                        ; implicit-def: $vgpr5
.LBB17_1915:
	s_and_not1_saveexec_b32 s6, s6
; %bb.1916:
	v_mov_b32_e32 v1, 0x7f
	v_cmp_lt_u32_e32 vcc_lo, 0x7f800000, v5
	s_delay_alu instid0(VALU_DEP_2)
	v_cndmask_b32_e32 v1, 0x7e, v1, vcc_lo
; %bb.1917:
	s_or_b32 exec_lo, exec_lo, s6
	v_lshrrev_b32_e32 v5, 24, v4
	s_delay_alu instid0(VALU_DEP_1)
	v_and_or_b32 v1, 0x80, v5, v1
	global_store_b8 v[2:3], v1, off
.LBB17_1918:
	s_mov_b32 s6, 0
.LBB17_1919:
	s_delay_alu instid0(SALU_CYCLE_1)
	s_and_not1_b32 vcc_lo, exec_lo, s6
	s_cbranch_vccnz .LBB17_1929
; %bb.1920:
	s_wait_xcnt 0x0
	v_and_b32_e32 v5, 0x7fffffff, v4
	s_mov_b32 s6, exec_lo
                                        ; implicit-def: $vgpr1
	s_delay_alu instid0(VALU_DEP_1)
	v_cmpx_gt_u32_e32 0x47800000, v5
	s_xor_b32 s6, exec_lo, s6
	s_cbranch_execz .LBB17_1926
; %bb.1921:
	s_mov_b32 s7, exec_lo
                                        ; implicit-def: $vgpr1
	v_cmpx_lt_u32_e32 0x387fffff, v5
	s_xor_b32 s7, exec_lo, s7
; %bb.1922:
	v_bfe_u32 v1, v4, 21, 1
	s_delay_alu instid0(VALU_DEP_1) | instskip(NEXT) | instid1(VALU_DEP_1)
	v_add3_u32 v1, v4, v1, 0x80fffff
	v_lshrrev_b32_e32 v1, 21, v1
; %bb.1923:
	s_and_not1_saveexec_b32 s7, s7
; %bb.1924:
	v_add_f32_e64 v1, 0x43000000, |v4|
; %bb.1925:
	s_or_b32 exec_lo, exec_lo, s7
                                        ; implicit-def: $vgpr5
.LBB17_1926:
	s_and_not1_saveexec_b32 s6, s6
; %bb.1927:
	v_mov_b32_e32 v1, 0x7f
	v_cmp_lt_u32_e32 vcc_lo, 0x7f800000, v5
	s_delay_alu instid0(VALU_DEP_2)
	v_cndmask_b32_e32 v1, 0x7c, v1, vcc_lo
; %bb.1928:
	s_or_b32 exec_lo, exec_lo, s6
	v_lshrrev_b32_e32 v5, 24, v4
	s_delay_alu instid0(VALU_DEP_1)
	v_and_or_b32 v1, 0x80, v5, v1
	global_store_b8 v[2:3], v1, off
.LBB17_1929:
	s_mov_b32 s6, 0
	s_mov_b32 s7, -1
.LBB17_1930:
	s_and_not1_b32 vcc_lo, exec_lo, s6
	s_mov_b32 s6, 0
	s_cbranch_vccnz .LBB17_1937
; %bb.1931:
	s_cmp_gt_i32 s3, 14
	s_mov_b32 s6, -1
	s_cbranch_scc0 .LBB17_1935
; %bb.1932:
	s_cmp_eq_u32 s3, 15
	s_mov_b32 s0, -1
	s_cbranch_scc0 .LBB17_1934
; %bb.1933:
	s_wait_xcnt 0x0
	v_bfe_u32 v1, v4, 16, 1
	v_cmp_o_f32_e32 vcc_lo, v4, v4
	s_mov_b32 s0, 0
	s_mov_b32 s7, -1
	s_delay_alu instid0(VALU_DEP_2) | instskip(NEXT) | instid1(VALU_DEP_1)
	v_add3_u32 v1, v4, v1, 0x7fff
	v_lshrrev_b32_e32 v1, 16, v1
	s_delay_alu instid0(VALU_DEP_1)
	v_cndmask_b32_e32 v1, 0x7fc0, v1, vcc_lo
	global_store_b16 v[2:3], v1, off
.LBB17_1934:
	s_mov_b32 s6, 0
.LBB17_1935:
	s_delay_alu instid0(SALU_CYCLE_1)
	s_and_b32 vcc_lo, exec_lo, s6
	s_mov_b32 s6, 0
	s_cbranch_vccz .LBB17_1937
; %bb.1936:
	s_cmp_lg_u32 s3, 11
	s_mov_b32 s6, -1
	s_cselect_b32 s0, -1, 0
.LBB17_1937:
	s_delay_alu instid0(SALU_CYCLE_1)
	s_and_b32 vcc_lo, exec_lo, s0
	s_cbranch_vccnz .LBB17_2073
; %bb.1938:
	s_and_not1_b32 vcc_lo, exec_lo, s6
	s_cbranch_vccnz .LBB17_1940
.LBB17_1939:
	v_cmp_neq_f32_e32 vcc_lo, 0, v4
	s_mov_b32 s7, -1
	s_wait_xcnt 0x0
	v_cndmask_b32_e64 v1, 0, 1, vcc_lo
	global_store_b8 v[2:3], v1, off
.LBB17_1940:
	s_mov_b32 s0, 0
	s_branch .LBB17_1942
.LBB17_1941:
	s_mov_b32 s0, -1
	s_mov_b32 s7, 0
.LBB17_1942:
	s_and_b32 vcc_lo, exec_lo, s0
	s_cbranch_vccz .LBB17_1981
; %bb.1943:
	s_and_b32 s0, 0xffff, s12
	s_mov_b32 s3, -1
	s_cmp_lt_i32 s0, 5
	s_cbranch_scc1 .LBB17_1964
; %bb.1944:
	s_cmp_lt_i32 s0, 8
	s_cbranch_scc1 .LBB17_1954
; %bb.1945:
	;; [unrolled: 3-line block ×3, first 2 shown]
	s_cmp_gt_i32 s0, 9
	s_cbranch_scc0 .LBB17_1948
; %bb.1947:
	s_wait_xcnt 0x0
	v_cvt_f64_f32_e32 v[8:9], v4
	v_mov_b32_e32 v10, 0
	s_mov_b32 s3, 0
	s_delay_alu instid0(VALU_DEP_1)
	v_mov_b32_e32 v11, v10
	global_store_b128 v[2:3], v[8:11], off
.LBB17_1948:
	s_and_not1_b32 vcc_lo, exec_lo, s3
	s_cbranch_vccnz .LBB17_1950
; %bb.1949:
	s_wait_xcnt 0x0
	v_mov_b32_e32 v5, 0
	global_store_b64 v[2:3], v[4:5], off
.LBB17_1950:
	s_mov_b32 s3, 0
.LBB17_1951:
	s_delay_alu instid0(SALU_CYCLE_1)
	s_and_not1_b32 vcc_lo, exec_lo, s3
	s_cbranch_vccnz .LBB17_1953
; %bb.1952:
	s_wait_xcnt 0x0
	v_cvt_f16_f32_e32 v1, v4
	s_delay_alu instid0(VALU_DEP_1)
	v_and_b32_e32 v1, 0xffff, v1
	global_store_b32 v[2:3], v1, off
.LBB17_1953:
	s_mov_b32 s3, 0
.LBB17_1954:
	s_delay_alu instid0(SALU_CYCLE_1)
	s_and_not1_b32 vcc_lo, exec_lo, s3
	s_cbranch_vccnz .LBB17_1963
; %bb.1955:
	s_cmp_lt_i32 s0, 6
	s_mov_b32 s3, -1
	s_cbranch_scc1 .LBB17_1961
; %bb.1956:
	s_cmp_gt_i32 s0, 6
	s_cbranch_scc0 .LBB17_1958
; %bb.1957:
	s_wait_xcnt 0x0
	v_cvt_f64_f32_e32 v[8:9], v4
	s_mov_b32 s3, 0
	global_store_b64 v[2:3], v[8:9], off
.LBB17_1958:
	s_and_not1_b32 vcc_lo, exec_lo, s3
	s_cbranch_vccnz .LBB17_1960
; %bb.1959:
	global_store_b32 v[2:3], v4, off
.LBB17_1960:
	s_mov_b32 s3, 0
.LBB17_1961:
	s_delay_alu instid0(SALU_CYCLE_1)
	s_and_not1_b32 vcc_lo, exec_lo, s3
	s_cbranch_vccnz .LBB17_1963
; %bb.1962:
	s_wait_xcnt 0x0
	v_cvt_f16_f32_e32 v1, v4
	global_store_b16 v[2:3], v1, off
.LBB17_1963:
	s_mov_b32 s3, 0
.LBB17_1964:
	s_delay_alu instid0(SALU_CYCLE_1)
	s_and_not1_b32 vcc_lo, exec_lo, s3
	s_cbranch_vccnz .LBB17_1980
; %bb.1965:
	s_cmp_lt_i32 s0, 2
	s_mov_b32 s3, -1
	s_cbranch_scc1 .LBB17_1975
; %bb.1966:
	s_cmp_lt_i32 s0, 3
	s_cbranch_scc1 .LBB17_1972
; %bb.1967:
	s_cmp_gt_i32 s0, 3
	s_cbranch_scc0 .LBB17_1969
; %bb.1968:
	s_wait_xcnt 0x0
	v_trunc_f32_e32 v1, v4
	s_mov_b32 s3, 0
	s_delay_alu instid0(VALU_DEP_1) | instskip(SKIP_1) | instid1(VALU_DEP_2)
	v_mul_f32_e64 v5, 0x2f800000, |v1|
	v_ashrrev_i32_e32 v8, 31, v1
	v_floor_f32_e32 v5, v5
	s_delay_alu instid0(VALU_DEP_1) | instskip(SKIP_1) | instid1(VALU_DEP_4)
	v_fma_f32 v7, 0xcf800000, v5, |v1|
	v_cvt_u32_f32_e32 v1, v5
	v_mov_b32_e32 v9, v8
	s_delay_alu instid0(VALU_DEP_3) | instskip(NEXT) | instid1(VALU_DEP_3)
	v_cvt_u32_f32_e32 v5, v7
	v_xor_b32_e32 v11, v1, v8
	s_delay_alu instid0(VALU_DEP_2) | instskip(NEXT) | instid1(VALU_DEP_1)
	v_xor_b32_e32 v10, v5, v8
	v_sub_nc_u64_e32 v[8:9], v[10:11], v[8:9]
	global_store_b64 v[2:3], v[8:9], off
.LBB17_1969:
	s_and_not1_b32 vcc_lo, exec_lo, s3
	s_cbranch_vccnz .LBB17_1971
; %bb.1970:
	s_wait_xcnt 0x0
	v_cvt_i32_f32_e32 v1, v4
	global_store_b32 v[2:3], v1, off
.LBB17_1971:
	s_mov_b32 s3, 0
.LBB17_1972:
	s_delay_alu instid0(SALU_CYCLE_1)
	s_and_not1_b32 vcc_lo, exec_lo, s3
	s_cbranch_vccnz .LBB17_1974
; %bb.1973:
	s_wait_xcnt 0x0
	v_cvt_i32_f32_e32 v1, v4
	global_store_b16 v[2:3], v1, off
.LBB17_1974:
	s_mov_b32 s3, 0
.LBB17_1975:
	s_delay_alu instid0(SALU_CYCLE_1)
	s_and_not1_b32 vcc_lo, exec_lo, s3
	s_cbranch_vccnz .LBB17_1980
; %bb.1976:
	s_cmp_gt_i32 s0, 0
	s_mov_b32 s0, -1
	s_cbranch_scc0 .LBB17_1978
; %bb.1977:
	s_wait_xcnt 0x0
	v_cvt_i32_f32_e32 v1, v4
	s_mov_b32 s0, 0
	global_store_b8 v[2:3], v1, off
.LBB17_1978:
	s_and_not1_b32 vcc_lo, exec_lo, s0
	s_cbranch_vccnz .LBB17_1980
; %bb.1979:
	s_wait_xcnt 0x0
	v_trunc_f32_e32 v1, v4
	s_delay_alu instid0(VALU_DEP_1) | instskip(NEXT) | instid1(VALU_DEP_1)
	v_mul_f32_e64 v4, 0x2f800000, |v1|
	v_floor_f32_e32 v4, v4
	s_delay_alu instid0(VALU_DEP_1) | instskip(SKIP_1) | instid1(VALU_DEP_2)
	v_fma_f32 v4, 0xcf800000, v4, |v1|
	v_ashrrev_i32_e32 v1, 31, v1
	v_cvt_u32_f32_e32 v4, v4
	s_delay_alu instid0(VALU_DEP_1) | instskip(NEXT) | instid1(VALU_DEP_1)
	v_xor_b32_e32 v4, v4, v1
	v_sub_nc_u32_e32 v1, v4, v1
	global_store_b8 v[2:3], v1, off
.LBB17_1980:
	s_mov_b32 s7, -1
.LBB17_1981:
	s_delay_alu instid0(SALU_CYCLE_1)
	s_and_not1_b32 vcc_lo, exec_lo, s7
	s_cbranch_vccnz .LBB17_2058
; %bb.1982:
	v_add_nc_u32_e32 v0, s2, v0
	s_cmp_lt_i32 s12, 11
	s_wait_xcnt 0x0
	s_delay_alu instid0(VALU_DEP_1) | instskip(NEXT) | instid1(VALU_DEP_1)
	v_ashrrev_i32_e32 v1, 31, v0
	v_add_nc_u64_e32 v[0:1], s[4:5], v[0:1]
	s_cbranch_scc1 .LBB17_2059
; %bb.1983:
	s_and_b32 s2, 0xffff, s12
	s_mov_b32 s4, -1
	s_mov_b32 s3, 0
	s_cmp_gt_i32 s2, 25
	s_mov_b32 s0, 0
	s_cbranch_scc0 .LBB17_2016
; %bb.1984:
	s_cmp_gt_i32 s2, 28
	s_cbranch_scc0 .LBB17_2000
; %bb.1985:
	s_cmp_gt_i32 s2, 43
	;; [unrolled: 3-line block ×3, first 2 shown]
	s_cbranch_scc0 .LBB17_1990
; %bb.1987:
	s_cmp_eq_u32 s2, 46
	s_mov_b32 s0, -1
	s_cbranch_scc0 .LBB17_1989
; %bb.1988:
	v_bfe_u32 v2, v6, 16, 1
	v_cmp_o_f32_e32 vcc_lo, v6, v6
	s_mov_b32 s0, 0
	s_delay_alu instid0(VALU_DEP_2) | instskip(NEXT) | instid1(VALU_DEP_1)
	v_add3_u32 v2, v6, v2, 0x7fff
	v_lshrrev_b32_e32 v2, 16, v2
	s_delay_alu instid0(VALU_DEP_1)
	v_cndmask_b32_e32 v2, 0x7fc0, v2, vcc_lo
	global_store_b32 v[0:1], v2, off
.LBB17_1989:
	s_mov_b32 s4, 0
.LBB17_1990:
	s_delay_alu instid0(SALU_CYCLE_1)
	s_and_b32 vcc_lo, exec_lo, s4
	s_cbranch_vccz .LBB17_1995
; %bb.1991:
	s_cmp_eq_u32 s2, 44
	s_mov_b32 s0, -1
	s_cbranch_scc0 .LBB17_1995
; %bb.1992:
	v_bfe_u32 v3, v6, 23, 8
	s_wait_xcnt 0x0
	v_mov_b32_e32 v2, 0xff
	s_mov_b32 s4, exec_lo
	s_delay_alu instid0(VALU_DEP_2)
	v_cmpx_ne_u32_e32 0xff, v3
	s_cbranch_execz .LBB17_1994
; %bb.1993:
	v_and_b32_e32 v2, 0x400000, v6
	v_and_or_b32 v3, 0x3fffff, v6, v3
	s_delay_alu instid0(VALU_DEP_2) | instskip(NEXT) | instid1(VALU_DEP_2)
	v_cmp_ne_u32_e32 vcc_lo, 0, v2
	v_cmp_ne_u32_e64 s0, 0, v3
	v_lshrrev_b32_e32 v2, 23, v6
	s_and_b32 s0, vcc_lo, s0
	s_delay_alu instid0(SALU_CYCLE_1) | instskip(NEXT) | instid1(VALU_DEP_1)
	v_cndmask_b32_e64 v3, 0, 1, s0
	v_add_nc_u32_e32 v2, v2, v3
.LBB17_1994:
	s_or_b32 exec_lo, exec_lo, s4
	s_mov_b32 s0, 0
	global_store_b8 v[0:1], v2, off
.LBB17_1995:
	s_mov_b32 s4, 0
.LBB17_1996:
	s_delay_alu instid0(SALU_CYCLE_1)
	s_and_b32 vcc_lo, exec_lo, s4
	s_cbranch_vccz .LBB17_1999
; %bb.1997:
	s_cmp_eq_u32 s2, 29
	s_mov_b32 s0, -1
	s_cbranch_scc0 .LBB17_1999
; %bb.1998:
	s_wait_xcnt 0x0
	v_trunc_f32_e32 v2, v6
	s_mov_b32 s0, 0
	s_delay_alu instid0(VALU_DEP_1) | instskip(NEXT) | instid1(VALU_DEP_1)
	v_mul_f32_e32 v3, 0x2f800000, v2
	v_floor_f32_e32 v3, v3
	s_delay_alu instid0(VALU_DEP_1) | instskip(SKIP_1) | instid1(VALU_DEP_2)
	v_fmamk_f32 v2, v3, 0xcf800000, v2
	v_cvt_u32_f32_e32 v3, v3
	v_cvt_u32_f32_e32 v2, v2
	global_store_b64 v[0:1], v[2:3], off
.LBB17_1999:
	s_mov_b32 s4, 0
.LBB17_2000:
	s_delay_alu instid0(SALU_CYCLE_1)
	s_and_b32 vcc_lo, exec_lo, s4
	s_cbranch_vccz .LBB17_2015
; %bb.2001:
	s_cmp_lt_i32 s2, 27
	s_mov_b32 s4, -1
	s_cbranch_scc1 .LBB17_2007
; %bb.2002:
	s_wait_xcnt 0x0
	v_cvt_u32_f32_e32 v2, v6
	s_cmp_gt_i32 s2, 27
	s_cbranch_scc0 .LBB17_2004
; %bb.2003:
	s_mov_b32 s4, 0
	global_store_b32 v[0:1], v2, off
.LBB17_2004:
	s_and_not1_b32 vcc_lo, exec_lo, s4
	s_cbranch_vccnz .LBB17_2006
; %bb.2005:
	global_store_b16 v[0:1], v2, off
.LBB17_2006:
	s_mov_b32 s4, 0
.LBB17_2007:
	s_delay_alu instid0(SALU_CYCLE_1)
	s_and_not1_b32 vcc_lo, exec_lo, s4
	s_cbranch_vccnz .LBB17_2015
; %bb.2008:
	s_wait_xcnt 0x0
	v_and_b32_e32 v2, 0x7fffffff, v6
	v_mov_b32_e32 v3, 0x80
	s_mov_b32 s4, exec_lo
	s_delay_alu instid0(VALU_DEP_2)
	v_cmpx_gt_u32_e32 0x43800000, v2
	s_cbranch_execz .LBB17_2014
; %bb.2009:
	v_cmp_lt_u32_e32 vcc_lo, 0x3bffffff, v2
	s_mov_b32 s5, 0
                                        ; implicit-def: $vgpr2
	s_and_saveexec_b32 s6, vcc_lo
	s_delay_alu instid0(SALU_CYCLE_1)
	s_xor_b32 s6, exec_lo, s6
	s_cbranch_execz .LBB17_2076
; %bb.2010:
	v_bfe_u32 v2, v6, 20, 1
	s_mov_b32 s5, exec_lo
	s_delay_alu instid0(VALU_DEP_1) | instskip(NEXT) | instid1(VALU_DEP_1)
	v_add3_u32 v2, v6, v2, 0x487ffff
	v_lshrrev_b32_e32 v2, 20, v2
	s_and_not1_saveexec_b32 s6, s6
	s_cbranch_execnz .LBB17_2077
.LBB17_2011:
	s_or_b32 exec_lo, exec_lo, s6
	v_mov_b32_e32 v3, 0
	s_and_saveexec_b32 s6, s5
.LBB17_2012:
	v_lshrrev_b32_e32 v3, 24, v6
	s_delay_alu instid0(VALU_DEP_1)
	v_and_or_b32 v3, 0x80, v3, v2
.LBB17_2013:
	s_or_b32 exec_lo, exec_lo, s6
.LBB17_2014:
	s_delay_alu instid0(SALU_CYCLE_1)
	s_or_b32 exec_lo, exec_lo, s4
	global_store_b8 v[0:1], v3, off
.LBB17_2015:
	s_mov_b32 s4, 0
.LBB17_2016:
	s_delay_alu instid0(SALU_CYCLE_1)
	s_and_b32 vcc_lo, exec_lo, s4
	s_cbranch_vccz .LBB17_2056
; %bb.2017:
	s_cmp_gt_i32 s2, 22
	s_mov_b32 s3, -1
	s_cbranch_scc0 .LBB17_2049
; %bb.2018:
	s_cmp_lt_i32 s2, 24
	s_cbranch_scc1 .LBB17_2038
; %bb.2019:
	s_cmp_gt_i32 s2, 24
	s_cbranch_scc0 .LBB17_2027
; %bb.2020:
	s_wait_xcnt 0x0
	v_and_b32_e32 v2, 0x7fffffff, v6
	v_mov_b32_e32 v3, 0x80
	s_mov_b32 s3, exec_lo
	s_delay_alu instid0(VALU_DEP_2)
	v_cmpx_gt_u32_e32 0x47800000, v2
	s_cbranch_execz .LBB17_2026
; %bb.2021:
	v_cmp_lt_u32_e32 vcc_lo, 0x37ffffff, v2
	s_mov_b32 s4, 0
                                        ; implicit-def: $vgpr2
	s_and_saveexec_b32 s5, vcc_lo
	s_delay_alu instid0(SALU_CYCLE_1)
	s_xor_b32 s5, exec_lo, s5
	s_cbranch_execz .LBB17_2079
; %bb.2022:
	v_bfe_u32 v2, v6, 21, 1
	s_mov_b32 s4, exec_lo
	s_delay_alu instid0(VALU_DEP_1) | instskip(NEXT) | instid1(VALU_DEP_1)
	v_add3_u32 v2, v6, v2, 0x88fffff
	v_lshrrev_b32_e32 v2, 21, v2
	s_and_not1_saveexec_b32 s5, s5
	s_cbranch_execnz .LBB17_2080
.LBB17_2023:
	s_or_b32 exec_lo, exec_lo, s5
	v_mov_b32_e32 v3, 0
	s_and_saveexec_b32 s5, s4
.LBB17_2024:
	v_lshrrev_b32_e32 v3, 24, v6
	s_delay_alu instid0(VALU_DEP_1)
	v_and_or_b32 v3, 0x80, v3, v2
.LBB17_2025:
	s_or_b32 exec_lo, exec_lo, s5
.LBB17_2026:
	s_delay_alu instid0(SALU_CYCLE_1)
	s_or_b32 exec_lo, exec_lo, s3
	s_mov_b32 s3, 0
	global_store_b8 v[0:1], v3, off
.LBB17_2027:
	s_and_b32 vcc_lo, exec_lo, s3
	s_cbranch_vccz .LBB17_2037
; %bb.2028:
	s_wait_xcnt 0x0
	v_and_b32_e32 v3, 0x7fffffff, v6
	s_mov_b32 s3, exec_lo
                                        ; implicit-def: $vgpr2
	s_delay_alu instid0(VALU_DEP_1)
	v_cmpx_gt_u32_e32 0x43f00000, v3
	s_xor_b32 s3, exec_lo, s3
	s_cbranch_execz .LBB17_2034
; %bb.2029:
	s_mov_b32 s4, exec_lo
                                        ; implicit-def: $vgpr2
	v_cmpx_lt_u32_e32 0x3c7fffff, v3
	s_xor_b32 s4, exec_lo, s4
; %bb.2030:
	v_bfe_u32 v2, v6, 20, 1
	s_delay_alu instid0(VALU_DEP_1) | instskip(NEXT) | instid1(VALU_DEP_1)
	v_add3_u32 v2, v6, v2, 0x407ffff
	v_and_b32_e32 v3, 0xff00000, v2
	v_lshrrev_b32_e32 v2, 20, v2
	s_delay_alu instid0(VALU_DEP_2) | instskip(NEXT) | instid1(VALU_DEP_2)
	v_cmp_ne_u32_e32 vcc_lo, 0x7f00000, v3
	v_cndmask_b32_e32 v2, 0x7e, v2, vcc_lo
; %bb.2031:
	s_and_not1_saveexec_b32 s4, s4
; %bb.2032:
	v_add_f32_e64 v2, 0x46800000, |v6|
; %bb.2033:
	s_or_b32 exec_lo, exec_lo, s4
                                        ; implicit-def: $vgpr3
.LBB17_2034:
	s_and_not1_saveexec_b32 s3, s3
; %bb.2035:
	v_mov_b32_e32 v2, 0x7f
	v_cmp_lt_u32_e32 vcc_lo, 0x7f800000, v3
	s_delay_alu instid0(VALU_DEP_2)
	v_cndmask_b32_e32 v2, 0x7e, v2, vcc_lo
; %bb.2036:
	s_or_b32 exec_lo, exec_lo, s3
	v_lshrrev_b32_e32 v3, 24, v6
	s_delay_alu instid0(VALU_DEP_1)
	v_and_or_b32 v2, 0x80, v3, v2
	global_store_b8 v[0:1], v2, off
.LBB17_2037:
	s_mov_b32 s3, 0
.LBB17_2038:
	s_delay_alu instid0(SALU_CYCLE_1)
	s_and_not1_b32 vcc_lo, exec_lo, s3
	s_cbranch_vccnz .LBB17_2048
; %bb.2039:
	s_wait_xcnt 0x0
	v_and_b32_e32 v3, 0x7fffffff, v6
	s_mov_b32 s3, exec_lo
                                        ; implicit-def: $vgpr2
	s_delay_alu instid0(VALU_DEP_1)
	v_cmpx_gt_u32_e32 0x47800000, v3
	s_xor_b32 s3, exec_lo, s3
	s_cbranch_execz .LBB17_2045
; %bb.2040:
	s_mov_b32 s4, exec_lo
                                        ; implicit-def: $vgpr2
	v_cmpx_lt_u32_e32 0x387fffff, v3
	s_xor_b32 s4, exec_lo, s4
; %bb.2041:
	v_bfe_u32 v2, v6, 21, 1
	s_delay_alu instid0(VALU_DEP_1) | instskip(NEXT) | instid1(VALU_DEP_1)
	v_add3_u32 v2, v6, v2, 0x80fffff
	v_lshrrev_b32_e32 v2, 21, v2
; %bb.2042:
	s_and_not1_saveexec_b32 s4, s4
; %bb.2043:
	v_add_f32_e64 v2, 0x43000000, |v6|
; %bb.2044:
	s_or_b32 exec_lo, exec_lo, s4
                                        ; implicit-def: $vgpr3
.LBB17_2045:
	s_and_not1_saveexec_b32 s3, s3
; %bb.2046:
	v_mov_b32_e32 v2, 0x7f
	v_cmp_lt_u32_e32 vcc_lo, 0x7f800000, v3
	s_delay_alu instid0(VALU_DEP_2)
	v_cndmask_b32_e32 v2, 0x7c, v2, vcc_lo
; %bb.2047:
	s_or_b32 exec_lo, exec_lo, s3
	v_lshrrev_b32_e32 v3, 24, v6
	s_delay_alu instid0(VALU_DEP_1)
	v_and_or_b32 v2, 0x80, v3, v2
	global_store_b8 v[0:1], v2, off
.LBB17_2048:
	s_mov_b32 s3, 0
.LBB17_2049:
	s_delay_alu instid0(SALU_CYCLE_1)
	s_and_not1_b32 vcc_lo, exec_lo, s3
	s_mov_b32 s3, 0
	s_cbranch_vccnz .LBB17_2056
; %bb.2050:
	s_cmp_gt_i32 s2, 14
	s_mov_b32 s3, -1
	s_cbranch_scc0 .LBB17_2054
; %bb.2051:
	s_cmp_eq_u32 s2, 15
	s_mov_b32 s0, -1
	s_cbranch_scc0 .LBB17_2053
; %bb.2052:
	s_wait_xcnt 0x0
	v_bfe_u32 v2, v6, 16, 1
	v_cmp_o_f32_e32 vcc_lo, v6, v6
	s_mov_b32 s0, 0
	s_delay_alu instid0(VALU_DEP_2) | instskip(NEXT) | instid1(VALU_DEP_1)
	v_add3_u32 v2, v6, v2, 0x7fff
	v_lshrrev_b32_e32 v2, 16, v2
	s_delay_alu instid0(VALU_DEP_1)
	v_cndmask_b32_e32 v2, 0x7fc0, v2, vcc_lo
	global_store_b16 v[0:1], v2, off
.LBB17_2053:
	s_mov_b32 s3, 0
.LBB17_2054:
	s_delay_alu instid0(SALU_CYCLE_1)
	s_and_b32 vcc_lo, exec_lo, s3
	s_mov_b32 s3, 0
	s_cbranch_vccz .LBB17_2056
; %bb.2055:
	s_cmp_lg_u32 s2, 11
	s_mov_b32 s3, -1
	s_cselect_b32 s0, -1, 0
.LBB17_2056:
	s_delay_alu instid0(SALU_CYCLE_1)
	s_and_b32 vcc_lo, exec_lo, s0
	s_cbranch_vccnz .LBB17_2078
.LBB17_2057:
	s_mov_b32 s0, 0
	s_branch .LBB17_1659
.LBB17_2058:
	s_mov_b32 s0, 0
	s_mov_b32 s3, 0
                                        ; implicit-def: $sgpr12
                                        ; implicit-def: $vgpr0_vgpr1
	s_branch .LBB17_1659
.LBB17_2059:
	s_mov_b32 s3, 0
	s_mov_b32 s0, -1
	s_branch .LBB17_1659
.LBB17_2060:
	s_or_b32 s1, s1, exec_lo
	s_trap 2
	s_cbranch_execz .LBB17_1524
	s_branch .LBB17_1525
.LBB17_2061:
	s_and_not1_saveexec_b32 s9, s9
	s_cbranch_execz .LBB17_1608
.LBB17_2062:
	v_add_f32_e64 v1, 0x46000000, |v0|
	s_and_not1_b32 s8, s8, exec_lo
	s_delay_alu instid0(VALU_DEP_1) | instskip(NEXT) | instid1(VALU_DEP_1)
	v_and_b32_e32 v1, 0xff, v1
	v_cmp_ne_u32_e32 vcc_lo, 0, v1
	s_and_b32 s13, vcc_lo, exec_lo
	s_delay_alu instid0(SALU_CYCLE_1)
	s_or_b32 s8, s8, s13
	s_or_b32 exec_lo, exec_lo, s9
	v_mov_b32_e32 v3, 0
	s_and_saveexec_b32 s9, s8
	s_cbranch_execnz .LBB17_1609
	s_branch .LBB17_1610
.LBB17_2063:
	s_or_b32 s1, s1, exec_lo
	s_trap 2
	s_cbranch_execz .LBB17_1656
	s_branch .LBB17_1657
.LBB17_2064:
	s_and_not1_saveexec_b32 s8, s8
	s_cbranch_execz .LBB17_1621
.LBB17_2065:
	v_add_f32_e64 v1, 0x42800000, |v0|
	s_and_not1_b32 s7, s7, exec_lo
	s_delay_alu instid0(VALU_DEP_1) | instskip(NEXT) | instid1(VALU_DEP_1)
	v_and_b32_e32 v1, 0xff, v1
	v_cmp_ne_u32_e32 vcc_lo, 0, v1
	s_and_b32 s9, vcc_lo, exec_lo
	s_delay_alu instid0(SALU_CYCLE_1)
	s_or_b32 s7, s7, s9
	s_or_b32 exec_lo, exec_lo, s8
	v_mov_b32_e32 v3, 0
	s_and_saveexec_b32 s8, s7
	s_cbranch_execnz .LBB17_1622
	s_branch .LBB17_1623
.LBB17_2066:
	s_and_not1_saveexec_b32 s9, s9
	s_cbranch_execz .LBB17_1772
.LBB17_2067:
	v_add_f32_e64 v1, 0x46000000, |v2|
	s_and_not1_b32 s8, s8, exec_lo
	s_delay_alu instid0(VALU_DEP_1) | instskip(NEXT) | instid1(VALU_DEP_1)
	v_and_b32_e32 v1, 0xff, v1
	v_cmp_ne_u32_e32 vcc_lo, 0, v1
	s_and_b32 s13, vcc_lo, exec_lo
	s_delay_alu instid0(SALU_CYCLE_1)
	s_or_b32 s8, s8, s13
	s_or_b32 exec_lo, exec_lo, s9
	v_mov_b32_e32 v3, 0
	s_and_saveexec_b32 s9, s8
	s_cbranch_execnz .LBB17_1773
	s_branch .LBB17_1774
.LBB17_2068:
	s_or_b32 s1, s1, exec_lo
	s_trap 2
	s_cbranch_execz .LBB17_1820
	s_branch .LBB17_1821
.LBB17_2069:
	s_and_not1_saveexec_b32 s8, s8
	s_cbranch_execz .LBB17_1785
.LBB17_2070:
	v_add_f32_e64 v1, 0x42800000, |v2|
	s_and_not1_b32 s7, s7, exec_lo
	s_delay_alu instid0(VALU_DEP_1) | instskip(NEXT) | instid1(VALU_DEP_1)
	v_and_b32_e32 v1, 0xff, v1
	v_cmp_ne_u32_e32 vcc_lo, 0, v1
	s_and_b32 s9, vcc_lo, exec_lo
	s_delay_alu instid0(SALU_CYCLE_1)
	s_or_b32 s7, s7, s9
	s_or_b32 exec_lo, exec_lo, s8
	v_mov_b32_e32 v3, 0
	s_and_saveexec_b32 s8, s7
	s_cbranch_execnz .LBB17_1786
	s_branch .LBB17_1787
.LBB17_2071:
	s_and_not1_saveexec_b32 s9, s9
	s_cbranch_execz .LBB17_1891
.LBB17_2072:
	v_add_f32_e64 v1, 0x46000000, |v4|
	s_and_not1_b32 s8, s8, exec_lo
	s_delay_alu instid0(VALU_DEP_1) | instskip(NEXT) | instid1(VALU_DEP_1)
	v_and_b32_e32 v1, 0xff, v1
	v_cmp_ne_u32_e32 vcc_lo, 0, v1
	s_and_b32 s13, vcc_lo, exec_lo
	s_delay_alu instid0(SALU_CYCLE_1)
	s_or_b32 s8, s8, s13
	s_or_b32 exec_lo, exec_lo, s9
	v_mov_b32_e32 v5, 0
	s_and_saveexec_b32 s9, s8
	s_cbranch_execnz .LBB17_1892
	s_branch .LBB17_1893
.LBB17_2073:
	s_or_b32 s1, s1, exec_lo
	s_trap 2
	s_cbranch_execz .LBB17_1939
	s_branch .LBB17_1940
.LBB17_2074:
	s_and_not1_saveexec_b32 s8, s8
	s_cbranch_execz .LBB17_1904
.LBB17_2075:
	v_add_f32_e64 v1, 0x42800000, |v4|
	s_and_not1_b32 s7, s7, exec_lo
	s_delay_alu instid0(VALU_DEP_1) | instskip(NEXT) | instid1(VALU_DEP_1)
	v_and_b32_e32 v1, 0xff, v1
	v_cmp_ne_u32_e32 vcc_lo, 0, v1
	s_and_b32 s9, vcc_lo, exec_lo
	s_delay_alu instid0(SALU_CYCLE_1)
	s_or_b32 s7, s7, s9
	s_or_b32 exec_lo, exec_lo, s8
	v_mov_b32_e32 v5, 0
	s_and_saveexec_b32 s8, s7
	s_cbranch_execnz .LBB17_1905
	s_branch .LBB17_1906
.LBB17_2076:
	s_and_not1_saveexec_b32 s6, s6
	s_cbranch_execz .LBB17_2011
.LBB17_2077:
	v_add_f32_e64 v2, 0x46000000, |v6|
	s_and_not1_b32 s5, s5, exec_lo
	s_delay_alu instid0(VALU_DEP_1) | instskip(NEXT) | instid1(VALU_DEP_1)
	v_and_b32_e32 v2, 0xff, v2
	v_cmp_ne_u32_e32 vcc_lo, 0, v2
	s_and_b32 s7, vcc_lo, exec_lo
	s_delay_alu instid0(SALU_CYCLE_1)
	s_or_b32 s5, s5, s7
	s_or_b32 exec_lo, exec_lo, s6
	v_mov_b32_e32 v3, 0
	s_and_saveexec_b32 s6, s5
	s_cbranch_execnz .LBB17_2012
	s_branch .LBB17_2013
.LBB17_2078:
	s_mov_b32 s3, 0
	s_or_b32 s1, s1, exec_lo
	s_trap 2
	s_branch .LBB17_2057
.LBB17_2079:
	s_and_not1_saveexec_b32 s5, s5
	s_cbranch_execz .LBB17_2023
.LBB17_2080:
	v_add_f32_e64 v2, 0x42800000, |v6|
	s_and_not1_b32 s4, s4, exec_lo
	s_delay_alu instid0(VALU_DEP_1) | instskip(NEXT) | instid1(VALU_DEP_1)
	v_and_b32_e32 v2, 0xff, v2
	v_cmp_ne_u32_e32 vcc_lo, 0, v2
	s_and_b32 s6, vcc_lo, exec_lo
	s_delay_alu instid0(SALU_CYCLE_1)
	s_or_b32 s4, s4, s6
	s_or_b32 exec_lo, exec_lo, s5
	v_mov_b32_e32 v3, 0
	s_and_saveexec_b32 s5, s4
	s_cbranch_execnz .LBB17_2024
	s_branch .LBB17_2025
	.section	.rodata,"a",@progbits
	.p2align	6, 0x0
	.amdhsa_kernel _ZN2at6native32elementwise_kernel_manual_unrollILi128ELi4EZNS0_15gpu_kernel_implIZZZNS0_12_GLOBAL__N_130modified_bessel_i0_kernel_cudaERNS_18TensorIteratorBaseEENKUlvE_clEvENKUlvE0_clEvEUlfE_EEvS5_RKT_EUlibE_EEviT1_
		.amdhsa_group_segment_fixed_size 0
		.amdhsa_private_segment_fixed_size 0
		.amdhsa_kernarg_size 40
		.amdhsa_user_sgpr_count 2
		.amdhsa_user_sgpr_dispatch_ptr 0
		.amdhsa_user_sgpr_queue_ptr 0
		.amdhsa_user_sgpr_kernarg_segment_ptr 1
		.amdhsa_user_sgpr_dispatch_id 0
		.amdhsa_user_sgpr_kernarg_preload_length 0
		.amdhsa_user_sgpr_kernarg_preload_offset 0
		.amdhsa_user_sgpr_private_segment_size 0
		.amdhsa_wavefront_size32 1
		.amdhsa_uses_dynamic_stack 0
		.amdhsa_enable_private_segment 0
		.amdhsa_system_sgpr_workgroup_id_x 1
		.amdhsa_system_sgpr_workgroup_id_y 0
		.amdhsa_system_sgpr_workgroup_id_z 0
		.amdhsa_system_sgpr_workgroup_info 0
		.amdhsa_system_vgpr_workitem_id 0
		.amdhsa_next_free_vgpr 16
		.amdhsa_next_free_sgpr 26
		.amdhsa_named_barrier_count 0
		.amdhsa_reserve_vcc 1
		.amdhsa_float_round_mode_32 0
		.amdhsa_float_round_mode_16_64 0
		.amdhsa_float_denorm_mode_32 3
		.amdhsa_float_denorm_mode_16_64 3
		.amdhsa_fp16_overflow 0
		.amdhsa_memory_ordered 1
		.amdhsa_forward_progress 1
		.amdhsa_inst_pref_size 255
		.amdhsa_round_robin_scheduling 0
		.amdhsa_exception_fp_ieee_invalid_op 0
		.amdhsa_exception_fp_denorm_src 0
		.amdhsa_exception_fp_ieee_div_zero 0
		.amdhsa_exception_fp_ieee_overflow 0
		.amdhsa_exception_fp_ieee_underflow 0
		.amdhsa_exception_fp_ieee_inexact 0
		.amdhsa_exception_int_div_zero 0
	.end_amdhsa_kernel
	.section	.text._ZN2at6native32elementwise_kernel_manual_unrollILi128ELi4EZNS0_15gpu_kernel_implIZZZNS0_12_GLOBAL__N_130modified_bessel_i0_kernel_cudaERNS_18TensorIteratorBaseEENKUlvE_clEvENKUlvE0_clEvEUlfE_EEvS5_RKT_EUlibE_EEviT1_,"axG",@progbits,_ZN2at6native32elementwise_kernel_manual_unrollILi128ELi4EZNS0_15gpu_kernel_implIZZZNS0_12_GLOBAL__N_130modified_bessel_i0_kernel_cudaERNS_18TensorIteratorBaseEENKUlvE_clEvENKUlvE0_clEvEUlfE_EEvS5_RKT_EUlibE_EEviT1_,comdat
.Lfunc_end17:
	.size	_ZN2at6native32elementwise_kernel_manual_unrollILi128ELi4EZNS0_15gpu_kernel_implIZZZNS0_12_GLOBAL__N_130modified_bessel_i0_kernel_cudaERNS_18TensorIteratorBaseEENKUlvE_clEvENKUlvE0_clEvEUlfE_EEvS5_RKT_EUlibE_EEviT1_, .Lfunc_end17-_ZN2at6native32elementwise_kernel_manual_unrollILi128ELi4EZNS0_15gpu_kernel_implIZZZNS0_12_GLOBAL__N_130modified_bessel_i0_kernel_cudaERNS_18TensorIteratorBaseEENKUlvE_clEvENKUlvE0_clEvEUlfE_EEvS5_RKT_EUlibE_EEviT1_
                                        ; -- End function
	.set _ZN2at6native32elementwise_kernel_manual_unrollILi128ELi4EZNS0_15gpu_kernel_implIZZZNS0_12_GLOBAL__N_130modified_bessel_i0_kernel_cudaERNS_18TensorIteratorBaseEENKUlvE_clEvENKUlvE0_clEvEUlfE_EEvS5_RKT_EUlibE_EEviT1_.num_vgpr, 16
	.set _ZN2at6native32elementwise_kernel_manual_unrollILi128ELi4EZNS0_15gpu_kernel_implIZZZNS0_12_GLOBAL__N_130modified_bessel_i0_kernel_cudaERNS_18TensorIteratorBaseEENKUlvE_clEvENKUlvE0_clEvEUlfE_EEvS5_RKT_EUlibE_EEviT1_.num_agpr, 0
	.set _ZN2at6native32elementwise_kernel_manual_unrollILi128ELi4EZNS0_15gpu_kernel_implIZZZNS0_12_GLOBAL__N_130modified_bessel_i0_kernel_cudaERNS_18TensorIteratorBaseEENKUlvE_clEvENKUlvE0_clEvEUlfE_EEvS5_RKT_EUlibE_EEviT1_.numbered_sgpr, 26
	.set _ZN2at6native32elementwise_kernel_manual_unrollILi128ELi4EZNS0_15gpu_kernel_implIZZZNS0_12_GLOBAL__N_130modified_bessel_i0_kernel_cudaERNS_18TensorIteratorBaseEENKUlvE_clEvENKUlvE0_clEvEUlfE_EEvS5_RKT_EUlibE_EEviT1_.num_named_barrier, 0
	.set _ZN2at6native32elementwise_kernel_manual_unrollILi128ELi4EZNS0_15gpu_kernel_implIZZZNS0_12_GLOBAL__N_130modified_bessel_i0_kernel_cudaERNS_18TensorIteratorBaseEENKUlvE_clEvENKUlvE0_clEvEUlfE_EEvS5_RKT_EUlibE_EEviT1_.private_seg_size, 0
	.set _ZN2at6native32elementwise_kernel_manual_unrollILi128ELi4EZNS0_15gpu_kernel_implIZZZNS0_12_GLOBAL__N_130modified_bessel_i0_kernel_cudaERNS_18TensorIteratorBaseEENKUlvE_clEvENKUlvE0_clEvEUlfE_EEvS5_RKT_EUlibE_EEviT1_.uses_vcc, 1
	.set _ZN2at6native32elementwise_kernel_manual_unrollILi128ELi4EZNS0_15gpu_kernel_implIZZZNS0_12_GLOBAL__N_130modified_bessel_i0_kernel_cudaERNS_18TensorIteratorBaseEENKUlvE_clEvENKUlvE0_clEvEUlfE_EEvS5_RKT_EUlibE_EEviT1_.uses_flat_scratch, 0
	.set _ZN2at6native32elementwise_kernel_manual_unrollILi128ELi4EZNS0_15gpu_kernel_implIZZZNS0_12_GLOBAL__N_130modified_bessel_i0_kernel_cudaERNS_18TensorIteratorBaseEENKUlvE_clEvENKUlvE0_clEvEUlfE_EEvS5_RKT_EUlibE_EEviT1_.has_dyn_sized_stack, 0
	.set _ZN2at6native32elementwise_kernel_manual_unrollILi128ELi4EZNS0_15gpu_kernel_implIZZZNS0_12_GLOBAL__N_130modified_bessel_i0_kernel_cudaERNS_18TensorIteratorBaseEENKUlvE_clEvENKUlvE0_clEvEUlfE_EEvS5_RKT_EUlibE_EEviT1_.has_recursion, 0
	.set _ZN2at6native32elementwise_kernel_manual_unrollILi128ELi4EZNS0_15gpu_kernel_implIZZZNS0_12_GLOBAL__N_130modified_bessel_i0_kernel_cudaERNS_18TensorIteratorBaseEENKUlvE_clEvENKUlvE0_clEvEUlfE_EEvS5_RKT_EUlibE_EEviT1_.has_indirect_call, 0
	.section	.AMDGPU.csdata,"",@progbits
; Kernel info:
; codeLenInByte = 51028
; TotalNumSgprs: 28
; NumVgprs: 16
; ScratchSize: 0
; MemoryBound: 1
; FloatMode: 240
; IeeeMode: 1
; LDSByteSize: 0 bytes/workgroup (compile time only)
; SGPRBlocks: 0
; VGPRBlocks: 0
; NumSGPRsForWavesPerEU: 28
; NumVGPRsForWavesPerEU: 16
; NamedBarCnt: 0
; Occupancy: 16
; WaveLimiterHint : 0
; COMPUTE_PGM_RSRC2:SCRATCH_EN: 0
; COMPUTE_PGM_RSRC2:USER_SGPR: 2
; COMPUTE_PGM_RSRC2:TRAP_HANDLER: 0
; COMPUTE_PGM_RSRC2:TGID_X_EN: 1
; COMPUTE_PGM_RSRC2:TGID_Y_EN: 0
; COMPUTE_PGM_RSRC2:TGID_Z_EN: 0
; COMPUTE_PGM_RSRC2:TIDIG_COMP_CNT: 0
	.section	.text._ZN2at6native32elementwise_kernel_manual_unrollILi128ELi4EZNS0_15gpu_kernel_implIZZZNS0_12_GLOBAL__N_130modified_bessel_i0_kernel_cudaERNS_18TensorIteratorBaseEENKUlvE_clEvENKUlvE0_clEvEUlfE_EEvS5_RKT_EUlibE0_EEviT1_,"axG",@progbits,_ZN2at6native32elementwise_kernel_manual_unrollILi128ELi4EZNS0_15gpu_kernel_implIZZZNS0_12_GLOBAL__N_130modified_bessel_i0_kernel_cudaERNS_18TensorIteratorBaseEENKUlvE_clEvENKUlvE0_clEvEUlfE_EEvS5_RKT_EUlibE0_EEviT1_,comdat
	.globl	_ZN2at6native32elementwise_kernel_manual_unrollILi128ELi4EZNS0_15gpu_kernel_implIZZZNS0_12_GLOBAL__N_130modified_bessel_i0_kernel_cudaERNS_18TensorIteratorBaseEENKUlvE_clEvENKUlvE0_clEvEUlfE_EEvS5_RKT_EUlibE0_EEviT1_ ; -- Begin function _ZN2at6native32elementwise_kernel_manual_unrollILi128ELi4EZNS0_15gpu_kernel_implIZZZNS0_12_GLOBAL__N_130modified_bessel_i0_kernel_cudaERNS_18TensorIteratorBaseEENKUlvE_clEvENKUlvE0_clEvEUlfE_EEvS5_RKT_EUlibE0_EEviT1_
	.p2align	8
	.type	_ZN2at6native32elementwise_kernel_manual_unrollILi128ELi4EZNS0_15gpu_kernel_implIZZZNS0_12_GLOBAL__N_130modified_bessel_i0_kernel_cudaERNS_18TensorIteratorBaseEENKUlvE_clEvENKUlvE0_clEvEUlfE_EEvS5_RKT_EUlibE0_EEviT1_,@function
_ZN2at6native32elementwise_kernel_manual_unrollILi128ELi4EZNS0_15gpu_kernel_implIZZZNS0_12_GLOBAL__N_130modified_bessel_i0_kernel_cudaERNS_18TensorIteratorBaseEENKUlvE_clEvENKUlvE0_clEvEUlfE_EEvS5_RKT_EUlibE0_EEviT1_: ; @_ZN2at6native32elementwise_kernel_manual_unrollILi128ELi4EZNS0_15gpu_kernel_implIZZZNS0_12_GLOBAL__N_130modified_bessel_i0_kernel_cudaERNS_18TensorIteratorBaseEENKUlvE_clEvENKUlvE0_clEvEUlfE_EEvS5_RKT_EUlibE0_EEviT1_
; %bb.0:
	s_clause 0x1
	s_load_b32 s28, s[0:1], 0x8
	s_load_b32 s36, s[0:1], 0x0
	s_bfe_u32 s2, ttmp6, 0x4000c
	s_and_b32 s3, ttmp6, 15
	s_add_co_i32 s2, s2, 1
	s_getreg_b32 s4, hwreg(HW_REG_IB_STS2, 6, 4)
	s_mul_i32 s2, ttmp9, s2
	s_mov_b32 s30, 0
	s_add_co_i32 s3, s3, s2
	s_cmp_eq_u32 s4, 0
	s_mov_b32 s22, -1
	s_cselect_b32 s2, ttmp9, s3
	s_mov_b32 s8, 0
	v_lshl_or_b32 v0, s2, 9, v0
	s_add_nc_u64 s[2:3], s[0:1], 8
	s_wait_xcnt 0x0
	s_mov_b32 s0, exec_lo
	s_delay_alu instid0(VALU_DEP_1) | instskip(SKIP_2) | instid1(SALU_CYCLE_1)
	v_or_b32_e32 v9, 0x180, v0
	s_wait_kmcnt 0x0
	s_add_co_i32 s29, s28, -1
	s_cmp_gt_u32 s29, 1
	s_cselect_b32 s31, -1, 0
	v_cmpx_le_i32_e64 s36, v9
	s_xor_b32 s33, exec_lo, s0
	s_cbranch_execz .LBB18_1112
; %bb.1:
	v_mov_b32_e32 v1, 0
	s_clause 0x3
	s_load_b128 s[12:15], s[2:3], 0x4
	s_load_b64 s[0:1], s[2:3], 0x14
	s_load_b128 s[8:11], s[2:3], 0xc4
	s_load_b128 s[4:7], s[2:3], 0x148
	s_cmp_lg_u32 s28, 0
	s_mov_b32 s17, 0
	s_cselect_b32 s38, -1, 0
	global_load_u16 v1, v1, s[2:3] offset:345
	s_min_u32 s37, s29, 15
	s_cmp_gt_u32 s28, 1
	s_add_nc_u64 s[20:21], s[2:3], 0xc4
	s_cselect_b32 s35, -1, 0
	s_mov_b32 s19, s17
	s_mov_b32 s40, s17
	;; [unrolled: 1-line block ×3, first 2 shown]
	s_mov_b32 s41, exec_lo
	s_wait_kmcnt 0x0
	s_mov_b32 s16, s13
	s_mov_b32 s18, s0
	s_wait_loadcnt 0x0
	v_readfirstlane_b32 s34, v1
	s_and_b32 s13, 0xffff, s34
	s_delay_alu instid0(SALU_CYCLE_1)
	s_lshr_b32 s13, s13, 8
	v_cmpx_gt_i32_e64 s36, v0
	s_cbranch_execz .LBB18_271
; %bb.2:
	s_and_not1_b32 vcc_lo, exec_lo, s31
	s_cbranch_vccnz .LBB18_8
; %bb.3:
	s_and_not1_b32 vcc_lo, exec_lo, s38
	s_cbranch_vccnz .LBB18_9
; %bb.4:
	s_add_co_i32 s0, s37, 1
	s_cmp_eq_u32 s29, 2
	s_cbranch_scc1 .LBB18_10
; %bb.5:
	v_dual_mov_b32 v2, 0 :: v_dual_mov_b32 v4, 0
	v_mov_b32_e32 v1, v0
	s_and_b32 s22, s0, 28
	s_mov_b32 s23, 0
	s_mov_b64 s[24:25], s[2:3]
	s_mov_b64 s[26:27], s[20:21]
.LBB18_6:                               ; =>This Inner Loop Header: Depth=1
	s_clause 0x1
	s_load_b256 s[44:51], s[24:25], 0x4
	s_load_b128 s[60:63], s[24:25], 0x24
	s_load_b256 s[52:59], s[26:27], 0x0
	s_add_co_i32 s23, s23, 4
	s_wait_xcnt 0x0
	s_add_nc_u64 s[24:25], s[24:25], 48
	s_cmp_lg_u32 s22, s23
	s_add_nc_u64 s[26:27], s[26:27], 32
	s_wait_kmcnt 0x0
	v_mul_hi_u32 v3, s45, v1
	s_delay_alu instid0(VALU_DEP_1) | instskip(NEXT) | instid1(VALU_DEP_1)
	v_add_nc_u32_e32 v3, v1, v3
	v_lshrrev_b32_e32 v3, s46, v3
	s_delay_alu instid0(VALU_DEP_1) | instskip(NEXT) | instid1(VALU_DEP_1)
	v_mul_hi_u32 v5, s48, v3
	v_add_nc_u32_e32 v5, v3, v5
	s_delay_alu instid0(VALU_DEP_1) | instskip(NEXT) | instid1(VALU_DEP_1)
	v_lshrrev_b32_e32 v5, s49, v5
	v_mul_hi_u32 v6, s51, v5
	s_delay_alu instid0(VALU_DEP_1) | instskip(SKIP_1) | instid1(VALU_DEP_1)
	v_add_nc_u32_e32 v6, v5, v6
	v_mul_lo_u32 v7, v3, s44
	v_sub_nc_u32_e32 v1, v1, v7
	v_mul_lo_u32 v7, v5, s47
	s_delay_alu instid0(VALU_DEP_4) | instskip(NEXT) | instid1(VALU_DEP_3)
	v_lshrrev_b32_e32 v6, s60, v6
	v_mad_u32 v4, v1, s53, v4
	v_mad_u32 v1, v1, s52, v2
	s_delay_alu instid0(VALU_DEP_4) | instskip(NEXT) | instid1(VALU_DEP_4)
	v_sub_nc_u32_e32 v2, v3, v7
	v_mul_hi_u32 v8, s62, v6
	v_mul_lo_u32 v3, v6, s50
	s_delay_alu instid0(VALU_DEP_3) | instskip(SKIP_1) | instid1(VALU_DEP_3)
	v_mad_u32 v4, v2, s55, v4
	v_mad_u32 v2, v2, s54, v1
	v_dual_add_nc_u32 v7, v6, v8 :: v_dual_sub_nc_u32 v3, v5, v3
	s_delay_alu instid0(VALU_DEP_1) | instskip(NEXT) | instid1(VALU_DEP_2)
	v_lshrrev_b32_e32 v1, s63, v7
	v_mad_u32 v4, v3, s57, v4
	s_delay_alu instid0(VALU_DEP_4) | instskip(NEXT) | instid1(VALU_DEP_3)
	v_mad_u32 v2, v3, s56, v2
	v_mul_lo_u32 v5, v1, s61
	s_delay_alu instid0(VALU_DEP_1) | instskip(NEXT) | instid1(VALU_DEP_1)
	v_sub_nc_u32_e32 v3, v6, v5
	v_mad_u32 v4, v3, s59, v4
	s_delay_alu instid0(VALU_DEP_4)
	v_mad_u32 v2, v3, s58, v2
	s_cbranch_scc1 .LBB18_6
; %bb.7:
	s_delay_alu instid0(VALU_DEP_2)
	v_mov_b32_e32 v3, v4
	s_and_b32 s0, s0, 3
	s_mov_b32 s23, 0
	s_cmp_eq_u32 s0, 0
	s_cbranch_scc0 .LBB18_11
	s_branch .LBB18_14
.LBB18_8:
                                        ; implicit-def: $vgpr4
                                        ; implicit-def: $vgpr2
	s_branch .LBB18_15
.LBB18_9:
	v_dual_mov_b32 v4, 0 :: v_dual_mov_b32 v2, 0
	s_branch .LBB18_14
.LBB18_10:
	v_mov_b64_e32 v[2:3], 0
	v_mov_b32_e32 v1, v0
	s_mov_b32 s22, 0
                                        ; implicit-def: $vgpr4
	s_and_b32 s0, s0, 3
	s_mov_b32 s23, 0
	s_cmp_eq_u32 s0, 0
	s_cbranch_scc1 .LBB18_14
.LBB18_11:
	s_lshl_b32 s24, s22, 3
	s_mov_b32 s25, s23
	s_mul_u64 s[26:27], s[22:23], 12
	s_add_nc_u64 s[24:25], s[2:3], s[24:25]
	s_delay_alu instid0(SALU_CYCLE_1)
	s_add_nc_u64 s[22:23], s[24:25], 0xc4
	s_add_nc_u64 s[24:25], s[2:3], s[26:27]
.LBB18_12:                              ; =>This Inner Loop Header: Depth=1
	s_load_b96 s[44:46], s[24:25], 0x4
	s_load_b64 s[26:27], s[22:23], 0x0
	s_add_co_i32 s0, s0, -1
	s_wait_xcnt 0x0
	s_add_nc_u64 s[24:25], s[24:25], 12
	s_cmp_lg_u32 s0, 0
	s_add_nc_u64 s[22:23], s[22:23], 8
	s_wait_kmcnt 0x0
	v_mul_hi_u32 v4, s45, v1
	s_delay_alu instid0(VALU_DEP_1) | instskip(NEXT) | instid1(VALU_DEP_1)
	v_add_nc_u32_e32 v4, v1, v4
	v_lshrrev_b32_e32 v4, s46, v4
	s_delay_alu instid0(VALU_DEP_1) | instskip(NEXT) | instid1(VALU_DEP_1)
	v_mul_lo_u32 v5, v4, s44
	v_sub_nc_u32_e32 v1, v1, v5
	s_delay_alu instid0(VALU_DEP_1)
	v_mad_u32 v3, v1, s27, v3
	v_mad_u32 v2, v1, s26, v2
	v_mov_b32_e32 v1, v4
	s_cbranch_scc1 .LBB18_12
; %bb.13:
	s_delay_alu instid0(VALU_DEP_3)
	v_mov_b32_e32 v4, v3
.LBB18_14:
	s_cbranch_execnz .LBB18_17
.LBB18_15:
	v_mov_b32_e32 v1, 0
	s_and_not1_b32 vcc_lo, exec_lo, s35
	s_delay_alu instid0(VALU_DEP_1) | instskip(NEXT) | instid1(VALU_DEP_1)
	v_mul_u64_e32 v[2:3], s[16:17], v[0:1]
	v_add_nc_u32_e32 v2, v0, v3
	s_delay_alu instid0(VALU_DEP_1) | instskip(NEXT) | instid1(VALU_DEP_1)
	v_lshrrev_b32_e32 v6, s14, v2
	v_mul_lo_u32 v2, v6, s12
	s_delay_alu instid0(VALU_DEP_1) | instskip(NEXT) | instid1(VALU_DEP_1)
	v_sub_nc_u32_e32 v2, v0, v2
	v_mul_lo_u32 v4, v2, s9
	v_mul_lo_u32 v2, v2, s8
	s_cbranch_vccnz .LBB18_17
; %bb.16:
	v_mov_b32_e32 v7, v1
	s_delay_alu instid0(VALU_DEP_1) | instskip(NEXT) | instid1(VALU_DEP_1)
	v_mul_u64_e32 v[8:9], s[18:19], v[6:7]
	v_add_nc_u32_e32 v1, v6, v9
	s_delay_alu instid0(VALU_DEP_1) | instskip(NEXT) | instid1(VALU_DEP_1)
	v_lshrrev_b32_e32 v1, s1, v1
	v_mul_lo_u32 v1, v1, s15
	s_delay_alu instid0(VALU_DEP_1) | instskip(NEXT) | instid1(VALU_DEP_1)
	v_sub_nc_u32_e32 v1, v6, v1
	v_mad_u32 v2, v1, s10, v2
	v_mad_u32 v4, v1, s11, v4
.LBB18_17:
	v_mov_b32_e32 v5, 0
	s_and_b32 s0, 0xffff, s13
	s_delay_alu instid0(SALU_CYCLE_1) | instskip(NEXT) | instid1(VALU_DEP_1)
	s_cmp_lt_i32 s0, 11
	v_add_nc_u64_e32 v[4:5], s[6:7], v[4:5]
	s_cbranch_scc1 .LBB18_24
; %bb.18:
	s_cmp_gt_i32 s0, 25
	s_cbranch_scc0 .LBB18_37
; %bb.19:
	s_cmp_gt_i32 s0, 28
	s_cbranch_scc0 .LBB18_40
	;; [unrolled: 3-line block ×4, first 2 shown]
; %bb.22:
	s_cmp_eq_u32 s0, 46
	s_mov_b32 s24, 0
	s_cbranch_scc0 .LBB18_46
; %bb.23:
	global_load_b32 v1, v[4:5], off
	s_mov_b32 s23, -1
	s_mov_b32 s22, 0
	s_wait_loadcnt 0x0
	v_lshlrev_b32_e32 v1, 16, v1
	s_branch .LBB18_48
.LBB18_24:
	s_mov_b32 s22, 0
	s_mov_b32 s23, 0
                                        ; implicit-def: $vgpr1
	s_cbranch_execnz .LBB18_221
.LBB18_25:
	s_and_not1_b32 vcc_lo, exec_lo, s23
	s_cbranch_vccnz .LBB18_268
.LBB18_26:
	s_wait_loadcnt 0x0
	s_delay_alu instid0(VALU_DEP_1) | instskip(SKIP_1) | instid1(SALU_CYCLE_1)
	v_cmp_ge_f32_e64 s0, 0x41000000, |v1|
                                        ; implicit-def: $vgpr4
	s_and_saveexec_b32 s23, s0
	s_xor_b32 s0, exec_lo, s23
	s_cbranch_execz .LBB18_28
; %bb.27:
	v_fma_f32 v3, |v1|, 0.5, -2.0
	s_mov_b32 s23, 0xa2a2e5b9
	v_mul_f32_e64 v6, 0x3fb8aa3b, |v1|
	v_cmp_ngt_f32_e64 vcc_lo, 0xc2ce8ed0, |v1|
	s_delay_alu instid0(VALU_DEP_3) | instskip(NEXT) | instid1(VALU_DEP_3)
	v_fmaak_f32 v4, s23, v3, 0x24199b15
	v_rndne_f32_e32 v7, v6
	v_fma_f32 v8, 0x3fb8aa3b, |v1|, -v6
	s_delay_alu instid0(VALU_DEP_2) | instskip(NEXT) | instid1(VALU_DEP_2)
	v_dual_fmaak_f32 v5, v3, v4, 0x22a2e5b9 :: v_dual_sub_f32 v6, v6, v7
	v_fma_f32 v8, 0x32a5705f, |v1|, v8
	v_cvt_i32_f32_e32 v7, v7
	s_delay_alu instid0(VALU_DEP_2) | instskip(NEXT) | instid1(VALU_DEP_1)
	v_dual_add_f32 v5, 0xa58c275c, v5 :: v_dual_add_f32 v6, v6, v8
	v_fma_f32 v4, v3, v5, -v4
	s_delay_alu instid0(VALU_DEP_2) | instskip(NEXT) | instid1(VALU_DEP_1)
	v_exp_f32_e32 v6, v6
	v_add_f32_e32 v4, 0x26f736c5, v4
	s_delay_alu instid0(VALU_DEP_1) | instskip(NEXT) | instid1(VALU_DEP_1)
	v_fma_f32 v5, v3, v4, -v5
	v_add_f32_e32 v5, 0xa8528116, v5
	s_delay_alu instid0(VALU_DEP_1) | instskip(NEXT) | instid1(VALU_DEP_1)
	v_fma_f32 v4, v3, v5, -v4
	;; [unrolled: 3-line block ×25, first 2 shown]
	v_add_f32_e32 v5, 0xbe9bff5e, v5
	s_delay_alu instid0(VALU_DEP_1) | instskip(SKIP_1) | instid1(VALU_DEP_2)
	v_fma_f32 v3, v3, v5, -v4
	v_ldexp_f32 v5, v6, v7
	v_add_f32_e32 v3, 0x3f2d4275, v3
	s_delay_alu instid0(VALU_DEP_2) | instskip(SKIP_1) | instid1(VALU_DEP_3)
	v_cndmask_b32_e32 v5, 0, v5, vcc_lo
	v_cmp_nlt_f32_e64 vcc_lo, 0x42b17218, |v1|
	v_sub_f32_e32 v3, v3, v4
	s_delay_alu instid0(VALU_DEP_3) | instskip(NEXT) | instid1(VALU_DEP_2)
	v_cndmask_b32_e32 v1, 0x7f800000, v5, vcc_lo
	v_mul_f32_e32 v3, 0.5, v3
	s_delay_alu instid0(VALU_DEP_1)
	v_mul_f32_e32 v4, v1, v3
                                        ; implicit-def: $vgpr1
.LBB18_28:
	s_and_not1_saveexec_b32 s23, s0
	s_cbranch_execz .LBB18_30
; %bb.29:
	v_and_b32_e32 v3, 0x7fffffff, v1
	s_mov_b32 s0, 0xa3056dbb
	s_delay_alu instid0(VALU_DEP_1) | instskip(SKIP_1) | instid1(VALU_DEP_2)
	v_div_scale_f32 v4, null, v3, v3, 0x42000000
	v_div_scale_f32 v3, vcc_lo, 0x42000000, v3, 0x42000000
	v_rcp_f32_e32 v5, v4
	v_nop
	s_delay_alu instid0(TRANS32_DEP_1) | instskip(NEXT) | instid1(VALU_DEP_1)
	v_fma_f32 v6, -v4, v5, 1.0
	v_fmac_f32_e32 v5, v6, v5
	s_delay_alu instid0(VALU_DEP_1) | instskip(NEXT) | instid1(VALU_DEP_1)
	v_mul_f32_e32 v6, v3, v5
	v_fma_f32 v7, -v4, v6, v3
	s_delay_alu instid0(VALU_DEP_1) | instskip(SKIP_1) | instid1(VALU_DEP_1)
	v_fmac_f32_e32 v6, v7, v5
	v_mul_f32_e64 v7, 0x3fb8aa3b, |v1|
	v_rndne_f32_e32 v8, v7
	s_delay_alu instid0(VALU_DEP_3) | instskip(SKIP_1) | instid1(VALU_DEP_3)
	v_fma_f32 v3, -v4, v6, v3
	v_fma_f32 v9, 0x3fb8aa3b, |v1|, -v7
	v_sub_f32_e32 v7, v7, v8
	s_delay_alu instid0(VALU_DEP_3)
	v_div_fmas_f32 v3, v3, v5, v6
	v_mul_f32_e64 v6, 0x4f800000, |v1|
	v_cmp_gt_f32_e64 vcc_lo, 0xf800000, |v1|
	v_fma_f32 v9, 0x32a5705f, |v1|, v9
	v_cvt_i32_f32_e32 v8, v8
	v_div_fixup_f32 v3, v3, |v1|, 0x42000000
	s_delay_alu instid0(VALU_DEP_4) | instskip(NEXT) | instid1(VALU_DEP_2)
	v_cndmask_b32_e64 v6, |v1|, v6, vcc_lo
	v_dual_add_f32 v7, v7, v9 :: v_dual_add_f32 v3, -2.0, v3
	s_delay_alu instid0(VALU_DEP_2) | instskip(SKIP_1) | instid1(TRANS32_DEP_1)
	v_sqrt_f32_e32 v10, v6
	v_nop
	v_dual_fmaak_f32 v4, s0, v3, 0xa2b236d3 :: v_dual_add_nc_u32 v11, -1, v10
	s_delay_alu instid0(VALU_DEP_1) | instskip(NEXT) | instid1(VALU_DEP_2)
	v_fmaak_f32 v5, v3, v4, 0x23056dbb
	v_dual_add_nc_u32 v9, 1, v10 :: v_dual_fma_f32 v12, -v11, v10, v6
	s_delay_alu instid0(VALU_DEP_2) | instskip(NEXT) | instid1(VALU_DEP_2)
	v_add_f32_e32 v5, 0x244df0c1, v5
	v_fma_f32 v13, -v9, v10, v6
	s_delay_alu instid0(VALU_DEP_3) | instskip(NEXT) | instid1(VALU_DEP_1)
	v_cmp_ge_f32_e64 s0, 0, v12
	v_dual_fma_f32 v4, v3, v5, -v4 :: v_dual_cndmask_b32 v10, v10, v11, s0
	s_delay_alu instid0(VALU_DEP_1) | instskip(NEXT) | instid1(VALU_DEP_4)
	v_add_f32_e32 v4, 0x241f9ee8, v4
	v_cmp_lt_f32_e64 s0, 0, v13
	s_delay_alu instid0(VALU_DEP_2) | instskip(NEXT) | instid1(VALU_DEP_1)
	v_fma_f32 v5, v3, v4, -v5
	v_add_f32_e32 v5, 0xa5a3005d, v5
	s_delay_alu instid0(VALU_DEP_1) | instskip(NEXT) | instid1(VALU_DEP_1)
	v_fma_f32 v4, v3, v5, -v4
	v_add_f32_e32 v4, 0xa5c5773f, v4
	s_delay_alu instid0(VALU_DEP_1) | instskip(NEXT) | instid1(VALU_DEP_1)
	;; [unrolled: 3-line block ×19, first 2 shown]
	v_fma_f32 v4, v3, v5, -v4
	v_add_f32_e32 v4, 0x3b5ccc65, v4
	v_exp_f32_e32 v7, v7
	s_delay_alu instid0(VALU_DEP_1) | instskip(NEXT) | instid1(TRANS32_DEP_1)
	v_fma_f32 v3, v3, v4, -v5
	v_ldexp_f32 v4, v7, v8
	v_cndmask_b32_e64 v7, v10, v9, s0
	s_delay_alu instid0(VALU_DEP_3) | instskip(SKIP_1) | instid1(VALU_DEP_2)
	v_add_f32_e32 v3, 0x3f4df315, v3
	v_cmp_ngt_f32_e64 s0, 0xc2ce8ed0, |v1|
	v_dual_mul_f32 v8, 0x37800000, v7 :: v_dual_sub_f32 v3, v3, v5
	s_delay_alu instid0(VALU_DEP_2) | instskip(SKIP_1) | instid1(VALU_DEP_3)
	v_cndmask_b32_e64 v4, 0, v4, s0
	v_cmp_nlt_f32_e64 s0, 0x42b17218, |v1|
	v_mul_f32_e32 v3, 0.5, v3
	s_delay_alu instid0(VALU_DEP_2) | instskip(SKIP_2) | instid1(VALU_DEP_2)
	v_cndmask_b32_e64 v1, 0x7f800000, v4, s0
	v_cndmask_b32_e32 v4, v7, v8, vcc_lo
	v_cmp_class_f32_e64 vcc_lo, v6, 0x260
	v_dual_mul_f32 v1, v1, v3 :: v_dual_cndmask_b32 v4, v4, v6
	s_delay_alu instid0(VALU_DEP_1) | instskip(NEXT) | instid1(VALU_DEP_1)
	v_div_scale_f32 v3, null, v4, v4, v1
	v_rcp_f32_e32 v5, v3
	v_nop
	s_delay_alu instid0(TRANS32_DEP_1) | instskip(NEXT) | instid1(VALU_DEP_1)
	v_fma_f32 v6, -v3, v5, 1.0
	v_fmac_f32_e32 v5, v6, v5
	v_div_scale_f32 v6, vcc_lo, v1, v4, v1
	s_delay_alu instid0(VALU_DEP_1) | instskip(NEXT) | instid1(VALU_DEP_1)
	v_mul_f32_e32 v7, v6, v5
	v_fma_f32 v8, -v3, v7, v6
	s_delay_alu instid0(VALU_DEP_1) | instskip(NEXT) | instid1(VALU_DEP_1)
	v_fmac_f32_e32 v7, v8, v5
	v_fma_f32 v3, -v3, v7, v6
	s_delay_alu instid0(VALU_DEP_1) | instskip(NEXT) | instid1(VALU_DEP_1)
	v_div_fmas_f32 v3, v3, v5, v7
	v_div_fixup_f32 v4, v3, v4, v1
.LBB18_30:
	s_or_b32 exec_lo, exec_lo, s23
	v_mov_b32_e32 v3, 0
	s_and_b32 s23, s34, 0xff
	s_delay_alu instid0(SALU_CYCLE_1) | instskip(NEXT) | instid1(VALU_DEP_1)
	s_cmp_lt_i32 s23, 11
	v_add_nc_u64_e32 v[2:3], s[4:5], v[2:3]
	s_cbranch_scc1 .LBB18_38
; %bb.31:
	s_and_b32 s24, 0xffff, s23
	s_delay_alu instid0(SALU_CYCLE_1)
	s_cmp_gt_i32 s24, 25
	s_cbranch_scc0 .LBB18_41
; %bb.32:
	s_cmp_gt_i32 s24, 28
	s_cbranch_scc0 .LBB18_43
; %bb.33:
	;; [unrolled: 3-line block ×4, first 2 shown]
	s_mov_b32 s26, 0
	s_mov_b32 s0, -1
	s_cmp_eq_u32 s24, 46
	s_mov_b32 s25, 0
	s_cbranch_scc0 .LBB18_52
; %bb.36:
	v_bfe_u32 v1, v4, 16, 1
	v_cmp_o_f32_e32 vcc_lo, v4, v4
	s_mov_b32 s25, -1
	s_mov_b32 s0, 0
	s_delay_alu instid0(VALU_DEP_2) | instskip(NEXT) | instid1(VALU_DEP_1)
	v_add3_u32 v1, v4, v1, 0x7fff
	v_lshrrev_b32_e32 v1, 16, v1
	s_delay_alu instid0(VALU_DEP_1)
	v_cndmask_b32_e32 v1, 0x7fc0, v1, vcc_lo
	global_store_b32 v[2:3], v1, off
	s_branch .LBB18_52
.LBB18_37:
	s_mov_b32 s22, 0
	s_mov_b32 s23, 0
                                        ; implicit-def: $vgpr1
	s_cbranch_execnz .LBB18_186
	s_branch .LBB18_220
.LBB18_38:
	s_mov_b32 s0, 0
	s_mov_b32 s25, 0
	s_cbranch_execnz .LBB18_121
.LBB18_39:
	s_and_not1_b32 vcc_lo, exec_lo, s25
	s_cbranch_vccz .LBB18_159
	s_branch .LBB18_269
.LBB18_40:
	s_mov_b32 s24, -1
	s_mov_b32 s22, 0
	s_mov_b32 s23, 0
                                        ; implicit-def: $vgpr1
	s_branch .LBB18_167
.LBB18_41:
	s_mov_b32 s26, -1
	s_mov_b32 s0, 0
	s_mov_b32 s25, 0
	s_branch .LBB18_79
.LBB18_42:
	s_mov_b32 s24, -1
	s_mov_b32 s22, 0
	s_mov_b32 s23, 0
                                        ; implicit-def: $vgpr1
	s_branch .LBB18_162
.LBB18_43:
	s_mov_b32 s26, -1
	s_mov_b32 s0, 0
	s_mov_b32 s25, 0
	s_branch .LBB18_62
.LBB18_44:
	s_mov_b32 s24, -1
	s_mov_b32 s22, 0
	s_branch .LBB18_47
.LBB18_45:
	s_mov_b32 s26, -1
	s_mov_b32 s0, 0
	s_mov_b32 s25, 0
	s_branch .LBB18_58
.LBB18_46:
	s_mov_b32 s22, -1
.LBB18_47:
	s_mov_b32 s23, 0
                                        ; implicit-def: $vgpr1
.LBB18_48:
	s_and_b32 vcc_lo, exec_lo, s24
	s_cbranch_vccz .LBB18_161
; %bb.49:
	s_cmp_eq_u32 s0, 44
	s_cbranch_scc0 .LBB18_160
; %bb.50:
	global_load_u8 v1, v[4:5], off
	s_mov_b32 s22, 0
	s_mov_b32 s23, -1
	s_wait_loadcnt 0x0
	v_lshlrev_b32_e32 v3, 23, v1
	v_cmp_ne_u32_e32 vcc_lo, 0xff, v1
	s_delay_alu instid0(VALU_DEP_2) | instskip(SKIP_1) | instid1(VALU_DEP_2)
	v_cndmask_b32_e32 v3, 0x7f800001, v3, vcc_lo
	v_cmp_ne_u32_e32 vcc_lo, 0, v1
	v_cndmask_b32_e32 v1, 0x400000, v3, vcc_lo
	s_branch .LBB18_161
.LBB18_51:
	s_mov_b32 s26, -1
	s_mov_b32 s0, 0
	s_mov_b32 s25, 0
.LBB18_52:
	s_and_b32 vcc_lo, exec_lo, s26
	s_cbranch_vccz .LBB18_57
; %bb.53:
	s_cmp_eq_u32 s24, 44
	s_mov_b32 s0, -1
	s_cbranch_scc0 .LBB18_57
; %bb.54:
	v_bfe_u32 v5, v4, 23, 8
	s_wait_xcnt 0x0
	v_mov_b32_e32 v1, 0xff
	s_mov_b32 s25, exec_lo
	s_delay_alu instid0(VALU_DEP_2)
	v_cmpx_ne_u32_e32 0xff, v5
	s_cbranch_execz .LBB18_56
; %bb.55:
	v_and_b32_e32 v1, 0x400000, v4
	v_and_or_b32 v5, 0x3fffff, v4, v5
	s_delay_alu instid0(VALU_DEP_2) | instskip(NEXT) | instid1(VALU_DEP_2)
	v_cmp_ne_u32_e32 vcc_lo, 0, v1
	v_cmp_ne_u32_e64 s0, 0, v5
	v_lshrrev_b32_e32 v1, 23, v4
	s_and_b32 s0, vcc_lo, s0
	s_delay_alu instid0(SALU_CYCLE_1) | instskip(NEXT) | instid1(VALU_DEP_1)
	v_cndmask_b32_e64 v5, 0, 1, s0
	v_add_nc_u32_e32 v1, v1, v5
.LBB18_56:
	s_or_b32 exec_lo, exec_lo, s25
	s_mov_b32 s25, -1
	s_mov_b32 s0, 0
	global_store_b8 v[2:3], v1, off
.LBB18_57:
	s_mov_b32 s26, 0
.LBB18_58:
	s_delay_alu instid0(SALU_CYCLE_1)
	s_and_b32 vcc_lo, exec_lo, s26
	s_cbranch_vccz .LBB18_61
; %bb.59:
	s_cmp_eq_u32 s24, 29
	s_mov_b32 s0, -1
	s_cbranch_scc0 .LBB18_61
; %bb.60:
	s_wait_xcnt 0x0
	v_trunc_f32_e32 v1, v4
	s_mov_b32 s25, -1
	s_mov_b32 s0, 0
	s_mov_b32 s26, 0
	s_delay_alu instid0(VALU_DEP_1) | instskip(NEXT) | instid1(VALU_DEP_1)
	v_mul_f32_e32 v5, 0x2f800000, v1
	v_floor_f32_e32 v5, v5
	s_delay_alu instid0(VALU_DEP_1) | instskip(SKIP_1) | instid1(VALU_DEP_2)
	v_fmamk_f32 v1, v5, 0xcf800000, v1
	v_cvt_u32_f32_e32 v7, v5
	v_cvt_u32_f32_e32 v6, v1
	global_store_b64 v[2:3], v[6:7], off
	s_branch .LBB18_62
.LBB18_61:
	s_mov_b32 s26, 0
.LBB18_62:
	s_delay_alu instid0(SALU_CYCLE_1)
	s_and_b32 vcc_lo, exec_lo, s26
	s_cbranch_vccz .LBB18_78
; %bb.63:
	s_cmp_lt_i32 s24, 27
	s_mov_b32 s25, -1
	s_cbranch_scc1 .LBB18_69
; %bb.64:
	s_wait_xcnt 0x0
	v_cvt_u32_f32_e32 v1, v4
	s_cmp_gt_i32 s24, 27
	s_cbranch_scc0 .LBB18_66
; %bb.65:
	s_mov_b32 s25, 0
	global_store_b32 v[2:3], v1, off
.LBB18_66:
	s_and_not1_b32 vcc_lo, exec_lo, s25
	s_cbranch_vccnz .LBB18_68
; %bb.67:
	global_store_b16 v[2:3], v1, off
.LBB18_68:
	s_mov_b32 s25, 0
.LBB18_69:
	s_delay_alu instid0(SALU_CYCLE_1)
	s_and_not1_b32 vcc_lo, exec_lo, s25
	s_cbranch_vccnz .LBB18_77
; %bb.70:
	s_wait_xcnt 0x0
	v_and_b32_e32 v1, 0x7fffffff, v4
	v_mov_b32_e32 v5, 0x80
	s_mov_b32 s25, exec_lo
	s_delay_alu instid0(VALU_DEP_2)
	v_cmpx_gt_u32_e32 0x43800000, v1
	s_cbranch_execz .LBB18_76
; %bb.71:
	v_cmp_lt_u32_e32 vcc_lo, 0x3bffffff, v1
	s_mov_b32 s26, 0
                                        ; implicit-def: $vgpr1
	s_and_saveexec_b32 s27, vcc_lo
	s_delay_alu instid0(SALU_CYCLE_1)
	s_xor_b32 s27, exec_lo, s27
	s_cbranch_execz .LBB18_318
; %bb.72:
	v_bfe_u32 v1, v4, 20, 1
	s_mov_b32 s26, exec_lo
	s_delay_alu instid0(VALU_DEP_1) | instskip(NEXT) | instid1(VALU_DEP_1)
	v_add3_u32 v1, v4, v1, 0x487ffff
	v_lshrrev_b32_e32 v1, 20, v1
	s_and_not1_saveexec_b32 s27, s27
	s_cbranch_execnz .LBB18_319
.LBB18_73:
	s_or_b32 exec_lo, exec_lo, s27
	v_mov_b32_e32 v5, 0
	s_and_saveexec_b32 s27, s26
.LBB18_74:
	v_lshrrev_b32_e32 v5, 24, v4
	s_delay_alu instid0(VALU_DEP_1)
	v_and_or_b32 v5, 0x80, v5, v1
.LBB18_75:
	s_or_b32 exec_lo, exec_lo, s27
.LBB18_76:
	s_delay_alu instid0(SALU_CYCLE_1)
	s_or_b32 exec_lo, exec_lo, s25
	global_store_b8 v[2:3], v5, off
.LBB18_77:
	s_mov_b32 s25, -1
.LBB18_78:
	s_mov_b32 s26, 0
.LBB18_79:
	s_delay_alu instid0(SALU_CYCLE_1)
	s_and_b32 vcc_lo, exec_lo, s26
	s_cbranch_vccz .LBB18_120
; %bb.80:
	s_cmp_gt_i32 s24, 22
	s_mov_b32 s26, -1
	s_cbranch_scc0 .LBB18_112
; %bb.81:
	s_cmp_lt_i32 s24, 24
	s_mov_b32 s25, -1
	s_cbranch_scc1 .LBB18_101
; %bb.82:
	s_cmp_gt_i32 s24, 24
	s_cbranch_scc0 .LBB18_90
; %bb.83:
	s_wait_xcnt 0x0
	v_and_b32_e32 v1, 0x7fffffff, v4
	v_mov_b32_e32 v5, 0x80
	s_mov_b32 s25, exec_lo
	s_delay_alu instid0(VALU_DEP_2)
	v_cmpx_gt_u32_e32 0x47800000, v1
	s_cbranch_execz .LBB18_89
; %bb.84:
	v_cmp_lt_u32_e32 vcc_lo, 0x37ffffff, v1
	s_mov_b32 s26, 0
                                        ; implicit-def: $vgpr1
	s_and_saveexec_b32 s27, vcc_lo
	s_delay_alu instid0(SALU_CYCLE_1)
	s_xor_b32 s27, exec_lo, s27
	s_cbranch_execz .LBB18_322
; %bb.85:
	v_bfe_u32 v1, v4, 21, 1
	s_mov_b32 s26, exec_lo
	s_delay_alu instid0(VALU_DEP_1) | instskip(NEXT) | instid1(VALU_DEP_1)
	v_add3_u32 v1, v4, v1, 0x88fffff
	v_lshrrev_b32_e32 v1, 21, v1
	s_and_not1_saveexec_b32 s27, s27
	s_cbranch_execnz .LBB18_323
.LBB18_86:
	s_or_b32 exec_lo, exec_lo, s27
	v_mov_b32_e32 v5, 0
	s_and_saveexec_b32 s27, s26
.LBB18_87:
	v_lshrrev_b32_e32 v5, 24, v4
	s_delay_alu instid0(VALU_DEP_1)
	v_and_or_b32 v5, 0x80, v5, v1
.LBB18_88:
	s_or_b32 exec_lo, exec_lo, s27
.LBB18_89:
	s_delay_alu instid0(SALU_CYCLE_1)
	s_or_b32 exec_lo, exec_lo, s25
	s_mov_b32 s25, 0
	global_store_b8 v[2:3], v5, off
.LBB18_90:
	s_and_b32 vcc_lo, exec_lo, s25
	s_cbranch_vccz .LBB18_100
; %bb.91:
	s_wait_xcnt 0x0
	v_and_b32_e32 v5, 0x7fffffff, v4
	s_mov_b32 s25, exec_lo
                                        ; implicit-def: $vgpr1
	s_delay_alu instid0(VALU_DEP_1)
	v_cmpx_gt_u32_e32 0x43f00000, v5
	s_xor_b32 s25, exec_lo, s25
	s_cbranch_execz .LBB18_97
; %bb.92:
	s_mov_b32 s26, exec_lo
                                        ; implicit-def: $vgpr1
	v_cmpx_lt_u32_e32 0x3c7fffff, v5
	s_xor_b32 s26, exec_lo, s26
; %bb.93:
	v_bfe_u32 v1, v4, 20, 1
	s_delay_alu instid0(VALU_DEP_1) | instskip(NEXT) | instid1(VALU_DEP_1)
	v_add3_u32 v1, v4, v1, 0x407ffff
	v_and_b32_e32 v5, 0xff00000, v1
	v_lshrrev_b32_e32 v1, 20, v1
	s_delay_alu instid0(VALU_DEP_2) | instskip(NEXT) | instid1(VALU_DEP_2)
	v_cmp_ne_u32_e32 vcc_lo, 0x7f00000, v5
	v_cndmask_b32_e32 v1, 0x7e, v1, vcc_lo
; %bb.94:
	s_and_not1_saveexec_b32 s26, s26
; %bb.95:
	v_add_f32_e64 v1, 0x46800000, |v4|
; %bb.96:
	s_or_b32 exec_lo, exec_lo, s26
                                        ; implicit-def: $vgpr5
.LBB18_97:
	s_and_not1_saveexec_b32 s25, s25
; %bb.98:
	v_mov_b32_e32 v1, 0x7f
	v_cmp_lt_u32_e32 vcc_lo, 0x7f800000, v5
	s_delay_alu instid0(VALU_DEP_2)
	v_cndmask_b32_e32 v1, 0x7e, v1, vcc_lo
; %bb.99:
	s_or_b32 exec_lo, exec_lo, s25
	v_lshrrev_b32_e32 v5, 24, v4
	s_delay_alu instid0(VALU_DEP_1)
	v_and_or_b32 v1, 0x80, v5, v1
	global_store_b8 v[2:3], v1, off
.LBB18_100:
	s_mov_b32 s25, 0
.LBB18_101:
	s_delay_alu instid0(SALU_CYCLE_1)
	s_and_not1_b32 vcc_lo, exec_lo, s25
	s_cbranch_vccnz .LBB18_111
; %bb.102:
	s_wait_xcnt 0x0
	v_and_b32_e32 v5, 0x7fffffff, v4
	s_mov_b32 s25, exec_lo
                                        ; implicit-def: $vgpr1
	s_delay_alu instid0(VALU_DEP_1)
	v_cmpx_gt_u32_e32 0x47800000, v5
	s_xor_b32 s25, exec_lo, s25
	s_cbranch_execz .LBB18_108
; %bb.103:
	s_mov_b32 s26, exec_lo
                                        ; implicit-def: $vgpr1
	v_cmpx_lt_u32_e32 0x387fffff, v5
	s_xor_b32 s26, exec_lo, s26
; %bb.104:
	v_bfe_u32 v1, v4, 21, 1
	s_delay_alu instid0(VALU_DEP_1) | instskip(NEXT) | instid1(VALU_DEP_1)
	v_add3_u32 v1, v4, v1, 0x80fffff
	v_lshrrev_b32_e32 v1, 21, v1
; %bb.105:
	s_and_not1_saveexec_b32 s26, s26
; %bb.106:
	v_add_f32_e64 v1, 0x43000000, |v4|
; %bb.107:
	s_or_b32 exec_lo, exec_lo, s26
                                        ; implicit-def: $vgpr5
.LBB18_108:
	s_and_not1_saveexec_b32 s25, s25
; %bb.109:
	v_mov_b32_e32 v1, 0x7f
	v_cmp_lt_u32_e32 vcc_lo, 0x7f800000, v5
	s_delay_alu instid0(VALU_DEP_2)
	v_cndmask_b32_e32 v1, 0x7c, v1, vcc_lo
; %bb.110:
	s_or_b32 exec_lo, exec_lo, s25
	v_lshrrev_b32_e32 v5, 24, v4
	s_delay_alu instid0(VALU_DEP_1)
	v_and_or_b32 v1, 0x80, v5, v1
	global_store_b8 v[2:3], v1, off
.LBB18_111:
	s_mov_b32 s26, 0
	s_mov_b32 s25, -1
.LBB18_112:
	s_and_not1_b32 vcc_lo, exec_lo, s26
	s_cbranch_vccnz .LBB18_120
; %bb.113:
	s_cmp_gt_i32 s24, 14
	s_mov_b32 s26, -1
	s_cbranch_scc0 .LBB18_117
; %bb.114:
	s_cmp_eq_u32 s24, 15
	s_mov_b32 s0, -1
	s_cbranch_scc0 .LBB18_116
; %bb.115:
	s_wait_xcnt 0x0
	v_bfe_u32 v1, v4, 16, 1
	v_cmp_o_f32_e32 vcc_lo, v4, v4
	s_mov_b32 s25, -1
	s_mov_b32 s0, 0
	s_delay_alu instid0(VALU_DEP_2) | instskip(NEXT) | instid1(VALU_DEP_1)
	v_add3_u32 v1, v4, v1, 0x7fff
	v_lshrrev_b32_e32 v1, 16, v1
	s_delay_alu instid0(VALU_DEP_1)
	v_cndmask_b32_e32 v1, 0x7fc0, v1, vcc_lo
	global_store_b16 v[2:3], v1, off
.LBB18_116:
	s_mov_b32 s26, 0
.LBB18_117:
	s_delay_alu instid0(SALU_CYCLE_1)
	s_and_b32 vcc_lo, exec_lo, s26
	s_cbranch_vccz .LBB18_120
; %bb.118:
	s_cmp_eq_u32 s24, 11
	s_mov_b32 s0, -1
	s_cbranch_scc0 .LBB18_120
; %bb.119:
	v_cmp_neq_f32_e32 vcc_lo, 0, v4
	s_mov_b32 s0, 0
	s_mov_b32 s25, -1
	s_wait_xcnt 0x0
	v_cndmask_b32_e64 v1, 0, 1, vcc_lo
	global_store_b8 v[2:3], v1, off
.LBB18_120:
	s_branch .LBB18_39
.LBB18_121:
	s_and_b32 s23, 0xffff, s23
	s_mov_b32 s24, -1
	s_cmp_lt_i32 s23, 5
	s_cbranch_scc1 .LBB18_142
; %bb.122:
	s_cmp_lt_i32 s23, 8
	s_cbranch_scc1 .LBB18_132
; %bb.123:
	s_cmp_lt_i32 s23, 9
	s_cbranch_scc1 .LBB18_129
; %bb.124:
	s_cmp_gt_i32 s23, 9
	s_cbranch_scc0 .LBB18_126
; %bb.125:
	s_wait_xcnt 0x0
	v_cvt_f64_f32_e32 v[6:7], v4
	v_mov_b32_e32 v8, 0
	s_mov_b32 s24, 0
	s_delay_alu instid0(VALU_DEP_1)
	v_mov_b32_e32 v9, v8
	global_store_b128 v[2:3], v[6:9], off
.LBB18_126:
	s_and_not1_b32 vcc_lo, exec_lo, s24
	s_cbranch_vccnz .LBB18_128
; %bb.127:
	s_wait_xcnt 0x0
	v_mov_b32_e32 v5, 0
	global_store_b64 v[2:3], v[4:5], off
.LBB18_128:
	s_mov_b32 s24, 0
.LBB18_129:
	s_delay_alu instid0(SALU_CYCLE_1)
	s_and_not1_b32 vcc_lo, exec_lo, s24
	s_cbranch_vccnz .LBB18_131
; %bb.130:
	s_wait_xcnt 0x0
	v_cvt_f16_f32_e32 v1, v4
	s_delay_alu instid0(VALU_DEP_1)
	v_and_b32_e32 v1, 0xffff, v1
	global_store_b32 v[2:3], v1, off
.LBB18_131:
	s_mov_b32 s24, 0
.LBB18_132:
	s_delay_alu instid0(SALU_CYCLE_1)
	s_and_not1_b32 vcc_lo, exec_lo, s24
	s_cbranch_vccnz .LBB18_141
; %bb.133:
	s_cmp_lt_i32 s23, 6
	s_mov_b32 s24, -1
	s_cbranch_scc1 .LBB18_139
; %bb.134:
	s_cmp_gt_i32 s23, 6
	s_cbranch_scc0 .LBB18_136
; %bb.135:
	s_wait_xcnt 0x0
	v_cvt_f64_f32_e32 v[6:7], v4
	s_mov_b32 s24, 0
	global_store_b64 v[2:3], v[6:7], off
.LBB18_136:
	s_and_not1_b32 vcc_lo, exec_lo, s24
	s_cbranch_vccnz .LBB18_138
; %bb.137:
	global_store_b32 v[2:3], v4, off
.LBB18_138:
	s_mov_b32 s24, 0
.LBB18_139:
	s_delay_alu instid0(SALU_CYCLE_1)
	s_and_not1_b32 vcc_lo, exec_lo, s24
	s_cbranch_vccnz .LBB18_141
; %bb.140:
	s_wait_xcnt 0x0
	v_cvt_f16_f32_e32 v1, v4
	global_store_b16 v[2:3], v1, off
.LBB18_141:
	s_mov_b32 s24, 0
.LBB18_142:
	s_delay_alu instid0(SALU_CYCLE_1)
	s_and_not1_b32 vcc_lo, exec_lo, s24
	s_cbranch_vccnz .LBB18_158
; %bb.143:
	s_cmp_lt_i32 s23, 2
	s_mov_b32 s24, -1
	s_cbranch_scc1 .LBB18_153
; %bb.144:
	s_cmp_lt_i32 s23, 3
	s_cbranch_scc1 .LBB18_150
; %bb.145:
	s_cmp_gt_i32 s23, 3
	s_cbranch_scc0 .LBB18_147
; %bb.146:
	s_wait_xcnt 0x0
	v_trunc_f32_e32 v1, v4
	s_mov_b32 s24, 0
	s_delay_alu instid0(VALU_DEP_1) | instskip(SKIP_1) | instid1(VALU_DEP_2)
	v_mul_f32_e64 v5, 0x2f800000, |v1|
	v_ashrrev_i32_e32 v6, 31, v1
	v_floor_f32_e32 v5, v5
	s_delay_alu instid0(VALU_DEP_1) | instskip(SKIP_1) | instid1(VALU_DEP_2)
	v_fma_f32 v7, 0xcf800000, v5, |v1|
	v_cvt_u32_f32_e32 v1, v5
	v_cvt_u32_f32_e32 v5, v7
	s_delay_alu instid0(VALU_DEP_2) | instskip(NEXT) | instid1(VALU_DEP_2)
	v_dual_mov_b32 v7, v6 :: v_dual_bitop2_b32 v9, v1, v6 bitop3:0x14
	v_xor_b32_e32 v8, v5, v6
	s_delay_alu instid0(VALU_DEP_1)
	v_sub_nc_u64_e32 v[6:7], v[8:9], v[6:7]
	global_store_b64 v[2:3], v[6:7], off
.LBB18_147:
	s_and_not1_b32 vcc_lo, exec_lo, s24
	s_cbranch_vccnz .LBB18_149
; %bb.148:
	s_wait_xcnt 0x0
	v_cvt_i32_f32_e32 v1, v4
	global_store_b32 v[2:3], v1, off
.LBB18_149:
	s_mov_b32 s24, 0
.LBB18_150:
	s_delay_alu instid0(SALU_CYCLE_1)
	s_and_not1_b32 vcc_lo, exec_lo, s24
	s_cbranch_vccnz .LBB18_152
; %bb.151:
	s_wait_xcnt 0x0
	v_cvt_i32_f32_e32 v1, v4
	global_store_b16 v[2:3], v1, off
.LBB18_152:
	s_mov_b32 s24, 0
.LBB18_153:
	s_delay_alu instid0(SALU_CYCLE_1)
	s_and_not1_b32 vcc_lo, exec_lo, s24
	s_cbranch_vccnz .LBB18_158
; %bb.154:
	s_cmp_gt_i32 s23, 0
	s_mov_b32 s23, -1
	s_cbranch_scc0 .LBB18_156
; %bb.155:
	s_wait_xcnt 0x0
	v_cvt_i32_f32_e32 v1, v4
	s_mov_b32 s23, 0
	global_store_b8 v[2:3], v1, off
.LBB18_156:
	s_and_not1_b32 vcc_lo, exec_lo, s23
	s_cbranch_vccnz .LBB18_158
; %bb.157:
	s_wait_xcnt 0x0
	v_trunc_f32_e32 v1, v4
	s_delay_alu instid0(VALU_DEP_1) | instskip(NEXT) | instid1(VALU_DEP_1)
	v_mul_f32_e64 v4, 0x2f800000, |v1|
	v_floor_f32_e32 v4, v4
	s_delay_alu instid0(VALU_DEP_1) | instskip(SKIP_1) | instid1(VALU_DEP_2)
	v_fma_f32 v4, 0xcf800000, v4, |v1|
	v_ashrrev_i32_e32 v1, 31, v1
	v_cvt_u32_f32_e32 v4, v4
	s_delay_alu instid0(VALU_DEP_1) | instskip(NEXT) | instid1(VALU_DEP_1)
	v_xor_b32_e32 v4, v4, v1
	v_sub_nc_u32_e32 v1, v4, v1
	global_store_b8 v[2:3], v1, off
.LBB18_158:
.LBB18_159:
	v_add_nc_u32_e32 v0, 0x80, v0
	s_mov_b32 s23, -1
	s_branch .LBB18_270
.LBB18_160:
	s_mov_b32 s22, -1
                                        ; implicit-def: $vgpr1
.LBB18_161:
	s_mov_b32 s24, 0
.LBB18_162:
	s_delay_alu instid0(SALU_CYCLE_1)
	s_and_b32 vcc_lo, exec_lo, s24
	s_cbranch_vccz .LBB18_166
; %bb.163:
	s_cmp_eq_u32 s0, 29
	s_cbranch_scc0 .LBB18_165
; %bb.164:
	global_load_b64 v[6:7], v[4:5], off
	s_mov_b32 s23, -1
	s_mov_b32 s22, 0
	s_mov_b32 s24, 0
	s_wait_loadcnt 0x0
	v_clz_i32_u32_e32 v1, v7
	s_delay_alu instid0(VALU_DEP_1) | instskip(NEXT) | instid1(VALU_DEP_1)
	v_min_u32_e32 v1, 32, v1
	v_lshlrev_b64_e32 v[6:7], v1, v[6:7]
	v_sub_nc_u32_e32 v1, 32, v1
	s_delay_alu instid0(VALU_DEP_2) | instskip(NEXT) | instid1(VALU_DEP_1)
	v_min_u32_e32 v3, 1, v6
	v_or_b32_e32 v3, v7, v3
	s_delay_alu instid0(VALU_DEP_1) | instskip(NEXT) | instid1(VALU_DEP_1)
	v_cvt_f32_u32_e32 v3, v3
	v_ldexp_f32 v1, v3, v1
	s_branch .LBB18_167
.LBB18_165:
	s_mov_b32 s22, -1
                                        ; implicit-def: $vgpr1
.LBB18_166:
	s_mov_b32 s24, 0
.LBB18_167:
	s_delay_alu instid0(SALU_CYCLE_1)
	s_and_b32 vcc_lo, exec_lo, s24
	s_cbranch_vccz .LBB18_185
; %bb.168:
	s_cmp_lt_i32 s0, 27
	s_cbranch_scc1 .LBB18_171
; %bb.169:
	s_cmp_gt_i32 s0, 27
	s_cbranch_scc0 .LBB18_172
; %bb.170:
	global_load_b32 v1, v[4:5], off
	s_mov_b32 s23, 0
	s_wait_loadcnt 0x0
	v_cvt_f32_u32_e32 v1, v1
	s_branch .LBB18_173
.LBB18_171:
	s_mov_b32 s23, -1
                                        ; implicit-def: $vgpr1
	s_branch .LBB18_176
.LBB18_172:
	s_mov_b32 s23, -1
                                        ; implicit-def: $vgpr1
.LBB18_173:
	s_delay_alu instid0(SALU_CYCLE_1)
	s_and_not1_b32 vcc_lo, exec_lo, s23
	s_cbranch_vccnz .LBB18_175
; %bb.174:
	global_load_u16 v1, v[4:5], off
	s_wait_loadcnt 0x0
	v_cvt_f32_u32_e32 v1, v1
.LBB18_175:
	s_mov_b32 s23, 0
.LBB18_176:
	s_delay_alu instid0(SALU_CYCLE_1)
	s_and_not1_b32 vcc_lo, exec_lo, s23
	s_cbranch_vccnz .LBB18_184
; %bb.177:
	global_load_u8 v3, v[4:5], off
	s_mov_b32 s23, 0
	s_mov_b32 s24, exec_lo
	s_wait_loadcnt 0x0
	v_cmpx_lt_i16_e32 0x7f, v3
	s_xor_b32 s24, exec_lo, s24
	s_cbranch_execz .LBB18_197
; %bb.178:
	s_mov_b32 s23, -1
	s_mov_b32 s25, exec_lo
	v_cmpx_eq_u16_e32 0x80, v3
; %bb.179:
	s_xor_b32 s23, exec_lo, -1
; %bb.180:
	s_or_b32 exec_lo, exec_lo, s25
	s_delay_alu instid0(SALU_CYCLE_1)
	s_and_b32 s23, s23, exec_lo
	s_or_saveexec_b32 s24, s24
	v_mov_b32_e32 v1, 0x7f800001
	s_xor_b32 exec_lo, exec_lo, s24
	s_cbranch_execnz .LBB18_198
.LBB18_181:
	s_or_b32 exec_lo, exec_lo, s24
	s_and_saveexec_b32 s24, s23
	s_cbranch_execz .LBB18_183
.LBB18_182:
	v_and_b32_e32 v1, 0xffff, v3
	s_delay_alu instid0(VALU_DEP_1) | instskip(SKIP_1) | instid1(VALU_DEP_2)
	v_and_b32_e32 v6, 7, v1
	v_bfe_u32 v9, v1, 3, 4
	v_clz_i32_u32_e32 v7, v6
	s_delay_alu instid0(VALU_DEP_2) | instskip(NEXT) | instid1(VALU_DEP_2)
	v_cmp_eq_u32_e32 vcc_lo, 0, v9
	v_min_u32_e32 v7, 32, v7
	s_delay_alu instid0(VALU_DEP_1) | instskip(NEXT) | instid1(VALU_DEP_1)
	v_subrev_nc_u32_e32 v8, 28, v7
	v_dual_lshlrev_b32 v1, v8, v1 :: v_dual_sub_nc_u32 v7, 29, v7
	s_delay_alu instid0(VALU_DEP_1) | instskip(NEXT) | instid1(VALU_DEP_1)
	v_dual_lshlrev_b32 v3, 24, v3 :: v_dual_bitop2_b32 v1, 7, v1 bitop3:0x40
	v_dual_cndmask_b32 v1, v6, v1, vcc_lo :: v_dual_cndmask_b32 v7, v9, v7, vcc_lo
	s_delay_alu instid0(VALU_DEP_2) | instskip(NEXT) | instid1(VALU_DEP_2)
	v_and_b32_e32 v3, 0x80000000, v3
	v_lshlrev_b32_e32 v1, 20, v1
	s_delay_alu instid0(VALU_DEP_3) | instskip(NEXT) | instid1(VALU_DEP_1)
	v_lshl_add_u32 v6, v7, 23, 0x3b800000
	v_or3_b32 v1, v3, v6, v1
.LBB18_183:
	s_or_b32 exec_lo, exec_lo, s24
.LBB18_184:
	s_mov_b32 s23, -1
.LBB18_185:
	s_branch .LBB18_220
.LBB18_186:
	s_cmp_gt_i32 s0, 22
	s_cbranch_scc0 .LBB18_196
; %bb.187:
	s_cmp_lt_i32 s0, 24
	s_cbranch_scc1 .LBB18_199
; %bb.188:
	s_cmp_gt_i32 s0, 24
	s_cbranch_scc0 .LBB18_200
; %bb.189:
	global_load_u8 v3, v[4:5], off
	s_mov_b32 s23, 0
	s_mov_b32 s24, exec_lo
	s_wait_loadcnt 0x0
	v_cmpx_lt_i16_e32 0x7f, v3
	s_xor_b32 s24, exec_lo, s24
	s_cbranch_execz .LBB18_212
; %bb.190:
	s_mov_b32 s23, -1
	s_mov_b32 s25, exec_lo
	v_cmpx_eq_u16_e32 0x80, v3
; %bb.191:
	s_xor_b32 s23, exec_lo, -1
; %bb.192:
	s_or_b32 exec_lo, exec_lo, s25
	s_delay_alu instid0(SALU_CYCLE_1)
	s_and_b32 s23, s23, exec_lo
	s_or_saveexec_b32 s24, s24
	v_mov_b32_e32 v1, 0x7f800001
	s_xor_b32 exec_lo, exec_lo, s24
	s_cbranch_execnz .LBB18_213
.LBB18_193:
	s_or_b32 exec_lo, exec_lo, s24
	s_and_saveexec_b32 s24, s23
	s_cbranch_execz .LBB18_195
.LBB18_194:
	v_and_b32_e32 v1, 0xffff, v3
	s_delay_alu instid0(VALU_DEP_1) | instskip(SKIP_1) | instid1(VALU_DEP_2)
	v_and_b32_e32 v6, 3, v1
	v_bfe_u32 v9, v1, 2, 5
	v_clz_i32_u32_e32 v7, v6
	s_delay_alu instid0(VALU_DEP_2) | instskip(NEXT) | instid1(VALU_DEP_2)
	v_cmp_eq_u32_e32 vcc_lo, 0, v9
	v_min_u32_e32 v7, 32, v7
	s_delay_alu instid0(VALU_DEP_1) | instskip(NEXT) | instid1(VALU_DEP_1)
	v_subrev_nc_u32_e32 v8, 29, v7
	v_dual_lshlrev_b32 v1, v8, v1 :: v_dual_sub_nc_u32 v7, 30, v7
	s_delay_alu instid0(VALU_DEP_1) | instskip(NEXT) | instid1(VALU_DEP_1)
	v_dual_lshlrev_b32 v3, 24, v3 :: v_dual_bitop2_b32 v1, 3, v1 bitop3:0x40
	v_dual_cndmask_b32 v1, v6, v1, vcc_lo :: v_dual_cndmask_b32 v7, v9, v7, vcc_lo
	s_delay_alu instid0(VALU_DEP_2) | instskip(NEXT) | instid1(VALU_DEP_2)
	v_and_b32_e32 v3, 0x80000000, v3
	v_lshlrev_b32_e32 v1, 21, v1
	s_delay_alu instid0(VALU_DEP_3) | instskip(NEXT) | instid1(VALU_DEP_1)
	v_lshl_add_u32 v6, v7, 23, 0x37800000
	v_or3_b32 v1, v3, v6, v1
.LBB18_195:
	s_or_b32 exec_lo, exec_lo, s24
	s_mov_b32 s23, 0
	s_branch .LBB18_201
.LBB18_196:
	s_mov_b32 s24, -1
                                        ; implicit-def: $vgpr1
	s_branch .LBB18_207
.LBB18_197:
	s_or_saveexec_b32 s24, s24
	v_mov_b32_e32 v1, 0x7f800001
	s_xor_b32 exec_lo, exec_lo, s24
	s_cbranch_execz .LBB18_181
.LBB18_198:
	v_cmp_ne_u16_e32 vcc_lo, 0, v3
	v_mov_b32_e32 v1, 0
	s_and_not1_b32 s23, s23, exec_lo
	s_and_b32 s25, vcc_lo, exec_lo
	s_delay_alu instid0(SALU_CYCLE_1)
	s_or_b32 s23, s23, s25
	s_or_b32 exec_lo, exec_lo, s24
	s_and_saveexec_b32 s24, s23
	s_cbranch_execnz .LBB18_182
	s_branch .LBB18_183
.LBB18_199:
	s_mov_b32 s23, -1
                                        ; implicit-def: $vgpr1
	s_branch .LBB18_204
.LBB18_200:
	s_mov_b32 s23, -1
                                        ; implicit-def: $vgpr1
.LBB18_201:
	s_delay_alu instid0(SALU_CYCLE_1)
	s_and_b32 vcc_lo, exec_lo, s23
	s_cbranch_vccz .LBB18_203
; %bb.202:
	global_load_u8 v1, v[4:5], off
	s_wait_loadcnt 0x0
	v_lshlrev_b32_e32 v1, 24, v1
	s_delay_alu instid0(VALU_DEP_1) | instskip(NEXT) | instid1(VALU_DEP_1)
	v_and_b32_e32 v3, 0x7f000000, v1
	v_clz_i32_u32_e32 v6, v3
	v_cmp_ne_u32_e32 vcc_lo, 0, v3
	v_add_nc_u32_e32 v8, 0x1000000, v3
	s_delay_alu instid0(VALU_DEP_3) | instskip(NEXT) | instid1(VALU_DEP_1)
	v_min_u32_e32 v6, 32, v6
	v_sub_nc_u32_e64 v6, v6, 4 clamp
	s_delay_alu instid0(VALU_DEP_1) | instskip(NEXT) | instid1(VALU_DEP_1)
	v_dual_lshlrev_b32 v7, v6, v3 :: v_dual_lshlrev_b32 v6, 23, v6
	v_lshrrev_b32_e32 v7, 4, v7
	s_delay_alu instid0(VALU_DEP_1) | instskip(NEXT) | instid1(VALU_DEP_1)
	v_dual_sub_nc_u32 v6, v7, v6 :: v_dual_ashrrev_i32 v7, 8, v8
	v_add_nc_u32_e32 v6, 0x3c000000, v6
	s_delay_alu instid0(VALU_DEP_1) | instskip(NEXT) | instid1(VALU_DEP_1)
	v_and_or_b32 v6, 0x7f800000, v7, v6
	v_cndmask_b32_e32 v3, 0, v6, vcc_lo
	s_delay_alu instid0(VALU_DEP_1)
	v_and_or_b32 v1, 0x80000000, v1, v3
.LBB18_203:
	s_mov_b32 s23, 0
.LBB18_204:
	s_delay_alu instid0(SALU_CYCLE_1)
	s_and_not1_b32 vcc_lo, exec_lo, s23
	s_cbranch_vccnz .LBB18_206
; %bb.205:
	global_load_u8 v1, v[4:5], off
	s_wait_loadcnt 0x0
	v_lshlrev_b32_e32 v3, 25, v1
	v_lshlrev_b16 v1, 8, v1
	s_delay_alu instid0(VALU_DEP_1) | instskip(SKIP_1) | instid1(VALU_DEP_2)
	v_and_or_b32 v7, 0x7f00, v1, 0.5
	v_bfe_i32 v1, v1, 0, 16
	v_add_f32_e32 v7, -0.5, v7
	v_lshrrev_b32_e32 v6, 4, v3
	v_cmp_gt_u32_e32 vcc_lo, 0x8000000, v3
	s_delay_alu instid0(VALU_DEP_2) | instskip(NEXT) | instid1(VALU_DEP_1)
	v_or_b32_e32 v6, 0x70000000, v6
	v_mul_f32_e32 v6, 0x7800000, v6
	s_delay_alu instid0(VALU_DEP_1) | instskip(NEXT) | instid1(VALU_DEP_1)
	v_cndmask_b32_e32 v3, v6, v7, vcc_lo
	v_and_or_b32 v1, 0x80000000, v1, v3
.LBB18_206:
	s_mov_b32 s24, 0
	s_mov_b32 s23, -1
.LBB18_207:
	s_and_not1_b32 vcc_lo, exec_lo, s24
	s_cbranch_vccnz .LBB18_220
; %bb.208:
	s_cmp_gt_i32 s0, 14
	s_cbranch_scc0 .LBB18_211
; %bb.209:
	s_cmp_eq_u32 s0, 15
	s_cbranch_scc0 .LBB18_214
; %bb.210:
	global_load_u16 v1, v[4:5], off
	s_mov_b32 s23, -1
	s_mov_b32 s22, 0
	s_wait_loadcnt 0x0
	v_lshlrev_b32_e32 v1, 16, v1
	s_branch .LBB18_215
.LBB18_211:
	s_mov_b32 s24, -1
                                        ; implicit-def: $vgpr1
	s_branch .LBB18_216
.LBB18_212:
	s_or_saveexec_b32 s24, s24
	v_mov_b32_e32 v1, 0x7f800001
	s_xor_b32 exec_lo, exec_lo, s24
	s_cbranch_execz .LBB18_193
.LBB18_213:
	v_cmp_ne_u16_e32 vcc_lo, 0, v3
	v_mov_b32_e32 v1, 0
	s_and_not1_b32 s23, s23, exec_lo
	s_and_b32 s25, vcc_lo, exec_lo
	s_delay_alu instid0(SALU_CYCLE_1)
	s_or_b32 s23, s23, s25
	s_or_b32 exec_lo, exec_lo, s24
	s_and_saveexec_b32 s24, s23
	s_cbranch_execnz .LBB18_194
	s_branch .LBB18_195
.LBB18_214:
	s_mov_b32 s22, -1
                                        ; implicit-def: $vgpr1
.LBB18_215:
	s_mov_b32 s24, 0
.LBB18_216:
	s_delay_alu instid0(SALU_CYCLE_1)
	s_and_b32 vcc_lo, exec_lo, s24
	s_cbranch_vccz .LBB18_220
; %bb.217:
	s_cmp_eq_u32 s0, 11
	s_cbranch_scc0 .LBB18_219
; %bb.218:
	global_load_u8 v1, v[4:5], off
	s_mov_b32 s22, 0
	s_mov_b32 s23, -1
	s_wait_loadcnt 0x0
	v_cmp_ne_u16_e32 vcc_lo, 0, v1
	v_cndmask_b32_e64 v1, 0, 1.0, vcc_lo
	s_branch .LBB18_220
.LBB18_219:
	s_mov_b32 s22, -1
                                        ; implicit-def: $vgpr1
.LBB18_220:
	s_branch .LBB18_25
.LBB18_221:
	s_cmp_lt_i32 s0, 5
	s_cbranch_scc1 .LBB18_226
; %bb.222:
	s_cmp_lt_i32 s0, 8
	s_cbranch_scc1 .LBB18_227
; %bb.223:
	;; [unrolled: 3-line block ×3, first 2 shown]
	s_cmp_gt_i32 s0, 9
	s_cbranch_scc0 .LBB18_229
; %bb.225:
	global_load_b64 v[6:7], v[4:5], off
	s_mov_b32 s23, 0
	s_wait_loadcnt 0x0
	v_cvt_f32_f64_e32 v1, v[6:7]
	s_branch .LBB18_230
.LBB18_226:
                                        ; implicit-def: $vgpr1
	s_branch .LBB18_248
.LBB18_227:
	s_mov_b32 s23, -1
                                        ; implicit-def: $vgpr1
	s_branch .LBB18_236
.LBB18_228:
	s_mov_b32 s23, -1
                                        ; implicit-def: $vgpr1
	s_branch .LBB18_233
.LBB18_229:
	s_mov_b32 s23, -1
                                        ; implicit-def: $vgpr1
.LBB18_230:
	s_delay_alu instid0(SALU_CYCLE_1)
	s_and_not1_b32 vcc_lo, exec_lo, s23
	s_cbranch_vccnz .LBB18_232
; %bb.231:
	global_load_b32 v1, v[4:5], off
.LBB18_232:
	s_mov_b32 s23, 0
.LBB18_233:
	s_delay_alu instid0(SALU_CYCLE_1)
	s_and_not1_b32 vcc_lo, exec_lo, s23
	s_cbranch_vccnz .LBB18_235
; %bb.234:
	s_wait_loadcnt 0x0
	global_load_b32 v1, v[4:5], off
	s_wait_loadcnt 0x0
	v_cvt_f32_f16_e32 v1, v1
.LBB18_235:
	s_mov_b32 s23, 0
.LBB18_236:
	s_delay_alu instid0(SALU_CYCLE_1)
	s_and_not1_b32 vcc_lo, exec_lo, s23
	s_cbranch_vccnz .LBB18_247
; %bb.237:
	s_cmp_lt_i32 s0, 6
	s_cbranch_scc1 .LBB18_240
; %bb.238:
	s_cmp_gt_i32 s0, 6
	s_cbranch_scc0 .LBB18_241
; %bb.239:
	global_load_b64 v[6:7], v[4:5], off
	s_mov_b32 s23, 0
	s_wait_loadcnt 0x0
	v_cvt_f32_f64_e32 v1, v[6:7]
	s_branch .LBB18_242
.LBB18_240:
	s_mov_b32 s23, -1
                                        ; implicit-def: $vgpr1
	s_branch .LBB18_245
.LBB18_241:
	s_mov_b32 s23, -1
                                        ; implicit-def: $vgpr1
.LBB18_242:
	s_delay_alu instid0(SALU_CYCLE_1)
	s_and_not1_b32 vcc_lo, exec_lo, s23
	s_cbranch_vccnz .LBB18_244
; %bb.243:
	s_wait_loadcnt 0x0
	global_load_b32 v1, v[4:5], off
.LBB18_244:
	s_mov_b32 s23, 0
.LBB18_245:
	s_delay_alu instid0(SALU_CYCLE_1)
	s_and_not1_b32 vcc_lo, exec_lo, s23
	s_cbranch_vccnz .LBB18_247
; %bb.246:
	s_wait_loadcnt 0x0
	global_load_u16 v1, v[4:5], off
	s_wait_loadcnt 0x0
	v_cvt_f32_f16_e32 v1, v1
.LBB18_247:
	s_cbranch_execnz .LBB18_267
.LBB18_248:
	s_cmp_lt_i32 s0, 2
	s_cbranch_scc1 .LBB18_252
; %bb.249:
	s_cmp_lt_i32 s0, 3
	s_cbranch_scc1 .LBB18_253
; %bb.250:
	s_cmp_gt_i32 s0, 3
	s_cbranch_scc0 .LBB18_254
; %bb.251:
	global_load_b64 v[6:7], v[4:5], off
	s_mov_b32 s23, 0
	s_wait_loadcnt 0x0
	v_xor_b32_e32 v1, v6, v7
	v_cls_i32_e32 v3, v7
	s_delay_alu instid0(VALU_DEP_2) | instskip(NEXT) | instid1(VALU_DEP_1)
	v_ashrrev_i32_e32 v1, 31, v1
	v_add_nc_u32_e32 v1, 32, v1
	s_delay_alu instid0(VALU_DEP_1) | instskip(NEXT) | instid1(VALU_DEP_1)
	v_add_min_u32_e64 v1, v3, -1, v1
	v_lshlrev_b64_e32 v[6:7], v1, v[6:7]
	v_sub_nc_u32_e32 v1, 32, v1
	s_delay_alu instid0(VALU_DEP_2) | instskip(NEXT) | instid1(VALU_DEP_1)
	v_min_u32_e32 v3, 1, v6
	v_or_b32_e32 v3, v7, v3
	s_delay_alu instid0(VALU_DEP_1) | instskip(NEXT) | instid1(VALU_DEP_1)
	v_cvt_f32_i32_e32 v3, v3
	v_ldexp_f32 v1, v3, v1
	s_branch .LBB18_255
.LBB18_252:
	s_mov_b32 s23, -1
                                        ; implicit-def: $vgpr1
	s_branch .LBB18_261
.LBB18_253:
	s_mov_b32 s23, -1
                                        ; implicit-def: $vgpr1
	s_branch .LBB18_258
.LBB18_254:
	s_mov_b32 s23, -1
                                        ; implicit-def: $vgpr1
.LBB18_255:
	s_delay_alu instid0(SALU_CYCLE_1)
	s_and_not1_b32 vcc_lo, exec_lo, s23
	s_cbranch_vccnz .LBB18_257
; %bb.256:
	s_wait_loadcnt 0x0
	global_load_b32 v1, v[4:5], off
	s_wait_loadcnt 0x0
	v_cvt_f32_i32_e32 v1, v1
.LBB18_257:
	s_mov_b32 s23, 0
.LBB18_258:
	s_delay_alu instid0(SALU_CYCLE_1)
	s_and_not1_b32 vcc_lo, exec_lo, s23
	s_cbranch_vccnz .LBB18_260
; %bb.259:
	s_wait_loadcnt 0x0
	global_load_i16 v1, v[4:5], off
	s_wait_loadcnt 0x0
	v_cvt_f32_i32_e32 v1, v1
.LBB18_260:
	s_mov_b32 s23, 0
.LBB18_261:
	s_delay_alu instid0(SALU_CYCLE_1)
	s_and_not1_b32 vcc_lo, exec_lo, s23
	s_cbranch_vccnz .LBB18_267
; %bb.262:
	s_cmp_gt_i32 s0, 0
	s_mov_b32 s0, 0
	s_cbranch_scc0 .LBB18_264
; %bb.263:
	s_wait_loadcnt 0x0
	global_load_i8 v1, v[4:5], off
	s_wait_loadcnt 0x0
	v_cvt_f32_i32_e32 v1, v1
	s_branch .LBB18_265
.LBB18_264:
	s_mov_b32 s0, -1
                                        ; implicit-def: $vgpr1
.LBB18_265:
	s_delay_alu instid0(SALU_CYCLE_1)
	s_and_not1_b32 vcc_lo, exec_lo, s0
	s_cbranch_vccnz .LBB18_267
; %bb.266:
	s_wait_loadcnt 0x0
	global_load_u8 v1, v[4:5], off
	s_wait_loadcnt 0x0
	v_cvt_f32_ubyte0_e32 v1, v1
.LBB18_267:
	s_branch .LBB18_26
.LBB18_268:
	s_mov_b32 s0, 0
.LBB18_269:
	s_mov_b32 s23, 0
                                        ; implicit-def: $vgpr0
.LBB18_270:
	s_and_b32 s39, s0, exec_lo
	s_and_b32 s40, s22, exec_lo
	s_or_not1_b32 s22, s23, exec_lo
.LBB18_271:
	s_wait_xcnt 0x0
	s_or_b32 exec_lo, exec_lo, s41
	s_mov_b32 s23, 0
	s_mov_b32 s0, 0
                                        ; implicit-def: $vgpr4_vgpr5
                                        ; implicit-def: $vgpr2
                                        ; implicit-def: $vgpr1
	s_and_saveexec_b32 s41, s22
	s_cbranch_execz .LBB18_279
; %bb.272:
	s_mov_b32 s0, -1
	s_mov_b32 s42, s40
	s_mov_b32 s43, s39
	s_mov_b32 s44, exec_lo
	v_cmpx_gt_i32_e64 s36, v0
	s_cbranch_execz .LBB18_554
; %bb.273:
	s_and_not1_b32 vcc_lo, exec_lo, s31
	s_cbranch_vccnz .LBB18_282
; %bb.274:
	s_and_not1_b32 vcc_lo, exec_lo, s38
	s_cbranch_vccnz .LBB18_283
; %bb.275:
	s_add_co_i32 s0, s37, 1
	s_cmp_eq_u32 s29, 2
	s_cbranch_scc1 .LBB18_284
; %bb.276:
	v_dual_mov_b32 v2, 0 :: v_dual_mov_b32 v4, 0
	s_wait_loadcnt 0x0
	v_mov_b32_e32 v1, v0
	s_and_b32 s22, s0, 28
	s_mov_b64 s[24:25], s[2:3]
	s_mov_b64 s[26:27], s[20:21]
.LBB18_277:                             ; =>This Inner Loop Header: Depth=1
	s_clause 0x1
	s_load_b256 s[48:55], s[24:25], 0x4
	s_load_b128 s[64:67], s[24:25], 0x24
	s_load_b256 s[56:63], s[26:27], 0x0
	s_add_co_i32 s23, s23, 4
	s_wait_xcnt 0x0
	s_add_nc_u64 s[24:25], s[24:25], 48
	s_cmp_eq_u32 s22, s23
	s_add_nc_u64 s[26:27], s[26:27], 32
	s_wait_kmcnt 0x0
	v_mul_hi_u32 v3, s49, v1
	s_delay_alu instid0(VALU_DEP_1) | instskip(NEXT) | instid1(VALU_DEP_1)
	v_add_nc_u32_e32 v3, v1, v3
	v_lshrrev_b32_e32 v3, s50, v3
	s_delay_alu instid0(VALU_DEP_1) | instskip(NEXT) | instid1(VALU_DEP_1)
	v_mul_hi_u32 v5, s52, v3
	v_add_nc_u32_e32 v5, v3, v5
	s_delay_alu instid0(VALU_DEP_1) | instskip(NEXT) | instid1(VALU_DEP_1)
	v_lshrrev_b32_e32 v5, s53, v5
	v_mul_hi_u32 v6, s55, v5
	s_delay_alu instid0(VALU_DEP_1) | instskip(SKIP_1) | instid1(VALU_DEP_1)
	v_add_nc_u32_e32 v6, v5, v6
	v_mul_lo_u32 v7, v3, s48
	v_sub_nc_u32_e32 v1, v1, v7
	v_mul_lo_u32 v7, v5, s51
	s_delay_alu instid0(VALU_DEP_4) | instskip(NEXT) | instid1(VALU_DEP_3)
	v_lshrrev_b32_e32 v6, s64, v6
	v_mad_u32 v4, v1, s57, v4
	v_mad_u32 v1, v1, s56, v2
	s_delay_alu instid0(VALU_DEP_4) | instskip(NEXT) | instid1(VALU_DEP_4)
	v_sub_nc_u32_e32 v2, v3, v7
	v_mul_hi_u32 v8, s66, v6
	v_mul_lo_u32 v3, v6, s54
	s_delay_alu instid0(VALU_DEP_3) | instskip(SKIP_1) | instid1(VALU_DEP_3)
	v_mad_u32 v4, v2, s59, v4
	v_mad_u32 v2, v2, s58, v1
	v_dual_add_nc_u32 v7, v6, v8 :: v_dual_sub_nc_u32 v3, v5, v3
	s_delay_alu instid0(VALU_DEP_1) | instskip(NEXT) | instid1(VALU_DEP_2)
	v_lshrrev_b32_e32 v1, s67, v7
	v_mad_u32 v4, v3, s61, v4
	s_delay_alu instid0(VALU_DEP_4) | instskip(NEXT) | instid1(VALU_DEP_3)
	v_mad_u32 v2, v3, s60, v2
	v_mul_lo_u32 v5, v1, s65
	s_delay_alu instid0(VALU_DEP_1) | instskip(NEXT) | instid1(VALU_DEP_1)
	v_sub_nc_u32_e32 v3, v6, v5
	v_mad_u32 v4, v3, s63, v4
	s_delay_alu instid0(VALU_DEP_4)
	v_mad_u32 v2, v3, s62, v2
	s_cbranch_scc0 .LBB18_277
; %bb.278:
	s_delay_alu instid0(VALU_DEP_2)
	v_mov_b32_e32 v3, v4
	s_branch .LBB18_285
.LBB18_279:
	s_or_b32 exec_lo, exec_lo, s41
	s_mov_b32 s1, 0
	s_and_saveexec_b32 s6, s40
	s_cbranch_execnz .LBB18_940
.LBB18_280:
	s_or_b32 exec_lo, exec_lo, s6
	s_and_saveexec_b32 s6, s17
	s_delay_alu instid0(SALU_CYCLE_1)
	s_xor_b32 s6, exec_lo, s6
	s_cbranch_execz .LBB18_941
.LBB18_281:
	global_load_u8 v0, v[4:5], off
	s_or_b32 s0, s0, exec_lo
	s_wait_loadcnt 0x0
	v_cmp_ne_u16_e32 vcc_lo, 0, v0
	v_cndmask_b32_e64 v1, 0, 1.0, vcc_lo
	s_wait_xcnt 0x0
	s_or_b32 exec_lo, exec_lo, s6
	s_and_saveexec_b32 s6, s23
	s_cbranch_execz .LBB18_987
	s_branch .LBB18_942
.LBB18_282:
                                        ; implicit-def: $vgpr4
                                        ; implicit-def: $vgpr2
	s_and_not1_b32 vcc_lo, exec_lo, s0
	s_cbranch_vccnz .LBB18_292
	s_branch .LBB18_290
.LBB18_283:
	v_dual_mov_b32 v4, 0 :: v_dual_mov_b32 v2, 0
	s_branch .LBB18_289
.LBB18_284:
	v_mov_b64_e32 v[2:3], 0
	s_wait_loadcnt 0x0
	v_mov_b32_e32 v1, v0
	s_mov_b32 s22, 0
                                        ; implicit-def: $vgpr4
.LBB18_285:
	s_and_b32 s0, s0, 3
	s_mov_b32 s23, 0
	s_cmp_eq_u32 s0, 0
	s_cbranch_scc1 .LBB18_289
; %bb.286:
	s_lshl_b32 s24, s22, 3
	s_mov_b32 s25, s23
	s_mul_u64 s[26:27], s[22:23], 12
	s_add_nc_u64 s[24:25], s[2:3], s[24:25]
	s_delay_alu instid0(SALU_CYCLE_1)
	s_add_nc_u64 s[22:23], s[24:25], 0xc4
	s_add_nc_u64 s[24:25], s[2:3], s[26:27]
.LBB18_287:                             ; =>This Inner Loop Header: Depth=1
	s_load_b96 s[48:50], s[24:25], 0x4
	s_load_b64 s[26:27], s[22:23], 0x0
	s_add_co_i32 s0, s0, -1
	s_wait_xcnt 0x0
	s_add_nc_u64 s[24:25], s[24:25], 12
	s_cmp_lg_u32 s0, 0
	s_add_nc_u64 s[22:23], s[22:23], 8
	s_wait_kmcnt 0x0
	v_mul_hi_u32 v4, s49, v1
	s_delay_alu instid0(VALU_DEP_1) | instskip(NEXT) | instid1(VALU_DEP_1)
	v_add_nc_u32_e32 v4, v1, v4
	v_lshrrev_b32_e32 v4, s50, v4
	s_delay_alu instid0(VALU_DEP_1) | instskip(NEXT) | instid1(VALU_DEP_1)
	v_mul_lo_u32 v5, v4, s48
	v_sub_nc_u32_e32 v1, v1, v5
	s_delay_alu instid0(VALU_DEP_1)
	v_mad_u32 v3, v1, s27, v3
	v_mad_u32 v2, v1, s26, v2
	v_mov_b32_e32 v1, v4
	s_cbranch_scc1 .LBB18_287
; %bb.288:
	s_delay_alu instid0(VALU_DEP_3)
	v_mov_b32_e32 v4, v3
.LBB18_289:
	s_cbranch_execnz .LBB18_292
.LBB18_290:
	s_wait_loadcnt 0x0
	v_mov_b32_e32 v1, 0
	s_and_not1_b32 vcc_lo, exec_lo, s35
	s_delay_alu instid0(VALU_DEP_1) | instskip(NEXT) | instid1(VALU_DEP_1)
	v_mul_u64_e32 v[2:3], s[16:17], v[0:1]
	v_add_nc_u32_e32 v2, v0, v3
	s_delay_alu instid0(VALU_DEP_1) | instskip(NEXT) | instid1(VALU_DEP_1)
	v_lshrrev_b32_e32 v6, s14, v2
	v_mul_lo_u32 v2, v6, s12
	s_delay_alu instid0(VALU_DEP_1) | instskip(NEXT) | instid1(VALU_DEP_1)
	v_sub_nc_u32_e32 v2, v0, v2
	v_mul_lo_u32 v4, v2, s9
	v_mul_lo_u32 v2, v2, s8
	s_cbranch_vccnz .LBB18_292
; %bb.291:
	v_mov_b32_e32 v7, v1
	s_delay_alu instid0(VALU_DEP_1) | instskip(NEXT) | instid1(VALU_DEP_1)
	v_mul_u64_e32 v[8:9], s[18:19], v[6:7]
	v_add_nc_u32_e32 v1, v6, v9
	s_delay_alu instid0(VALU_DEP_1) | instskip(NEXT) | instid1(VALU_DEP_1)
	v_lshrrev_b32_e32 v1, s1, v1
	v_mul_lo_u32 v1, v1, s15
	s_delay_alu instid0(VALU_DEP_1) | instskip(NEXT) | instid1(VALU_DEP_1)
	v_sub_nc_u32_e32 v1, v6, v1
	v_mad_u32 v2, v1, s10, v2
	v_mad_u32 v4, v1, s11, v4
.LBB18_292:
	v_mov_b32_e32 v5, 0
	s_and_b32 s0, 0xffff, s13
	s_delay_alu instid0(SALU_CYCLE_1) | instskip(NEXT) | instid1(VALU_DEP_1)
	s_cmp_lt_i32 s0, 11
	v_add_nc_u64_e32 v[4:5], s[6:7], v[4:5]
	s_cbranch_scc1 .LBB18_299
; %bb.293:
	s_cmp_gt_i32 s0, 25
	s_cbranch_scc0 .LBB18_312
; %bb.294:
	s_cmp_gt_i32 s0, 28
	s_cbranch_scc0 .LBB18_314
	;; [unrolled: 3-line block ×4, first 2 shown]
; %bb.297:
	s_cmp_eq_u32 s0, 46
	s_mov_b32 s24, 0
	s_cbranch_scc0 .LBB18_324
; %bb.298:
	s_wait_loadcnt 0x0
	global_load_b32 v1, v[4:5], off
	s_mov_b32 s23, -1
	s_mov_b32 s22, 0
	s_wait_loadcnt 0x0
	v_lshlrev_b32_e32 v1, 16, v1
	s_branch .LBB18_326
.LBB18_299:
	s_mov_b32 s23, 0
	s_mov_b32 s22, s40
                                        ; implicit-def: $vgpr1
	s_cbranch_execnz .LBB18_503
.LBB18_300:
	s_and_not1_b32 vcc_lo, exec_lo, s23
	s_cbranch_vccnz .LBB18_551
.LBB18_301:
	s_wait_loadcnt 0x0
	s_delay_alu instid0(VALU_DEP_1) | instskip(SKIP_2) | instid1(SALU_CYCLE_1)
	v_cmp_ge_f32_e64 s0, 0x41000000, |v1|
                                        ; implicit-def: $vgpr4
	s_wait_xcnt 0x0
	s_and_saveexec_b32 s23, s0
	s_xor_b32 s0, exec_lo, s23
	s_cbranch_execz .LBB18_303
; %bb.302:
	v_fma_f32 v3, |v1|, 0.5, -2.0
	s_mov_b32 s23, 0xa2a2e5b9
	v_mul_f32_e64 v6, 0x3fb8aa3b, |v1|
	v_cmp_ngt_f32_e64 vcc_lo, 0xc2ce8ed0, |v1|
	s_delay_alu instid0(VALU_DEP_3) | instskip(NEXT) | instid1(VALU_DEP_3)
	v_fmaak_f32 v4, s23, v3, 0x24199b15
	v_rndne_f32_e32 v7, v6
	v_fma_f32 v8, 0x3fb8aa3b, |v1|, -v6
	s_delay_alu instid0(VALU_DEP_2) | instskip(NEXT) | instid1(VALU_DEP_2)
	v_dual_fmaak_f32 v5, v3, v4, 0x22a2e5b9 :: v_dual_sub_f32 v6, v6, v7
	v_fma_f32 v8, 0x32a5705f, |v1|, v8
	v_cvt_i32_f32_e32 v7, v7
	s_delay_alu instid0(VALU_DEP_2) | instskip(NEXT) | instid1(VALU_DEP_1)
	v_dual_add_f32 v5, 0xa58c275c, v5 :: v_dual_add_f32 v6, v6, v8
	v_fma_f32 v4, v3, v5, -v4
	s_delay_alu instid0(VALU_DEP_2) | instskip(NEXT) | instid1(VALU_DEP_1)
	v_exp_f32_e32 v6, v6
	v_add_f32_e32 v4, 0x26f736c5, v4
	s_delay_alu instid0(VALU_DEP_1) | instskip(NEXT) | instid1(VALU_DEP_1)
	v_fma_f32 v5, v3, v4, -v5
	v_add_f32_e32 v5, 0xa8528116, v5
	s_delay_alu instid0(VALU_DEP_1) | instskip(NEXT) | instid1(VALU_DEP_1)
	v_fma_f32 v4, v3, v5, -v4
	;; [unrolled: 3-line block ×25, first 2 shown]
	v_add_f32_e32 v5, 0xbe9bff5e, v5
	s_delay_alu instid0(VALU_DEP_1) | instskip(SKIP_1) | instid1(VALU_DEP_2)
	v_fma_f32 v3, v3, v5, -v4
	v_ldexp_f32 v5, v6, v7
	v_add_f32_e32 v3, 0x3f2d4275, v3
	s_delay_alu instid0(VALU_DEP_2) | instskip(SKIP_1) | instid1(VALU_DEP_3)
	v_cndmask_b32_e32 v5, 0, v5, vcc_lo
	v_cmp_nlt_f32_e64 vcc_lo, 0x42b17218, |v1|
	v_sub_f32_e32 v3, v3, v4
	s_delay_alu instid0(VALU_DEP_3) | instskip(NEXT) | instid1(VALU_DEP_2)
	v_cndmask_b32_e32 v1, 0x7f800000, v5, vcc_lo
	v_mul_f32_e32 v3, 0.5, v3
	s_delay_alu instid0(VALU_DEP_1)
	v_mul_f32_e32 v4, v1, v3
                                        ; implicit-def: $vgpr1
.LBB18_303:
	s_and_not1_saveexec_b32 s23, s0
	s_cbranch_execz .LBB18_305
; %bb.304:
	v_and_b32_e32 v3, 0x7fffffff, v1
	s_mov_b32 s0, 0xa3056dbb
	s_delay_alu instid0(VALU_DEP_1) | instskip(SKIP_1) | instid1(VALU_DEP_2)
	v_div_scale_f32 v4, null, v3, v3, 0x42000000
	v_div_scale_f32 v3, vcc_lo, 0x42000000, v3, 0x42000000
	v_rcp_f32_e32 v5, v4
	v_nop
	s_delay_alu instid0(TRANS32_DEP_1) | instskip(NEXT) | instid1(VALU_DEP_1)
	v_fma_f32 v6, -v4, v5, 1.0
	v_fmac_f32_e32 v5, v6, v5
	s_delay_alu instid0(VALU_DEP_1) | instskip(NEXT) | instid1(VALU_DEP_1)
	v_mul_f32_e32 v6, v3, v5
	v_fma_f32 v7, -v4, v6, v3
	s_delay_alu instid0(VALU_DEP_1) | instskip(SKIP_1) | instid1(VALU_DEP_1)
	v_fmac_f32_e32 v6, v7, v5
	v_mul_f32_e64 v7, 0x3fb8aa3b, |v1|
	v_rndne_f32_e32 v8, v7
	s_delay_alu instid0(VALU_DEP_3) | instskip(SKIP_1) | instid1(VALU_DEP_3)
	v_fma_f32 v3, -v4, v6, v3
	v_fma_f32 v9, 0x3fb8aa3b, |v1|, -v7
	v_sub_f32_e32 v7, v7, v8
	s_delay_alu instid0(VALU_DEP_3)
	v_div_fmas_f32 v3, v3, v5, v6
	v_mul_f32_e64 v6, 0x4f800000, |v1|
	v_cmp_gt_f32_e64 vcc_lo, 0xf800000, |v1|
	v_fma_f32 v9, 0x32a5705f, |v1|, v9
	v_cvt_i32_f32_e32 v8, v8
	v_div_fixup_f32 v3, v3, |v1|, 0x42000000
	s_delay_alu instid0(VALU_DEP_4) | instskip(NEXT) | instid1(VALU_DEP_2)
	v_cndmask_b32_e64 v6, |v1|, v6, vcc_lo
	v_dual_add_f32 v7, v7, v9 :: v_dual_add_f32 v3, -2.0, v3
	s_delay_alu instid0(VALU_DEP_2) | instskip(SKIP_1) | instid1(TRANS32_DEP_1)
	v_sqrt_f32_e32 v10, v6
	v_nop
	v_dual_fmaak_f32 v4, s0, v3, 0xa2b236d3 :: v_dual_add_nc_u32 v11, -1, v10
	s_delay_alu instid0(VALU_DEP_1) | instskip(NEXT) | instid1(VALU_DEP_2)
	v_fmaak_f32 v5, v3, v4, 0x23056dbb
	v_dual_add_nc_u32 v9, 1, v10 :: v_dual_fma_f32 v12, -v11, v10, v6
	s_delay_alu instid0(VALU_DEP_2) | instskip(NEXT) | instid1(VALU_DEP_2)
	v_add_f32_e32 v5, 0x244df0c1, v5
	v_fma_f32 v13, -v9, v10, v6
	s_delay_alu instid0(VALU_DEP_3) | instskip(NEXT) | instid1(VALU_DEP_1)
	v_cmp_ge_f32_e64 s0, 0, v12
	v_dual_fma_f32 v4, v3, v5, -v4 :: v_dual_cndmask_b32 v10, v10, v11, s0
	s_delay_alu instid0(VALU_DEP_1) | instskip(NEXT) | instid1(VALU_DEP_4)
	v_add_f32_e32 v4, 0x241f9ee8, v4
	v_cmp_lt_f32_e64 s0, 0, v13
	s_delay_alu instid0(VALU_DEP_2) | instskip(NEXT) | instid1(VALU_DEP_1)
	v_fma_f32 v5, v3, v4, -v5
	v_add_f32_e32 v5, 0xa5a3005d, v5
	s_delay_alu instid0(VALU_DEP_1) | instskip(NEXT) | instid1(VALU_DEP_1)
	v_fma_f32 v4, v3, v5, -v4
	v_add_f32_e32 v4, 0xa5c5773f, v4
	s_delay_alu instid0(VALU_DEP_1) | instskip(NEXT) | instid1(VALU_DEP_1)
	;; [unrolled: 3-line block ×19, first 2 shown]
	v_fma_f32 v4, v3, v5, -v4
	v_add_f32_e32 v4, 0x3b5ccc65, v4
	v_exp_f32_e32 v7, v7
	s_delay_alu instid0(VALU_DEP_1) | instskip(NEXT) | instid1(TRANS32_DEP_1)
	v_fma_f32 v3, v3, v4, -v5
	v_ldexp_f32 v4, v7, v8
	v_cndmask_b32_e64 v7, v10, v9, s0
	s_delay_alu instid0(VALU_DEP_3) | instskip(SKIP_1) | instid1(VALU_DEP_2)
	v_add_f32_e32 v3, 0x3f4df315, v3
	v_cmp_ngt_f32_e64 s0, 0xc2ce8ed0, |v1|
	v_dual_mul_f32 v8, 0x37800000, v7 :: v_dual_sub_f32 v3, v3, v5
	s_delay_alu instid0(VALU_DEP_2) | instskip(SKIP_1) | instid1(VALU_DEP_3)
	v_cndmask_b32_e64 v4, 0, v4, s0
	v_cmp_nlt_f32_e64 s0, 0x42b17218, |v1|
	v_mul_f32_e32 v3, 0.5, v3
	s_delay_alu instid0(VALU_DEP_2) | instskip(SKIP_2) | instid1(VALU_DEP_2)
	v_cndmask_b32_e64 v1, 0x7f800000, v4, s0
	v_cndmask_b32_e32 v4, v7, v8, vcc_lo
	v_cmp_class_f32_e64 vcc_lo, v6, 0x260
	v_dual_mul_f32 v1, v1, v3 :: v_dual_cndmask_b32 v4, v4, v6
	s_delay_alu instid0(VALU_DEP_1) | instskip(NEXT) | instid1(VALU_DEP_1)
	v_div_scale_f32 v3, null, v4, v4, v1
	v_rcp_f32_e32 v5, v3
	v_nop
	s_delay_alu instid0(TRANS32_DEP_1) | instskip(NEXT) | instid1(VALU_DEP_1)
	v_fma_f32 v6, -v3, v5, 1.0
	v_fmac_f32_e32 v5, v6, v5
	v_div_scale_f32 v6, vcc_lo, v1, v4, v1
	s_delay_alu instid0(VALU_DEP_1) | instskip(NEXT) | instid1(VALU_DEP_1)
	v_mul_f32_e32 v7, v6, v5
	v_fma_f32 v8, -v3, v7, v6
	s_delay_alu instid0(VALU_DEP_1) | instskip(NEXT) | instid1(VALU_DEP_1)
	v_fmac_f32_e32 v7, v8, v5
	v_fma_f32 v3, -v3, v7, v6
	s_delay_alu instid0(VALU_DEP_1) | instskip(NEXT) | instid1(VALU_DEP_1)
	v_div_fmas_f32 v3, v3, v5, v7
	v_div_fixup_f32 v4, v3, v4, v1
.LBB18_305:
	s_or_b32 exec_lo, exec_lo, s23
	v_mov_b32_e32 v3, 0
	s_and_b32 s23, s34, 0xff
	s_delay_alu instid0(SALU_CYCLE_1) | instskip(NEXT) | instid1(VALU_DEP_1)
	s_cmp_lt_i32 s23, 11
	v_add_nc_u64_e32 v[2:3], s[4:5], v[2:3]
	s_cbranch_scc1 .LBB18_313
; %bb.306:
	s_and_b32 s24, 0xffff, s23
	s_delay_alu instid0(SALU_CYCLE_1)
	s_cmp_gt_i32 s24, 25
	s_cbranch_scc0 .LBB18_315
; %bb.307:
	s_cmp_gt_i32 s24, 28
	s_cbranch_scc0 .LBB18_317
; %bb.308:
	;; [unrolled: 3-line block ×4, first 2 shown]
	s_mov_b32 s26, 0
	s_mov_b32 s0, -1
	s_cmp_eq_u32 s24, 46
	s_mov_b32 s25, 0
	s_cbranch_scc0 .LBB18_330
; %bb.311:
	v_bfe_u32 v1, v4, 16, 1
	v_cmp_o_f32_e32 vcc_lo, v4, v4
	s_mov_b32 s25, -1
	s_mov_b32 s0, 0
	s_delay_alu instid0(VALU_DEP_2) | instskip(NEXT) | instid1(VALU_DEP_1)
	v_add3_u32 v1, v4, v1, 0x7fff
	v_lshrrev_b32_e32 v1, 16, v1
	s_delay_alu instid0(VALU_DEP_1)
	v_cndmask_b32_e32 v1, 0x7fc0, v1, vcc_lo
	global_store_b32 v[2:3], v1, off
	s_branch .LBB18_330
.LBB18_312:
	s_mov_b32 s24, -1
	s_mov_b32 s23, 0
	s_mov_b32 s22, s40
                                        ; implicit-def: $vgpr1
	s_branch .LBB18_467
.LBB18_313:
	s_mov_b32 s24, -1
	s_mov_b32 s25, 0
	s_mov_b32 s0, s39
	s_branch .LBB18_399
.LBB18_314:
	s_mov_b32 s24, -1
	s_mov_b32 s23, 0
	s_mov_b32 s22, s40
                                        ; implicit-def: $vgpr1
	s_branch .LBB18_448
.LBB18_315:
	s_mov_b32 s26, -1
	s_mov_b32 s25, 0
	s_mov_b32 s0, s39
	s_branch .LBB18_357
.LBB18_316:
	s_mov_b32 s24, -1
	s_mov_b32 s23, 0
	s_mov_b32 s22, s40
                                        ; implicit-def: $vgpr1
	s_branch .LBB18_443
.LBB18_317:
	s_mov_b32 s26, -1
	s_mov_b32 s25, 0
	s_mov_b32 s0, s39
	s_branch .LBB18_340
.LBB18_318:
	s_and_not1_saveexec_b32 s27, s27
	s_cbranch_execz .LBB18_73
.LBB18_319:
	v_add_f32_e64 v1, 0x46000000, |v4|
	s_and_not1_b32 s26, s26, exec_lo
	s_delay_alu instid0(VALU_DEP_1) | instskip(NEXT) | instid1(VALU_DEP_1)
	v_and_b32_e32 v1, 0xff, v1
	v_cmp_ne_u32_e32 vcc_lo, 0, v1
	s_and_b32 s39, vcc_lo, exec_lo
	s_delay_alu instid0(SALU_CYCLE_1)
	s_or_b32 s26, s26, s39
	s_or_b32 exec_lo, exec_lo, s27
	v_mov_b32_e32 v5, 0
	s_and_saveexec_b32 s27, s26
	s_cbranch_execnz .LBB18_74
	s_branch .LBB18_75
.LBB18_320:
	s_mov_b32 s24, -1
	s_mov_b32 s23, 0
	s_mov_b32 s22, s40
	s_branch .LBB18_325
.LBB18_321:
	s_mov_b32 s26, -1
	s_mov_b32 s25, 0
	s_mov_b32 s0, s39
	s_branch .LBB18_336
.LBB18_322:
	s_and_not1_saveexec_b32 s27, s27
	s_cbranch_execz .LBB18_86
.LBB18_323:
	v_add_f32_e64 v1, 0x42800000, |v4|
	s_and_not1_b32 s26, s26, exec_lo
	s_delay_alu instid0(VALU_DEP_1) | instskip(NEXT) | instid1(VALU_DEP_1)
	v_and_b32_e32 v1, 0xff, v1
	v_cmp_ne_u32_e32 vcc_lo, 0, v1
	s_and_b32 s39, vcc_lo, exec_lo
	s_delay_alu instid0(SALU_CYCLE_1)
	s_or_b32 s26, s26, s39
	s_or_b32 exec_lo, exec_lo, s27
	v_mov_b32_e32 v5, 0
	s_and_saveexec_b32 s27, s26
	s_cbranch_execnz .LBB18_87
	s_branch .LBB18_88
.LBB18_324:
	s_mov_b32 s22, -1
	s_mov_b32 s23, 0
.LBB18_325:
                                        ; implicit-def: $vgpr1
.LBB18_326:
	s_and_b32 vcc_lo, exec_lo, s24
	s_cbranch_vccz .LBB18_442
; %bb.327:
	s_cmp_eq_u32 s0, 44
	s_cbranch_scc0 .LBB18_441
; %bb.328:
	s_wait_loadcnt 0x0
	global_load_u8 v1, v[4:5], off
	s_mov_b32 s22, 0
	s_mov_b32 s23, -1
	s_wait_loadcnt 0x0
	v_lshlrev_b32_e32 v3, 23, v1
	v_cmp_ne_u32_e32 vcc_lo, 0xff, v1
	s_delay_alu instid0(VALU_DEP_2) | instskip(SKIP_1) | instid1(VALU_DEP_2)
	v_cndmask_b32_e32 v3, 0x7f800001, v3, vcc_lo
	v_cmp_ne_u32_e32 vcc_lo, 0, v1
	v_cndmask_b32_e32 v1, 0x400000, v3, vcc_lo
	s_branch .LBB18_442
.LBB18_329:
	s_mov_b32 s26, -1
	s_mov_b32 s25, 0
	s_mov_b32 s0, s39
.LBB18_330:
	s_and_b32 vcc_lo, exec_lo, s26
	s_cbranch_vccz .LBB18_335
; %bb.331:
	s_cmp_eq_u32 s24, 44
	s_mov_b32 s0, -1
	s_cbranch_scc0 .LBB18_335
; %bb.332:
	v_bfe_u32 v5, v4, 23, 8
	s_wait_xcnt 0x0
	v_mov_b32_e32 v1, 0xff
	s_mov_b32 s25, exec_lo
	s_delay_alu instid0(VALU_DEP_2)
	v_cmpx_ne_u32_e32 0xff, v5
	s_cbranch_execz .LBB18_334
; %bb.333:
	v_and_b32_e32 v1, 0x400000, v4
	v_and_or_b32 v5, 0x3fffff, v4, v5
	s_delay_alu instid0(VALU_DEP_2) | instskip(NEXT) | instid1(VALU_DEP_2)
	v_cmp_ne_u32_e32 vcc_lo, 0, v1
	v_cmp_ne_u32_e64 s0, 0, v5
	v_lshrrev_b32_e32 v1, 23, v4
	s_and_b32 s0, vcc_lo, s0
	s_delay_alu instid0(SALU_CYCLE_1) | instskip(NEXT) | instid1(VALU_DEP_1)
	v_cndmask_b32_e64 v5, 0, 1, s0
	v_add_nc_u32_e32 v1, v1, v5
.LBB18_334:
	s_or_b32 exec_lo, exec_lo, s25
	s_mov_b32 s25, -1
	s_mov_b32 s0, 0
	global_store_b8 v[2:3], v1, off
.LBB18_335:
	s_mov_b32 s26, 0
.LBB18_336:
	s_delay_alu instid0(SALU_CYCLE_1)
	s_and_b32 vcc_lo, exec_lo, s26
	s_cbranch_vccz .LBB18_339
; %bb.337:
	s_cmp_eq_u32 s24, 29
	s_mov_b32 s0, -1
	s_cbranch_scc0 .LBB18_339
; %bb.338:
	s_wait_xcnt 0x0
	v_trunc_f32_e32 v1, v4
	s_mov_b32 s25, -1
	s_mov_b32 s0, 0
	s_mov_b32 s26, 0
	s_delay_alu instid0(VALU_DEP_1) | instskip(NEXT) | instid1(VALU_DEP_1)
	v_mul_f32_e32 v5, 0x2f800000, v1
	v_floor_f32_e32 v5, v5
	s_delay_alu instid0(VALU_DEP_1) | instskip(SKIP_1) | instid1(VALU_DEP_2)
	v_fmamk_f32 v1, v5, 0xcf800000, v1
	v_cvt_u32_f32_e32 v7, v5
	v_cvt_u32_f32_e32 v6, v1
	global_store_b64 v[2:3], v[6:7], off
	s_branch .LBB18_340
.LBB18_339:
	s_mov_b32 s26, 0
.LBB18_340:
	s_delay_alu instid0(SALU_CYCLE_1)
	s_and_b32 vcc_lo, exec_lo, s26
	s_cbranch_vccz .LBB18_356
; %bb.341:
	s_cmp_lt_i32 s24, 27
	s_mov_b32 s25, -1
	s_cbranch_scc1 .LBB18_347
; %bb.342:
	s_wait_xcnt 0x0
	v_cvt_u32_f32_e32 v1, v4
	s_cmp_gt_i32 s24, 27
	s_cbranch_scc0 .LBB18_344
; %bb.343:
	s_mov_b32 s25, 0
	global_store_b32 v[2:3], v1, off
.LBB18_344:
	s_and_not1_b32 vcc_lo, exec_lo, s25
	s_cbranch_vccnz .LBB18_346
; %bb.345:
	global_store_b16 v[2:3], v1, off
.LBB18_346:
	s_mov_b32 s25, 0
.LBB18_347:
	s_delay_alu instid0(SALU_CYCLE_1)
	s_and_not1_b32 vcc_lo, exec_lo, s25
	s_cbranch_vccnz .LBB18_355
; %bb.348:
	s_wait_xcnt 0x0
	v_and_b32_e32 v1, 0x7fffffff, v4
	v_mov_b32_e32 v5, 0x80
	s_mov_b32 s25, exec_lo
	s_delay_alu instid0(VALU_DEP_2)
	v_cmpx_gt_u32_e32 0x43800000, v1
	s_cbranch_execz .LBB18_354
; %bb.349:
	v_cmp_lt_u32_e32 vcc_lo, 0x3bffffff, v1
	s_mov_b32 s26, 0
                                        ; implicit-def: $vgpr1
	s_and_saveexec_b32 s27, vcc_lo
	s_delay_alu instid0(SALU_CYCLE_1)
	s_xor_b32 s27, exec_lo, s27
	s_cbranch_execz .LBB18_584
; %bb.350:
	v_bfe_u32 v1, v4, 20, 1
	s_mov_b32 s26, exec_lo
	s_delay_alu instid0(VALU_DEP_1) | instskip(NEXT) | instid1(VALU_DEP_1)
	v_add3_u32 v1, v4, v1, 0x487ffff
	v_lshrrev_b32_e32 v1, 20, v1
	s_and_not1_saveexec_b32 s27, s27
	s_cbranch_execnz .LBB18_585
.LBB18_351:
	s_or_b32 exec_lo, exec_lo, s27
	v_mov_b32_e32 v5, 0
	s_and_saveexec_b32 s27, s26
.LBB18_352:
	v_lshrrev_b32_e32 v5, 24, v4
	s_delay_alu instid0(VALU_DEP_1)
	v_and_or_b32 v5, 0x80, v5, v1
.LBB18_353:
	s_or_b32 exec_lo, exec_lo, s27
.LBB18_354:
	s_delay_alu instid0(SALU_CYCLE_1)
	s_or_b32 exec_lo, exec_lo, s25
	global_store_b8 v[2:3], v5, off
.LBB18_355:
	s_mov_b32 s25, -1
.LBB18_356:
	s_mov_b32 s26, 0
.LBB18_357:
	s_delay_alu instid0(SALU_CYCLE_1)
	s_and_b32 vcc_lo, exec_lo, s26
	s_cbranch_vccz .LBB18_398
; %bb.358:
	s_cmp_gt_i32 s24, 22
	s_mov_b32 s26, -1
	s_cbranch_scc0 .LBB18_390
; %bb.359:
	s_cmp_lt_i32 s24, 24
	s_mov_b32 s25, -1
	s_cbranch_scc1 .LBB18_379
; %bb.360:
	s_cmp_gt_i32 s24, 24
	s_cbranch_scc0 .LBB18_368
; %bb.361:
	s_wait_xcnt 0x0
	v_and_b32_e32 v1, 0x7fffffff, v4
	v_mov_b32_e32 v5, 0x80
	s_mov_b32 s25, exec_lo
	s_delay_alu instid0(VALU_DEP_2)
	v_cmpx_gt_u32_e32 0x47800000, v1
	s_cbranch_execz .LBB18_367
; %bb.362:
	v_cmp_lt_u32_e32 vcc_lo, 0x37ffffff, v1
	s_mov_b32 s26, 0
                                        ; implicit-def: $vgpr1
	s_and_saveexec_b32 s27, vcc_lo
	s_delay_alu instid0(SALU_CYCLE_1)
	s_xor_b32 s27, exec_lo, s27
	s_cbranch_execz .LBB18_587
; %bb.363:
	v_bfe_u32 v1, v4, 21, 1
	s_mov_b32 s26, exec_lo
	s_delay_alu instid0(VALU_DEP_1) | instskip(NEXT) | instid1(VALU_DEP_1)
	v_add3_u32 v1, v4, v1, 0x88fffff
	v_lshrrev_b32_e32 v1, 21, v1
	s_and_not1_saveexec_b32 s27, s27
	s_cbranch_execnz .LBB18_588
.LBB18_364:
	s_or_b32 exec_lo, exec_lo, s27
	v_mov_b32_e32 v5, 0
	s_and_saveexec_b32 s27, s26
.LBB18_365:
	v_lshrrev_b32_e32 v5, 24, v4
	s_delay_alu instid0(VALU_DEP_1)
	v_and_or_b32 v5, 0x80, v5, v1
.LBB18_366:
	s_or_b32 exec_lo, exec_lo, s27
.LBB18_367:
	s_delay_alu instid0(SALU_CYCLE_1)
	s_or_b32 exec_lo, exec_lo, s25
	s_mov_b32 s25, 0
	global_store_b8 v[2:3], v5, off
.LBB18_368:
	s_and_b32 vcc_lo, exec_lo, s25
	s_cbranch_vccz .LBB18_378
; %bb.369:
	s_wait_xcnt 0x0
	v_and_b32_e32 v5, 0x7fffffff, v4
	s_mov_b32 s25, exec_lo
                                        ; implicit-def: $vgpr1
	s_delay_alu instid0(VALU_DEP_1)
	v_cmpx_gt_u32_e32 0x43f00000, v5
	s_xor_b32 s25, exec_lo, s25
	s_cbranch_execz .LBB18_375
; %bb.370:
	s_mov_b32 s26, exec_lo
                                        ; implicit-def: $vgpr1
	v_cmpx_lt_u32_e32 0x3c7fffff, v5
	s_xor_b32 s26, exec_lo, s26
; %bb.371:
	v_bfe_u32 v1, v4, 20, 1
	s_delay_alu instid0(VALU_DEP_1) | instskip(NEXT) | instid1(VALU_DEP_1)
	v_add3_u32 v1, v4, v1, 0x407ffff
	v_and_b32_e32 v5, 0xff00000, v1
	v_lshrrev_b32_e32 v1, 20, v1
	s_delay_alu instid0(VALU_DEP_2) | instskip(NEXT) | instid1(VALU_DEP_2)
	v_cmp_ne_u32_e32 vcc_lo, 0x7f00000, v5
	v_cndmask_b32_e32 v1, 0x7e, v1, vcc_lo
; %bb.372:
	s_and_not1_saveexec_b32 s26, s26
; %bb.373:
	v_add_f32_e64 v1, 0x46800000, |v4|
; %bb.374:
	s_or_b32 exec_lo, exec_lo, s26
                                        ; implicit-def: $vgpr5
.LBB18_375:
	s_and_not1_saveexec_b32 s25, s25
; %bb.376:
	v_mov_b32_e32 v1, 0x7f
	v_cmp_lt_u32_e32 vcc_lo, 0x7f800000, v5
	s_delay_alu instid0(VALU_DEP_2)
	v_cndmask_b32_e32 v1, 0x7e, v1, vcc_lo
; %bb.377:
	s_or_b32 exec_lo, exec_lo, s25
	v_lshrrev_b32_e32 v5, 24, v4
	s_delay_alu instid0(VALU_DEP_1)
	v_and_or_b32 v1, 0x80, v5, v1
	global_store_b8 v[2:3], v1, off
.LBB18_378:
	s_mov_b32 s25, 0
.LBB18_379:
	s_delay_alu instid0(SALU_CYCLE_1)
	s_and_not1_b32 vcc_lo, exec_lo, s25
	s_cbranch_vccnz .LBB18_389
; %bb.380:
	s_wait_xcnt 0x0
	v_and_b32_e32 v5, 0x7fffffff, v4
	s_mov_b32 s25, exec_lo
                                        ; implicit-def: $vgpr1
	s_delay_alu instid0(VALU_DEP_1)
	v_cmpx_gt_u32_e32 0x47800000, v5
	s_xor_b32 s25, exec_lo, s25
	s_cbranch_execz .LBB18_386
; %bb.381:
	s_mov_b32 s26, exec_lo
                                        ; implicit-def: $vgpr1
	v_cmpx_lt_u32_e32 0x387fffff, v5
	s_xor_b32 s26, exec_lo, s26
; %bb.382:
	v_bfe_u32 v1, v4, 21, 1
	s_delay_alu instid0(VALU_DEP_1) | instskip(NEXT) | instid1(VALU_DEP_1)
	v_add3_u32 v1, v4, v1, 0x80fffff
	v_lshrrev_b32_e32 v1, 21, v1
; %bb.383:
	s_and_not1_saveexec_b32 s26, s26
; %bb.384:
	v_add_f32_e64 v1, 0x43000000, |v4|
; %bb.385:
	s_or_b32 exec_lo, exec_lo, s26
                                        ; implicit-def: $vgpr5
.LBB18_386:
	s_and_not1_saveexec_b32 s25, s25
; %bb.387:
	v_mov_b32_e32 v1, 0x7f
	v_cmp_lt_u32_e32 vcc_lo, 0x7f800000, v5
	s_delay_alu instid0(VALU_DEP_2)
	v_cndmask_b32_e32 v1, 0x7c, v1, vcc_lo
; %bb.388:
	s_or_b32 exec_lo, exec_lo, s25
	v_lshrrev_b32_e32 v5, 24, v4
	s_delay_alu instid0(VALU_DEP_1)
	v_and_or_b32 v1, 0x80, v5, v1
	global_store_b8 v[2:3], v1, off
.LBB18_389:
	s_mov_b32 s26, 0
	s_mov_b32 s25, -1
.LBB18_390:
	s_and_not1_b32 vcc_lo, exec_lo, s26
	s_cbranch_vccnz .LBB18_398
; %bb.391:
	s_cmp_gt_i32 s24, 14
	s_mov_b32 s26, -1
	s_cbranch_scc0 .LBB18_395
; %bb.392:
	s_cmp_eq_u32 s24, 15
	s_mov_b32 s0, -1
	s_cbranch_scc0 .LBB18_394
; %bb.393:
	s_wait_xcnt 0x0
	v_bfe_u32 v1, v4, 16, 1
	v_cmp_o_f32_e32 vcc_lo, v4, v4
	s_mov_b32 s25, -1
	s_mov_b32 s0, 0
	s_delay_alu instid0(VALU_DEP_2) | instskip(NEXT) | instid1(VALU_DEP_1)
	v_add3_u32 v1, v4, v1, 0x7fff
	v_lshrrev_b32_e32 v1, 16, v1
	s_delay_alu instid0(VALU_DEP_1)
	v_cndmask_b32_e32 v1, 0x7fc0, v1, vcc_lo
	global_store_b16 v[2:3], v1, off
.LBB18_394:
	s_mov_b32 s26, 0
.LBB18_395:
	s_delay_alu instid0(SALU_CYCLE_1)
	s_and_b32 vcc_lo, exec_lo, s26
	s_cbranch_vccz .LBB18_398
; %bb.396:
	s_cmp_eq_u32 s24, 11
	s_mov_b32 s0, -1
	s_cbranch_scc0 .LBB18_398
; %bb.397:
	v_cmp_neq_f32_e32 vcc_lo, 0, v4
	s_mov_b32 s0, 0
	s_mov_b32 s25, -1
	s_wait_xcnt 0x0
	v_cndmask_b32_e64 v1, 0, 1, vcc_lo
	global_store_b8 v[2:3], v1, off
.LBB18_398:
	s_mov_b32 s24, 0
.LBB18_399:
	s_delay_alu instid0(SALU_CYCLE_1)
	s_and_b32 vcc_lo, exec_lo, s24
	s_cbranch_vccz .LBB18_438
; %bb.400:
	s_and_b32 s23, 0xffff, s23
	s_mov_b32 s24, -1
	s_cmp_lt_i32 s23, 5
	s_cbranch_scc1 .LBB18_421
; %bb.401:
	s_cmp_lt_i32 s23, 8
	s_cbranch_scc1 .LBB18_411
; %bb.402:
	;; [unrolled: 3-line block ×3, first 2 shown]
	s_cmp_gt_i32 s23, 9
	s_cbranch_scc0 .LBB18_405
; %bb.404:
	s_wait_xcnt 0x0
	v_cvt_f64_f32_e32 v[6:7], v4
	v_mov_b32_e32 v8, 0
	s_mov_b32 s24, 0
	s_delay_alu instid0(VALU_DEP_1)
	v_mov_b32_e32 v9, v8
	global_store_b128 v[2:3], v[6:9], off
.LBB18_405:
	s_and_not1_b32 vcc_lo, exec_lo, s24
	s_cbranch_vccnz .LBB18_407
; %bb.406:
	s_wait_xcnt 0x0
	v_mov_b32_e32 v5, 0
	global_store_b64 v[2:3], v[4:5], off
.LBB18_407:
	s_mov_b32 s24, 0
.LBB18_408:
	s_delay_alu instid0(SALU_CYCLE_1)
	s_and_not1_b32 vcc_lo, exec_lo, s24
	s_cbranch_vccnz .LBB18_410
; %bb.409:
	s_wait_xcnt 0x0
	v_cvt_f16_f32_e32 v1, v4
	s_delay_alu instid0(VALU_DEP_1)
	v_and_b32_e32 v1, 0xffff, v1
	global_store_b32 v[2:3], v1, off
.LBB18_410:
	s_mov_b32 s24, 0
.LBB18_411:
	s_delay_alu instid0(SALU_CYCLE_1)
	s_and_not1_b32 vcc_lo, exec_lo, s24
	s_cbranch_vccnz .LBB18_420
; %bb.412:
	s_cmp_lt_i32 s23, 6
	s_mov_b32 s24, -1
	s_cbranch_scc1 .LBB18_418
; %bb.413:
	s_cmp_gt_i32 s23, 6
	s_cbranch_scc0 .LBB18_415
; %bb.414:
	s_wait_xcnt 0x0
	v_cvt_f64_f32_e32 v[6:7], v4
	s_mov_b32 s24, 0
	global_store_b64 v[2:3], v[6:7], off
.LBB18_415:
	s_and_not1_b32 vcc_lo, exec_lo, s24
	s_cbranch_vccnz .LBB18_417
; %bb.416:
	global_store_b32 v[2:3], v4, off
.LBB18_417:
	s_mov_b32 s24, 0
.LBB18_418:
	s_delay_alu instid0(SALU_CYCLE_1)
	s_and_not1_b32 vcc_lo, exec_lo, s24
	s_cbranch_vccnz .LBB18_420
; %bb.419:
	s_wait_xcnt 0x0
	v_cvt_f16_f32_e32 v1, v4
	global_store_b16 v[2:3], v1, off
.LBB18_420:
	s_mov_b32 s24, 0
.LBB18_421:
	s_delay_alu instid0(SALU_CYCLE_1)
	s_and_not1_b32 vcc_lo, exec_lo, s24
	s_cbranch_vccnz .LBB18_437
; %bb.422:
	s_cmp_lt_i32 s23, 2
	s_mov_b32 s24, -1
	s_cbranch_scc1 .LBB18_432
; %bb.423:
	s_cmp_lt_i32 s23, 3
	s_cbranch_scc1 .LBB18_429
; %bb.424:
	s_cmp_gt_i32 s23, 3
	s_cbranch_scc0 .LBB18_426
; %bb.425:
	s_wait_xcnt 0x0
	v_trunc_f32_e32 v1, v4
	s_mov_b32 s24, 0
	s_delay_alu instid0(VALU_DEP_1) | instskip(SKIP_1) | instid1(VALU_DEP_2)
	v_mul_f32_e64 v5, 0x2f800000, |v1|
	v_ashrrev_i32_e32 v6, 31, v1
	v_floor_f32_e32 v5, v5
	s_delay_alu instid0(VALU_DEP_1) | instskip(SKIP_1) | instid1(VALU_DEP_2)
	v_fma_f32 v7, 0xcf800000, v5, |v1|
	v_cvt_u32_f32_e32 v1, v5
	v_cvt_u32_f32_e32 v5, v7
	s_delay_alu instid0(VALU_DEP_2) | instskip(NEXT) | instid1(VALU_DEP_2)
	v_dual_mov_b32 v7, v6 :: v_dual_bitop2_b32 v9, v1, v6 bitop3:0x14
	v_xor_b32_e32 v8, v5, v6
	s_delay_alu instid0(VALU_DEP_1)
	v_sub_nc_u64_e32 v[6:7], v[8:9], v[6:7]
	global_store_b64 v[2:3], v[6:7], off
.LBB18_426:
	s_and_not1_b32 vcc_lo, exec_lo, s24
	s_cbranch_vccnz .LBB18_428
; %bb.427:
	s_wait_xcnt 0x0
	v_cvt_i32_f32_e32 v1, v4
	global_store_b32 v[2:3], v1, off
.LBB18_428:
	s_mov_b32 s24, 0
.LBB18_429:
	s_delay_alu instid0(SALU_CYCLE_1)
	s_and_not1_b32 vcc_lo, exec_lo, s24
	s_cbranch_vccnz .LBB18_431
; %bb.430:
	s_wait_xcnt 0x0
	v_cvt_i32_f32_e32 v1, v4
	global_store_b16 v[2:3], v1, off
.LBB18_431:
	s_mov_b32 s24, 0
.LBB18_432:
	s_delay_alu instid0(SALU_CYCLE_1)
	s_and_not1_b32 vcc_lo, exec_lo, s24
	s_cbranch_vccnz .LBB18_437
; %bb.433:
	s_cmp_gt_i32 s23, 0
	s_mov_b32 s23, -1
	s_cbranch_scc0 .LBB18_435
; %bb.434:
	s_wait_xcnt 0x0
	v_cvt_i32_f32_e32 v1, v4
	s_mov_b32 s23, 0
	global_store_b8 v[2:3], v1, off
.LBB18_435:
	s_and_not1_b32 vcc_lo, exec_lo, s23
	s_cbranch_vccnz .LBB18_437
; %bb.436:
	s_wait_xcnt 0x0
	v_trunc_f32_e32 v1, v4
	s_delay_alu instid0(VALU_DEP_1) | instskip(NEXT) | instid1(VALU_DEP_1)
	v_mul_f32_e64 v4, 0x2f800000, |v1|
	v_floor_f32_e32 v4, v4
	s_delay_alu instid0(VALU_DEP_1) | instskip(SKIP_1) | instid1(VALU_DEP_2)
	v_fma_f32 v4, 0xcf800000, v4, |v1|
	v_ashrrev_i32_e32 v1, 31, v1
	v_cvt_u32_f32_e32 v4, v4
	s_delay_alu instid0(VALU_DEP_1) | instskip(NEXT) | instid1(VALU_DEP_1)
	v_xor_b32_e32 v4, v4, v1
	v_sub_nc_u32_e32 v1, v4, v1
	global_store_b8 v[2:3], v1, off
.LBB18_437:
	s_mov_b32 s25, -1
.LBB18_438:
	s_delay_alu instid0(SALU_CYCLE_1)
	s_and_not1_b32 vcc_lo, exec_lo, s25
	s_cbranch_vccnz .LBB18_440
; %bb.439:
	v_add_nc_u32_e32 v0, 0x80, v0
	s_mov_b32 s23, -1
	s_branch .LBB18_553
.LBB18_440:
	s_mov_b32 s23, 0
	s_branch .LBB18_552
.LBB18_441:
	s_mov_b32 s22, -1
                                        ; implicit-def: $vgpr1
.LBB18_442:
	s_mov_b32 s24, 0
.LBB18_443:
	s_delay_alu instid0(SALU_CYCLE_1)
	s_and_b32 vcc_lo, exec_lo, s24
	s_cbranch_vccz .LBB18_447
; %bb.444:
	s_cmp_eq_u32 s0, 29
	s_cbranch_scc0 .LBB18_446
; %bb.445:
	global_load_b64 v[6:7], v[4:5], off
	s_mov_b32 s23, -1
	s_mov_b32 s22, 0
	s_mov_b32 s24, 0
	s_wait_loadcnt 0x0
	v_clz_i32_u32_e32 v1, v7
	s_delay_alu instid0(VALU_DEP_1) | instskip(NEXT) | instid1(VALU_DEP_1)
	v_min_u32_e32 v1, 32, v1
	v_lshlrev_b64_e32 v[6:7], v1, v[6:7]
	v_sub_nc_u32_e32 v1, 32, v1
	s_delay_alu instid0(VALU_DEP_2) | instskip(NEXT) | instid1(VALU_DEP_1)
	v_min_u32_e32 v3, 1, v6
	v_or_b32_e32 v3, v7, v3
	s_delay_alu instid0(VALU_DEP_1) | instskip(NEXT) | instid1(VALU_DEP_1)
	v_cvt_f32_u32_e32 v3, v3
	v_ldexp_f32 v1, v3, v1
	s_branch .LBB18_448
.LBB18_446:
	s_mov_b32 s22, -1
                                        ; implicit-def: $vgpr1
.LBB18_447:
	s_mov_b32 s24, 0
.LBB18_448:
	s_delay_alu instid0(SALU_CYCLE_1)
	s_and_b32 vcc_lo, exec_lo, s24
	s_cbranch_vccz .LBB18_466
; %bb.449:
	s_cmp_lt_i32 s0, 27
	s_cbranch_scc1 .LBB18_452
; %bb.450:
	s_cmp_gt_i32 s0, 27
	s_cbranch_scc0 .LBB18_453
; %bb.451:
	s_wait_loadcnt 0x0
	global_load_b32 v1, v[4:5], off
	s_mov_b32 s23, 0
	s_wait_loadcnt 0x0
	v_cvt_f32_u32_e32 v1, v1
	s_branch .LBB18_454
.LBB18_452:
	s_mov_b32 s23, -1
                                        ; implicit-def: $vgpr1
	s_branch .LBB18_457
.LBB18_453:
	s_mov_b32 s23, -1
                                        ; implicit-def: $vgpr1
.LBB18_454:
	s_delay_alu instid0(SALU_CYCLE_1)
	s_and_not1_b32 vcc_lo, exec_lo, s23
	s_cbranch_vccnz .LBB18_456
; %bb.455:
	s_wait_loadcnt 0x0
	global_load_u16 v1, v[4:5], off
	s_wait_loadcnt 0x0
	v_cvt_f32_u32_e32 v1, v1
.LBB18_456:
	s_mov_b32 s23, 0
.LBB18_457:
	s_delay_alu instid0(SALU_CYCLE_1)
	s_and_not1_b32 vcc_lo, exec_lo, s23
	s_cbranch_vccnz .LBB18_465
; %bb.458:
	global_load_u8 v3, v[4:5], off
	s_mov_b32 s23, 0
	s_mov_b32 s24, exec_lo
	s_wait_loadcnt 0x0
	v_cmpx_lt_i16_e32 0x7f, v3
	s_xor_b32 s24, exec_lo, s24
	s_cbranch_execz .LBB18_479
; %bb.459:
	s_mov_b32 s23, -1
	s_mov_b32 s25, exec_lo
	v_cmpx_eq_u16_e32 0x80, v3
; %bb.460:
	s_xor_b32 s23, exec_lo, -1
; %bb.461:
	s_or_b32 exec_lo, exec_lo, s25
	s_delay_alu instid0(SALU_CYCLE_1)
	s_and_b32 s23, s23, exec_lo
	s_or_saveexec_b32 s24, s24
	v_mov_b32_e32 v1, 0x7f800001
	s_xor_b32 exec_lo, exec_lo, s24
	s_cbranch_execnz .LBB18_480
.LBB18_462:
	s_or_b32 exec_lo, exec_lo, s24
	s_and_saveexec_b32 s24, s23
	s_cbranch_execz .LBB18_464
.LBB18_463:
	v_and_b32_e32 v1, 0xffff, v3
	s_delay_alu instid0(VALU_DEP_1) | instskip(SKIP_1) | instid1(VALU_DEP_2)
	v_and_b32_e32 v6, 7, v1
	v_bfe_u32 v9, v1, 3, 4
	v_clz_i32_u32_e32 v7, v6
	s_delay_alu instid0(VALU_DEP_2) | instskip(NEXT) | instid1(VALU_DEP_2)
	v_cmp_eq_u32_e32 vcc_lo, 0, v9
	v_min_u32_e32 v7, 32, v7
	s_delay_alu instid0(VALU_DEP_1) | instskip(NEXT) | instid1(VALU_DEP_1)
	v_subrev_nc_u32_e32 v8, 28, v7
	v_dual_lshlrev_b32 v1, v8, v1 :: v_dual_sub_nc_u32 v7, 29, v7
	s_delay_alu instid0(VALU_DEP_1) | instskip(NEXT) | instid1(VALU_DEP_1)
	v_dual_lshlrev_b32 v3, 24, v3 :: v_dual_bitop2_b32 v1, 7, v1 bitop3:0x40
	v_dual_cndmask_b32 v1, v6, v1, vcc_lo :: v_dual_cndmask_b32 v7, v9, v7, vcc_lo
	s_delay_alu instid0(VALU_DEP_2) | instskip(NEXT) | instid1(VALU_DEP_2)
	v_and_b32_e32 v3, 0x80000000, v3
	v_lshlrev_b32_e32 v1, 20, v1
	s_delay_alu instid0(VALU_DEP_3) | instskip(NEXT) | instid1(VALU_DEP_1)
	v_lshl_add_u32 v6, v7, 23, 0x3b800000
	v_or3_b32 v1, v3, v6, v1
.LBB18_464:
	s_or_b32 exec_lo, exec_lo, s24
.LBB18_465:
	s_mov_b32 s23, -1
.LBB18_466:
	s_mov_b32 s24, 0
.LBB18_467:
	s_delay_alu instid0(SALU_CYCLE_1)
	s_and_b32 vcc_lo, exec_lo, s24
	s_cbranch_vccz .LBB18_502
; %bb.468:
	s_cmp_gt_i32 s0, 22
	s_cbranch_scc0 .LBB18_478
; %bb.469:
	s_cmp_lt_i32 s0, 24
	s_cbranch_scc1 .LBB18_481
; %bb.470:
	s_cmp_gt_i32 s0, 24
	s_cbranch_scc0 .LBB18_482
; %bb.471:
	global_load_u8 v3, v[4:5], off
	s_mov_b32 s23, 0
	s_mov_b32 s24, exec_lo
	s_wait_loadcnt 0x0
	v_cmpx_lt_i16_e32 0x7f, v3
	s_xor_b32 s24, exec_lo, s24
	s_cbranch_execz .LBB18_494
; %bb.472:
	s_mov_b32 s23, -1
	s_mov_b32 s25, exec_lo
	v_cmpx_eq_u16_e32 0x80, v3
; %bb.473:
	s_xor_b32 s23, exec_lo, -1
; %bb.474:
	s_or_b32 exec_lo, exec_lo, s25
	s_delay_alu instid0(SALU_CYCLE_1)
	s_and_b32 s23, s23, exec_lo
	s_or_saveexec_b32 s24, s24
	v_mov_b32_e32 v1, 0x7f800001
	s_xor_b32 exec_lo, exec_lo, s24
	s_cbranch_execnz .LBB18_495
.LBB18_475:
	s_or_b32 exec_lo, exec_lo, s24
	s_and_saveexec_b32 s24, s23
	s_cbranch_execz .LBB18_477
.LBB18_476:
	v_and_b32_e32 v1, 0xffff, v3
	s_delay_alu instid0(VALU_DEP_1) | instskip(SKIP_1) | instid1(VALU_DEP_2)
	v_and_b32_e32 v6, 3, v1
	v_bfe_u32 v9, v1, 2, 5
	v_clz_i32_u32_e32 v7, v6
	s_delay_alu instid0(VALU_DEP_2) | instskip(NEXT) | instid1(VALU_DEP_2)
	v_cmp_eq_u32_e32 vcc_lo, 0, v9
	v_min_u32_e32 v7, 32, v7
	s_delay_alu instid0(VALU_DEP_1) | instskip(NEXT) | instid1(VALU_DEP_1)
	v_subrev_nc_u32_e32 v8, 29, v7
	v_dual_lshlrev_b32 v1, v8, v1 :: v_dual_sub_nc_u32 v7, 30, v7
	s_delay_alu instid0(VALU_DEP_1) | instskip(NEXT) | instid1(VALU_DEP_1)
	v_dual_lshlrev_b32 v3, 24, v3 :: v_dual_bitop2_b32 v1, 3, v1 bitop3:0x40
	v_dual_cndmask_b32 v1, v6, v1, vcc_lo :: v_dual_cndmask_b32 v7, v9, v7, vcc_lo
	s_delay_alu instid0(VALU_DEP_2) | instskip(NEXT) | instid1(VALU_DEP_2)
	v_and_b32_e32 v3, 0x80000000, v3
	v_lshlrev_b32_e32 v1, 21, v1
	s_delay_alu instid0(VALU_DEP_3) | instskip(NEXT) | instid1(VALU_DEP_1)
	v_lshl_add_u32 v6, v7, 23, 0x37800000
	v_or3_b32 v1, v3, v6, v1
.LBB18_477:
	s_or_b32 exec_lo, exec_lo, s24
	s_mov_b32 s23, 0
	s_branch .LBB18_483
.LBB18_478:
	s_mov_b32 s24, -1
                                        ; implicit-def: $vgpr1
	s_branch .LBB18_489
.LBB18_479:
	s_or_saveexec_b32 s24, s24
	v_mov_b32_e32 v1, 0x7f800001
	s_xor_b32 exec_lo, exec_lo, s24
	s_cbranch_execz .LBB18_462
.LBB18_480:
	v_cmp_ne_u16_e32 vcc_lo, 0, v3
	v_mov_b32_e32 v1, 0
	s_and_not1_b32 s23, s23, exec_lo
	s_and_b32 s25, vcc_lo, exec_lo
	s_delay_alu instid0(SALU_CYCLE_1)
	s_or_b32 s23, s23, s25
	s_or_b32 exec_lo, exec_lo, s24
	s_and_saveexec_b32 s24, s23
	s_cbranch_execnz .LBB18_463
	s_branch .LBB18_464
.LBB18_481:
	s_mov_b32 s23, -1
                                        ; implicit-def: $vgpr1
	s_branch .LBB18_486
.LBB18_482:
	s_mov_b32 s23, -1
                                        ; implicit-def: $vgpr1
.LBB18_483:
	s_delay_alu instid0(SALU_CYCLE_1)
	s_and_b32 vcc_lo, exec_lo, s23
	s_cbranch_vccz .LBB18_485
; %bb.484:
	s_wait_loadcnt 0x0
	global_load_u8 v1, v[4:5], off
	s_wait_loadcnt 0x0
	v_lshlrev_b32_e32 v1, 24, v1
	s_delay_alu instid0(VALU_DEP_1) | instskip(NEXT) | instid1(VALU_DEP_1)
	v_and_b32_e32 v3, 0x7f000000, v1
	v_clz_i32_u32_e32 v6, v3
	v_cmp_ne_u32_e32 vcc_lo, 0, v3
	v_add_nc_u32_e32 v8, 0x1000000, v3
	s_delay_alu instid0(VALU_DEP_3) | instskip(NEXT) | instid1(VALU_DEP_1)
	v_min_u32_e32 v6, 32, v6
	v_sub_nc_u32_e64 v6, v6, 4 clamp
	s_delay_alu instid0(VALU_DEP_1) | instskip(NEXT) | instid1(VALU_DEP_1)
	v_dual_lshlrev_b32 v7, v6, v3 :: v_dual_lshlrev_b32 v6, 23, v6
	v_lshrrev_b32_e32 v7, 4, v7
	s_delay_alu instid0(VALU_DEP_1) | instskip(NEXT) | instid1(VALU_DEP_1)
	v_dual_sub_nc_u32 v6, v7, v6 :: v_dual_ashrrev_i32 v7, 8, v8
	v_add_nc_u32_e32 v6, 0x3c000000, v6
	s_delay_alu instid0(VALU_DEP_1) | instskip(NEXT) | instid1(VALU_DEP_1)
	v_and_or_b32 v6, 0x7f800000, v7, v6
	v_cndmask_b32_e32 v3, 0, v6, vcc_lo
	s_delay_alu instid0(VALU_DEP_1)
	v_and_or_b32 v1, 0x80000000, v1, v3
.LBB18_485:
	s_mov_b32 s23, 0
.LBB18_486:
	s_delay_alu instid0(SALU_CYCLE_1)
	s_and_not1_b32 vcc_lo, exec_lo, s23
	s_cbranch_vccnz .LBB18_488
; %bb.487:
	s_wait_loadcnt 0x0
	global_load_u8 v1, v[4:5], off
	s_wait_loadcnt 0x0
	v_lshlrev_b32_e32 v3, 25, v1
	v_lshlrev_b16 v1, 8, v1
	s_delay_alu instid0(VALU_DEP_1) | instskip(SKIP_1) | instid1(VALU_DEP_2)
	v_and_or_b32 v7, 0x7f00, v1, 0.5
	v_bfe_i32 v1, v1, 0, 16
	v_add_f32_e32 v7, -0.5, v7
	v_lshrrev_b32_e32 v6, 4, v3
	v_cmp_gt_u32_e32 vcc_lo, 0x8000000, v3
	s_delay_alu instid0(VALU_DEP_2) | instskip(NEXT) | instid1(VALU_DEP_1)
	v_or_b32_e32 v6, 0x70000000, v6
	v_mul_f32_e32 v6, 0x7800000, v6
	s_delay_alu instid0(VALU_DEP_1) | instskip(NEXT) | instid1(VALU_DEP_1)
	v_cndmask_b32_e32 v3, v6, v7, vcc_lo
	v_and_or_b32 v1, 0x80000000, v1, v3
.LBB18_488:
	s_mov_b32 s24, 0
	s_mov_b32 s23, -1
.LBB18_489:
	s_and_not1_b32 vcc_lo, exec_lo, s24
	s_cbranch_vccnz .LBB18_502
; %bb.490:
	s_cmp_gt_i32 s0, 14
	s_cbranch_scc0 .LBB18_493
; %bb.491:
	s_cmp_eq_u32 s0, 15
	s_cbranch_scc0 .LBB18_496
; %bb.492:
	s_wait_loadcnt 0x0
	global_load_u16 v1, v[4:5], off
	s_mov_b32 s23, -1
	s_mov_b32 s22, 0
	s_wait_loadcnt 0x0
	v_lshlrev_b32_e32 v1, 16, v1
	s_branch .LBB18_497
.LBB18_493:
	s_mov_b32 s24, -1
                                        ; implicit-def: $vgpr1
	s_branch .LBB18_498
.LBB18_494:
	s_or_saveexec_b32 s24, s24
	v_mov_b32_e32 v1, 0x7f800001
	s_xor_b32 exec_lo, exec_lo, s24
	s_cbranch_execz .LBB18_475
.LBB18_495:
	v_cmp_ne_u16_e32 vcc_lo, 0, v3
	v_mov_b32_e32 v1, 0
	s_and_not1_b32 s23, s23, exec_lo
	s_and_b32 s25, vcc_lo, exec_lo
	s_delay_alu instid0(SALU_CYCLE_1)
	s_or_b32 s23, s23, s25
	s_or_b32 exec_lo, exec_lo, s24
	s_and_saveexec_b32 s24, s23
	s_cbranch_execnz .LBB18_476
	s_branch .LBB18_477
.LBB18_496:
	s_mov_b32 s22, -1
                                        ; implicit-def: $vgpr1
.LBB18_497:
	s_mov_b32 s24, 0
.LBB18_498:
	s_delay_alu instid0(SALU_CYCLE_1)
	s_and_b32 vcc_lo, exec_lo, s24
	s_cbranch_vccz .LBB18_502
; %bb.499:
	s_cmp_eq_u32 s0, 11
	s_cbranch_scc0 .LBB18_501
; %bb.500:
	s_wait_loadcnt 0x0
	global_load_u8 v1, v[4:5], off
	s_mov_b32 s22, 0
	s_mov_b32 s23, -1
	s_wait_loadcnt 0x0
	v_cmp_ne_u16_e32 vcc_lo, 0, v1
	v_cndmask_b32_e64 v1, 0, 1.0, vcc_lo
	s_branch .LBB18_502
.LBB18_501:
	s_mov_b32 s22, -1
                                        ; implicit-def: $vgpr1
.LBB18_502:
	s_branch .LBB18_300
.LBB18_503:
	s_cmp_lt_i32 s0, 5
	s_cbranch_scc1 .LBB18_508
; %bb.504:
	s_cmp_lt_i32 s0, 8
	s_cbranch_scc1 .LBB18_509
; %bb.505:
	s_cmp_lt_i32 s0, 9
	s_cbranch_scc1 .LBB18_510
; %bb.506:
	s_cmp_gt_i32 s0, 9
	s_cbranch_scc0 .LBB18_511
; %bb.507:
	global_load_b64 v[6:7], v[4:5], off
	s_mov_b32 s23, 0
	s_wait_loadcnt 0x0
	v_cvt_f32_f64_e32 v1, v[6:7]
	s_branch .LBB18_512
.LBB18_508:
	s_mov_b32 s23, -1
                                        ; implicit-def: $vgpr1
	s_branch .LBB18_530
.LBB18_509:
	s_mov_b32 s23, -1
                                        ; implicit-def: $vgpr1
	s_branch .LBB18_518
.LBB18_510:
	s_mov_b32 s23, -1
                                        ; implicit-def: $vgpr1
	s_branch .LBB18_515
.LBB18_511:
	s_mov_b32 s23, -1
                                        ; implicit-def: $vgpr1
.LBB18_512:
	s_delay_alu instid0(SALU_CYCLE_1)
	s_and_not1_b32 vcc_lo, exec_lo, s23
	s_cbranch_vccnz .LBB18_514
; %bb.513:
	s_wait_loadcnt 0x0
	global_load_b32 v1, v[4:5], off
.LBB18_514:
	s_mov_b32 s23, 0
.LBB18_515:
	s_delay_alu instid0(SALU_CYCLE_1)
	s_and_not1_b32 vcc_lo, exec_lo, s23
	s_cbranch_vccnz .LBB18_517
; %bb.516:
	s_wait_loadcnt 0x0
	global_load_b32 v1, v[4:5], off
	s_wait_loadcnt 0x0
	v_cvt_f32_f16_e32 v1, v1
.LBB18_517:
	s_mov_b32 s23, 0
.LBB18_518:
	s_delay_alu instid0(SALU_CYCLE_1)
	s_and_not1_b32 vcc_lo, exec_lo, s23
	s_cbranch_vccnz .LBB18_529
; %bb.519:
	s_cmp_lt_i32 s0, 6
	s_cbranch_scc1 .LBB18_522
; %bb.520:
	s_cmp_gt_i32 s0, 6
	s_cbranch_scc0 .LBB18_523
; %bb.521:
	global_load_b64 v[6:7], v[4:5], off
	s_mov_b32 s23, 0
	s_wait_loadcnt 0x0
	v_cvt_f32_f64_e32 v1, v[6:7]
	s_branch .LBB18_524
.LBB18_522:
	s_mov_b32 s23, -1
                                        ; implicit-def: $vgpr1
	s_branch .LBB18_527
.LBB18_523:
	s_mov_b32 s23, -1
                                        ; implicit-def: $vgpr1
.LBB18_524:
	s_delay_alu instid0(SALU_CYCLE_1)
	s_and_not1_b32 vcc_lo, exec_lo, s23
	s_cbranch_vccnz .LBB18_526
; %bb.525:
	s_wait_loadcnt 0x0
	global_load_b32 v1, v[4:5], off
.LBB18_526:
	s_mov_b32 s23, 0
.LBB18_527:
	s_delay_alu instid0(SALU_CYCLE_1)
	s_and_not1_b32 vcc_lo, exec_lo, s23
	s_cbranch_vccnz .LBB18_529
; %bb.528:
	s_wait_loadcnt 0x0
	global_load_u16 v1, v[4:5], off
	s_wait_loadcnt 0x0
	v_cvt_f32_f16_e32 v1, v1
.LBB18_529:
	s_mov_b32 s23, 0
.LBB18_530:
	s_delay_alu instid0(SALU_CYCLE_1)
	s_and_not1_b32 vcc_lo, exec_lo, s23
	s_cbranch_vccnz .LBB18_550
; %bb.531:
	s_cmp_lt_i32 s0, 2
	s_cbranch_scc1 .LBB18_535
; %bb.532:
	s_cmp_lt_i32 s0, 3
	s_cbranch_scc1 .LBB18_536
; %bb.533:
	s_cmp_gt_i32 s0, 3
	s_cbranch_scc0 .LBB18_537
; %bb.534:
	global_load_b64 v[6:7], v[4:5], off
	s_mov_b32 s23, 0
	s_wait_loadcnt 0x0
	v_xor_b32_e32 v1, v6, v7
	v_cls_i32_e32 v3, v7
	s_delay_alu instid0(VALU_DEP_2) | instskip(NEXT) | instid1(VALU_DEP_1)
	v_ashrrev_i32_e32 v1, 31, v1
	v_add_nc_u32_e32 v1, 32, v1
	s_delay_alu instid0(VALU_DEP_1) | instskip(NEXT) | instid1(VALU_DEP_1)
	v_add_min_u32_e64 v1, v3, -1, v1
	v_lshlrev_b64_e32 v[6:7], v1, v[6:7]
	v_sub_nc_u32_e32 v1, 32, v1
	s_delay_alu instid0(VALU_DEP_2) | instskip(NEXT) | instid1(VALU_DEP_1)
	v_min_u32_e32 v3, 1, v6
	v_or_b32_e32 v3, v7, v3
	s_delay_alu instid0(VALU_DEP_1) | instskip(NEXT) | instid1(VALU_DEP_1)
	v_cvt_f32_i32_e32 v3, v3
	v_ldexp_f32 v1, v3, v1
	s_branch .LBB18_538
.LBB18_535:
	s_mov_b32 s23, -1
                                        ; implicit-def: $vgpr1
	s_branch .LBB18_544
.LBB18_536:
	s_mov_b32 s23, -1
                                        ; implicit-def: $vgpr1
	s_branch .LBB18_541
.LBB18_537:
	s_mov_b32 s23, -1
                                        ; implicit-def: $vgpr1
.LBB18_538:
	s_delay_alu instid0(SALU_CYCLE_1)
	s_and_not1_b32 vcc_lo, exec_lo, s23
	s_cbranch_vccnz .LBB18_540
; %bb.539:
	s_wait_loadcnt 0x0
	global_load_b32 v1, v[4:5], off
	s_wait_loadcnt 0x0
	v_cvt_f32_i32_e32 v1, v1
.LBB18_540:
	s_mov_b32 s23, 0
.LBB18_541:
	s_delay_alu instid0(SALU_CYCLE_1)
	s_and_not1_b32 vcc_lo, exec_lo, s23
	s_cbranch_vccnz .LBB18_543
; %bb.542:
	s_wait_loadcnt 0x0
	global_load_i16 v1, v[4:5], off
	s_wait_loadcnt 0x0
	v_cvt_f32_i32_e32 v1, v1
.LBB18_543:
	s_mov_b32 s23, 0
.LBB18_544:
	s_delay_alu instid0(SALU_CYCLE_1)
	s_and_not1_b32 vcc_lo, exec_lo, s23
	s_cbranch_vccnz .LBB18_550
; %bb.545:
	s_cmp_gt_i32 s0, 0
	s_mov_b32 s0, 0
	s_cbranch_scc0 .LBB18_547
; %bb.546:
	s_wait_loadcnt 0x0
	global_load_i8 v1, v[4:5], off
	s_wait_loadcnt 0x0
	v_cvt_f32_i32_e32 v1, v1
	s_branch .LBB18_548
.LBB18_547:
	s_mov_b32 s0, -1
                                        ; implicit-def: $vgpr1
.LBB18_548:
	s_delay_alu instid0(SALU_CYCLE_1)
	s_and_not1_b32 vcc_lo, exec_lo, s0
	s_cbranch_vccnz .LBB18_550
; %bb.549:
	s_wait_loadcnt 0x0
	global_load_u8 v1, v[4:5], off
	s_wait_loadcnt 0x0
	v_cvt_f32_ubyte0_e32 v1, v1
.LBB18_550:
	s_branch .LBB18_301
.LBB18_551:
	s_mov_b32 s23, 0
	s_mov_b32 s0, s39
.LBB18_552:
                                        ; implicit-def: $vgpr0
.LBB18_553:
	s_and_not1_b32 s24, s39, exec_lo
	s_and_b32 s0, s0, exec_lo
	s_and_not1_b32 s25, s40, exec_lo
	s_and_b32 s22, s22, exec_lo
	s_or_b32 s43, s24, s0
	s_or_b32 s42, s25, s22
	s_or_not1_b32 s0, s23, exec_lo
.LBB18_554:
	s_wait_xcnt 0x0
	s_or_b32 exec_lo, exec_lo, s44
	s_mov_b32 s22, 0
	s_mov_b32 s23, 0
	;; [unrolled: 1-line block ×3, first 2 shown]
                                        ; implicit-def: $vgpr4_vgpr5
                                        ; implicit-def: $vgpr2
                                        ; implicit-def: $vgpr1
	s_and_saveexec_b32 s44, s0
	s_cbranch_execz .LBB18_939
; %bb.555:
	s_mov_b32 s25, -1
	s_mov_b32 s0, s42
	s_mov_b32 s26, s43
	s_mov_b32 s45, exec_lo
	v_cmpx_gt_i32_e64 s36, v0
	s_cbranch_execz .LBB18_836
; %bb.556:
	s_and_not1_b32 vcc_lo, exec_lo, s31
	s_cbranch_vccnz .LBB18_562
; %bb.557:
	s_and_not1_b32 vcc_lo, exec_lo, s38
	s_cbranch_vccnz .LBB18_563
; %bb.558:
	s_add_co_i32 s0, s37, 1
	s_cmp_eq_u32 s29, 2
	s_cbranch_scc1 .LBB18_564
; %bb.559:
	v_dual_mov_b32 v2, 0 :: v_dual_mov_b32 v4, 0
	s_wait_loadcnt 0x0
	v_mov_b32_e32 v1, v0
	s_and_b32 s22, s0, 28
	s_mov_b64 s[24:25], s[2:3]
	s_mov_b64 s[26:27], s[20:21]
.LBB18_560:                             ; =>This Inner Loop Header: Depth=1
	s_clause 0x1
	s_load_b256 s[48:55], s[24:25], 0x4
	s_load_b128 s[64:67], s[24:25], 0x24
	s_load_b256 s[56:63], s[26:27], 0x0
	s_add_co_i32 s23, s23, 4
	s_wait_xcnt 0x0
	s_add_nc_u64 s[24:25], s[24:25], 48
	s_cmp_eq_u32 s22, s23
	s_add_nc_u64 s[26:27], s[26:27], 32
	s_wait_kmcnt 0x0
	v_mul_hi_u32 v3, s49, v1
	s_delay_alu instid0(VALU_DEP_1) | instskip(NEXT) | instid1(VALU_DEP_1)
	v_add_nc_u32_e32 v3, v1, v3
	v_lshrrev_b32_e32 v3, s50, v3
	s_delay_alu instid0(VALU_DEP_1) | instskip(NEXT) | instid1(VALU_DEP_1)
	v_mul_hi_u32 v5, s52, v3
	v_add_nc_u32_e32 v5, v3, v5
	s_delay_alu instid0(VALU_DEP_1) | instskip(NEXT) | instid1(VALU_DEP_1)
	v_lshrrev_b32_e32 v5, s53, v5
	v_mul_hi_u32 v6, s55, v5
	s_delay_alu instid0(VALU_DEP_1) | instskip(SKIP_1) | instid1(VALU_DEP_1)
	v_add_nc_u32_e32 v6, v5, v6
	v_mul_lo_u32 v7, v3, s48
	v_sub_nc_u32_e32 v1, v1, v7
	v_mul_lo_u32 v7, v5, s51
	s_delay_alu instid0(VALU_DEP_4) | instskip(NEXT) | instid1(VALU_DEP_3)
	v_lshrrev_b32_e32 v6, s64, v6
	v_mad_u32 v4, v1, s57, v4
	v_mad_u32 v1, v1, s56, v2
	s_delay_alu instid0(VALU_DEP_4) | instskip(NEXT) | instid1(VALU_DEP_4)
	v_sub_nc_u32_e32 v2, v3, v7
	v_mul_hi_u32 v8, s66, v6
	v_mul_lo_u32 v3, v6, s54
	s_delay_alu instid0(VALU_DEP_3) | instskip(SKIP_1) | instid1(VALU_DEP_3)
	v_mad_u32 v4, v2, s59, v4
	v_mad_u32 v2, v2, s58, v1
	v_dual_add_nc_u32 v7, v6, v8 :: v_dual_sub_nc_u32 v3, v5, v3
	s_delay_alu instid0(VALU_DEP_1) | instskip(NEXT) | instid1(VALU_DEP_2)
	v_lshrrev_b32_e32 v1, s67, v7
	v_mad_u32 v4, v3, s61, v4
	s_delay_alu instid0(VALU_DEP_4) | instskip(NEXT) | instid1(VALU_DEP_3)
	v_mad_u32 v2, v3, s60, v2
	v_mul_lo_u32 v5, v1, s65
	s_delay_alu instid0(VALU_DEP_1) | instskip(NEXT) | instid1(VALU_DEP_1)
	v_sub_nc_u32_e32 v3, v6, v5
	v_mad_u32 v4, v3, s63, v4
	s_delay_alu instid0(VALU_DEP_4)
	v_mad_u32 v2, v3, s62, v2
	s_cbranch_scc0 .LBB18_560
; %bb.561:
	s_delay_alu instid0(VALU_DEP_2)
	v_mov_b32_e32 v3, v4
	s_branch .LBB18_565
.LBB18_562:
	s_mov_b32 s0, -1
                                        ; implicit-def: $vgpr4
                                        ; implicit-def: $vgpr2
	s_branch .LBB18_570
.LBB18_563:
	v_dual_mov_b32 v4, 0 :: v_dual_mov_b32 v2, 0
	s_branch .LBB18_569
.LBB18_564:
	v_mov_b64_e32 v[2:3], 0
	s_wait_loadcnt 0x0
	v_mov_b32_e32 v1, v0
                                        ; implicit-def: $vgpr4
.LBB18_565:
	s_and_b32 s0, s0, 3
	s_mov_b32 s23, 0
	s_cmp_eq_u32 s0, 0
	s_cbranch_scc1 .LBB18_569
; %bb.566:
	s_lshl_b32 s24, s22, 3
	s_mov_b32 s25, s23
	s_mul_u64 s[26:27], s[22:23], 12
	s_add_nc_u64 s[24:25], s[2:3], s[24:25]
	s_delay_alu instid0(SALU_CYCLE_1)
	s_add_nc_u64 s[22:23], s[24:25], 0xc4
	s_add_nc_u64 s[24:25], s[2:3], s[26:27]
.LBB18_567:                             ; =>This Inner Loop Header: Depth=1
	s_load_b96 s[48:50], s[24:25], 0x4
	s_load_b64 s[26:27], s[22:23], 0x0
	s_add_co_i32 s0, s0, -1
	s_wait_xcnt 0x0
	s_add_nc_u64 s[24:25], s[24:25], 12
	s_cmp_lg_u32 s0, 0
	s_add_nc_u64 s[22:23], s[22:23], 8
	s_wait_kmcnt 0x0
	v_mul_hi_u32 v4, s49, v1
	s_delay_alu instid0(VALU_DEP_1) | instskip(NEXT) | instid1(VALU_DEP_1)
	v_add_nc_u32_e32 v4, v1, v4
	v_lshrrev_b32_e32 v4, s50, v4
	s_delay_alu instid0(VALU_DEP_1) | instskip(NEXT) | instid1(VALU_DEP_1)
	v_mul_lo_u32 v5, v4, s48
	v_sub_nc_u32_e32 v1, v1, v5
	s_delay_alu instid0(VALU_DEP_1)
	v_mad_u32 v3, v1, s27, v3
	v_mad_u32 v2, v1, s26, v2
	v_mov_b32_e32 v1, v4
	s_cbranch_scc1 .LBB18_567
; %bb.568:
	s_delay_alu instid0(VALU_DEP_3)
	v_mov_b32_e32 v4, v3
.LBB18_569:
	s_mov_b32 s0, 0
.LBB18_570:
	s_delay_alu instid0(SALU_CYCLE_1)
	s_and_not1_b32 vcc_lo, exec_lo, s0
	s_cbranch_vccnz .LBB18_573
; %bb.571:
	s_wait_loadcnt 0x0
	v_mov_b32_e32 v1, 0
	s_and_not1_b32 vcc_lo, exec_lo, s35
	s_delay_alu instid0(VALU_DEP_1) | instskip(NEXT) | instid1(VALU_DEP_1)
	v_mul_u64_e32 v[2:3], s[16:17], v[0:1]
	v_add_nc_u32_e32 v2, v0, v3
	s_delay_alu instid0(VALU_DEP_1) | instskip(NEXT) | instid1(VALU_DEP_1)
	v_lshrrev_b32_e32 v6, s14, v2
	v_mul_lo_u32 v2, v6, s12
	s_delay_alu instid0(VALU_DEP_1) | instskip(NEXT) | instid1(VALU_DEP_1)
	v_sub_nc_u32_e32 v2, v0, v2
	v_mul_lo_u32 v4, v2, s9
	v_mul_lo_u32 v2, v2, s8
	s_cbranch_vccnz .LBB18_573
; %bb.572:
	v_mov_b32_e32 v7, v1
	s_delay_alu instid0(VALU_DEP_1) | instskip(NEXT) | instid1(VALU_DEP_1)
	v_mul_u64_e32 v[8:9], s[18:19], v[6:7]
	v_add_nc_u32_e32 v1, v6, v9
	s_delay_alu instid0(VALU_DEP_1) | instskip(NEXT) | instid1(VALU_DEP_1)
	v_lshrrev_b32_e32 v1, s1, v1
	v_mul_lo_u32 v1, v1, s15
	s_delay_alu instid0(VALU_DEP_1) | instskip(NEXT) | instid1(VALU_DEP_1)
	v_sub_nc_u32_e32 v1, v6, v1
	v_mad_u32 v2, v1, s10, v2
	v_mad_u32 v4, v1, s11, v4
.LBB18_573:
	v_mov_b32_e32 v5, 0
	s_and_b32 s0, 0xffff, s13
	s_delay_alu instid0(SALU_CYCLE_1) | instskip(NEXT) | instid1(VALU_DEP_1)
	s_cmp_lt_i32 s0, 11
	v_add_nc_u64_e32 v[4:5], s[6:7], v[4:5]
	s_cbranch_scc1 .LBB18_580
; %bb.574:
	s_cmp_gt_i32 s0, 25
	s_cbranch_scc0 .LBB18_581
; %bb.575:
	s_cmp_gt_i32 s0, 28
	s_cbranch_scc0 .LBB18_582
	;; [unrolled: 3-line block ×4, first 2 shown]
; %bb.578:
	s_cmp_eq_u32 s0, 46
	s_mov_b32 s24, 0
	s_cbranch_scc0 .LBB18_589
; %bb.579:
	s_wait_loadcnt 0x0
	global_load_b32 v1, v[4:5], off
	s_mov_b32 s23, -1
	s_mov_b32 s22, 0
	s_wait_loadcnt 0x0
	v_lshlrev_b32_e32 v1, 16, v1
	s_branch .LBB18_591
.LBB18_580:
	s_mov_b32 s24, -1
	s_mov_b32 s23, 0
	s_mov_b32 s22, s42
                                        ; implicit-def: $vgpr1
	s_branch .LBB18_656
.LBB18_581:
	s_mov_b32 s24, -1
	s_mov_b32 s23, 0
	s_mov_b32 s22, s42
                                        ; implicit-def: $vgpr1
	s_branch .LBB18_620
.LBB18_582:
	s_mov_b32 s24, -1
	s_mov_b32 s23, 0
	s_mov_b32 s22, s42
                                        ; implicit-def: $vgpr1
	s_branch .LBB18_601
.LBB18_583:
	s_mov_b32 s24, -1
	s_mov_b32 s23, 0
	s_mov_b32 s22, s42
                                        ; implicit-def: $vgpr1
	s_branch .LBB18_596
.LBB18_584:
	s_and_not1_saveexec_b32 s27, s27
	s_cbranch_execz .LBB18_351
.LBB18_585:
	v_add_f32_e64 v1, 0x46000000, |v4|
	s_and_not1_b32 s26, s26, exec_lo
	s_delay_alu instid0(VALU_DEP_1) | instskip(NEXT) | instid1(VALU_DEP_1)
	v_and_b32_e32 v1, 0xff, v1
	v_cmp_ne_u32_e32 vcc_lo, 0, v1
	s_and_b32 s42, vcc_lo, exec_lo
	s_delay_alu instid0(SALU_CYCLE_1)
	s_or_b32 s26, s26, s42
	s_or_b32 exec_lo, exec_lo, s27
	v_mov_b32_e32 v5, 0
	s_and_saveexec_b32 s27, s26
	s_cbranch_execnz .LBB18_352
	s_branch .LBB18_353
.LBB18_586:
	s_mov_b32 s24, -1
	s_mov_b32 s23, 0
	s_mov_b32 s22, s42
	s_branch .LBB18_590
.LBB18_587:
	s_and_not1_saveexec_b32 s27, s27
	s_cbranch_execz .LBB18_364
.LBB18_588:
	v_add_f32_e64 v1, 0x42800000, |v4|
	s_and_not1_b32 s26, s26, exec_lo
	s_delay_alu instid0(VALU_DEP_1) | instskip(NEXT) | instid1(VALU_DEP_1)
	v_and_b32_e32 v1, 0xff, v1
	v_cmp_ne_u32_e32 vcc_lo, 0, v1
	s_and_b32 s42, vcc_lo, exec_lo
	s_delay_alu instid0(SALU_CYCLE_1)
	s_or_b32 s26, s26, s42
	s_or_b32 exec_lo, exec_lo, s27
	v_mov_b32_e32 v5, 0
	s_and_saveexec_b32 s27, s26
	s_cbranch_execnz .LBB18_365
	s_branch .LBB18_366
.LBB18_589:
	s_mov_b32 s22, -1
	s_mov_b32 s23, 0
.LBB18_590:
                                        ; implicit-def: $vgpr1
.LBB18_591:
	s_and_b32 vcc_lo, exec_lo, s24
	s_cbranch_vccz .LBB18_595
; %bb.592:
	s_cmp_eq_u32 s0, 44
	s_cbranch_scc0 .LBB18_594
; %bb.593:
	s_wait_loadcnt 0x0
	global_load_u8 v1, v[4:5], off
	s_mov_b32 s22, 0
	s_mov_b32 s23, -1
	s_wait_loadcnt 0x0
	v_lshlrev_b32_e32 v3, 23, v1
	v_cmp_ne_u32_e32 vcc_lo, 0xff, v1
	s_delay_alu instid0(VALU_DEP_2) | instskip(SKIP_1) | instid1(VALU_DEP_2)
	v_cndmask_b32_e32 v3, 0x7f800001, v3, vcc_lo
	v_cmp_ne_u32_e32 vcc_lo, 0, v1
	v_cndmask_b32_e32 v1, 0x400000, v3, vcc_lo
	s_branch .LBB18_595
.LBB18_594:
	s_mov_b32 s22, -1
                                        ; implicit-def: $vgpr1
.LBB18_595:
	s_mov_b32 s24, 0
.LBB18_596:
	s_delay_alu instid0(SALU_CYCLE_1)
	s_and_b32 vcc_lo, exec_lo, s24
	s_cbranch_vccz .LBB18_600
; %bb.597:
	s_cmp_eq_u32 s0, 29
	s_cbranch_scc0 .LBB18_599
; %bb.598:
	global_load_b64 v[6:7], v[4:5], off
	s_mov_b32 s23, -1
	s_mov_b32 s22, 0
	s_mov_b32 s24, 0
	s_wait_loadcnt 0x0
	v_clz_i32_u32_e32 v1, v7
	s_delay_alu instid0(VALU_DEP_1) | instskip(NEXT) | instid1(VALU_DEP_1)
	v_min_u32_e32 v1, 32, v1
	v_lshlrev_b64_e32 v[6:7], v1, v[6:7]
	v_sub_nc_u32_e32 v1, 32, v1
	s_delay_alu instid0(VALU_DEP_2) | instskip(NEXT) | instid1(VALU_DEP_1)
	v_min_u32_e32 v3, 1, v6
	v_or_b32_e32 v3, v7, v3
	s_delay_alu instid0(VALU_DEP_1) | instskip(NEXT) | instid1(VALU_DEP_1)
	v_cvt_f32_u32_e32 v3, v3
	v_ldexp_f32 v1, v3, v1
	s_branch .LBB18_601
.LBB18_599:
	s_mov_b32 s22, -1
                                        ; implicit-def: $vgpr1
.LBB18_600:
	s_mov_b32 s24, 0
.LBB18_601:
	s_delay_alu instid0(SALU_CYCLE_1)
	s_and_b32 vcc_lo, exec_lo, s24
	s_cbranch_vccz .LBB18_619
; %bb.602:
	s_cmp_lt_i32 s0, 27
	s_cbranch_scc1 .LBB18_605
; %bb.603:
	s_cmp_gt_i32 s0, 27
	s_cbranch_scc0 .LBB18_606
; %bb.604:
	s_wait_loadcnt 0x0
	global_load_b32 v1, v[4:5], off
	s_mov_b32 s23, 0
	s_wait_loadcnt 0x0
	v_cvt_f32_u32_e32 v1, v1
	s_branch .LBB18_607
.LBB18_605:
	s_mov_b32 s23, -1
                                        ; implicit-def: $vgpr1
	s_branch .LBB18_610
.LBB18_606:
	s_mov_b32 s23, -1
                                        ; implicit-def: $vgpr1
.LBB18_607:
	s_delay_alu instid0(SALU_CYCLE_1)
	s_and_not1_b32 vcc_lo, exec_lo, s23
	s_cbranch_vccnz .LBB18_609
; %bb.608:
	s_wait_loadcnt 0x0
	global_load_u16 v1, v[4:5], off
	s_wait_loadcnt 0x0
	v_cvt_f32_u32_e32 v1, v1
.LBB18_609:
	s_mov_b32 s23, 0
.LBB18_610:
	s_delay_alu instid0(SALU_CYCLE_1)
	s_and_not1_b32 vcc_lo, exec_lo, s23
	s_cbranch_vccnz .LBB18_618
; %bb.611:
	global_load_u8 v3, v[4:5], off
	s_mov_b32 s23, 0
	s_mov_b32 s24, exec_lo
	s_wait_loadcnt 0x0
	v_cmpx_lt_i16_e32 0x7f, v3
	s_xor_b32 s24, exec_lo, s24
	s_cbranch_execz .LBB18_632
; %bb.612:
	s_mov_b32 s23, -1
	s_mov_b32 s25, exec_lo
	v_cmpx_eq_u16_e32 0x80, v3
; %bb.613:
	s_xor_b32 s23, exec_lo, -1
; %bb.614:
	s_or_b32 exec_lo, exec_lo, s25
	s_delay_alu instid0(SALU_CYCLE_1)
	s_and_b32 s23, s23, exec_lo
	s_or_saveexec_b32 s24, s24
	v_mov_b32_e32 v1, 0x7f800001
	s_xor_b32 exec_lo, exec_lo, s24
	s_cbranch_execnz .LBB18_633
.LBB18_615:
	s_or_b32 exec_lo, exec_lo, s24
	s_and_saveexec_b32 s24, s23
	s_cbranch_execz .LBB18_617
.LBB18_616:
	v_and_b32_e32 v1, 0xffff, v3
	s_delay_alu instid0(VALU_DEP_1) | instskip(SKIP_1) | instid1(VALU_DEP_2)
	v_and_b32_e32 v6, 7, v1
	v_bfe_u32 v9, v1, 3, 4
	v_clz_i32_u32_e32 v7, v6
	s_delay_alu instid0(VALU_DEP_2) | instskip(NEXT) | instid1(VALU_DEP_2)
	v_cmp_eq_u32_e32 vcc_lo, 0, v9
	v_min_u32_e32 v7, 32, v7
	s_delay_alu instid0(VALU_DEP_1) | instskip(NEXT) | instid1(VALU_DEP_1)
	v_subrev_nc_u32_e32 v8, 28, v7
	v_dual_lshlrev_b32 v1, v8, v1 :: v_dual_sub_nc_u32 v7, 29, v7
	s_delay_alu instid0(VALU_DEP_1) | instskip(NEXT) | instid1(VALU_DEP_1)
	v_dual_lshlrev_b32 v3, 24, v3 :: v_dual_bitop2_b32 v1, 7, v1 bitop3:0x40
	v_dual_cndmask_b32 v1, v6, v1, vcc_lo :: v_dual_cndmask_b32 v7, v9, v7, vcc_lo
	s_delay_alu instid0(VALU_DEP_2) | instskip(NEXT) | instid1(VALU_DEP_2)
	v_and_b32_e32 v3, 0x80000000, v3
	v_lshlrev_b32_e32 v1, 20, v1
	s_delay_alu instid0(VALU_DEP_3) | instskip(NEXT) | instid1(VALU_DEP_1)
	v_lshl_add_u32 v6, v7, 23, 0x3b800000
	v_or3_b32 v1, v3, v6, v1
.LBB18_617:
	s_or_b32 exec_lo, exec_lo, s24
.LBB18_618:
	s_mov_b32 s23, -1
.LBB18_619:
	s_mov_b32 s24, 0
.LBB18_620:
	s_delay_alu instid0(SALU_CYCLE_1)
	s_and_b32 vcc_lo, exec_lo, s24
	s_cbranch_vccz .LBB18_655
; %bb.621:
	s_cmp_gt_i32 s0, 22
	s_cbranch_scc0 .LBB18_631
; %bb.622:
	s_cmp_lt_i32 s0, 24
	s_cbranch_scc1 .LBB18_634
; %bb.623:
	s_cmp_gt_i32 s0, 24
	s_cbranch_scc0 .LBB18_635
; %bb.624:
	global_load_u8 v3, v[4:5], off
	s_mov_b32 s23, 0
	s_mov_b32 s24, exec_lo
	s_wait_loadcnt 0x0
	v_cmpx_lt_i16_e32 0x7f, v3
	s_xor_b32 s24, exec_lo, s24
	s_cbranch_execz .LBB18_647
; %bb.625:
	s_mov_b32 s23, -1
	s_mov_b32 s25, exec_lo
	v_cmpx_eq_u16_e32 0x80, v3
; %bb.626:
	s_xor_b32 s23, exec_lo, -1
; %bb.627:
	s_or_b32 exec_lo, exec_lo, s25
	s_delay_alu instid0(SALU_CYCLE_1)
	s_and_b32 s23, s23, exec_lo
	s_or_saveexec_b32 s24, s24
	v_mov_b32_e32 v1, 0x7f800001
	s_xor_b32 exec_lo, exec_lo, s24
	s_cbranch_execnz .LBB18_648
.LBB18_628:
	s_or_b32 exec_lo, exec_lo, s24
	s_and_saveexec_b32 s24, s23
	s_cbranch_execz .LBB18_630
.LBB18_629:
	v_and_b32_e32 v1, 0xffff, v3
	s_delay_alu instid0(VALU_DEP_1) | instskip(SKIP_1) | instid1(VALU_DEP_2)
	v_and_b32_e32 v6, 3, v1
	v_bfe_u32 v9, v1, 2, 5
	v_clz_i32_u32_e32 v7, v6
	s_delay_alu instid0(VALU_DEP_2) | instskip(NEXT) | instid1(VALU_DEP_2)
	v_cmp_eq_u32_e32 vcc_lo, 0, v9
	v_min_u32_e32 v7, 32, v7
	s_delay_alu instid0(VALU_DEP_1) | instskip(NEXT) | instid1(VALU_DEP_1)
	v_subrev_nc_u32_e32 v8, 29, v7
	v_dual_lshlrev_b32 v1, v8, v1 :: v_dual_sub_nc_u32 v7, 30, v7
	s_delay_alu instid0(VALU_DEP_1) | instskip(NEXT) | instid1(VALU_DEP_1)
	v_dual_lshlrev_b32 v3, 24, v3 :: v_dual_bitop2_b32 v1, 3, v1 bitop3:0x40
	v_dual_cndmask_b32 v1, v6, v1, vcc_lo :: v_dual_cndmask_b32 v7, v9, v7, vcc_lo
	s_delay_alu instid0(VALU_DEP_2) | instskip(NEXT) | instid1(VALU_DEP_2)
	v_and_b32_e32 v3, 0x80000000, v3
	v_lshlrev_b32_e32 v1, 21, v1
	s_delay_alu instid0(VALU_DEP_3) | instskip(NEXT) | instid1(VALU_DEP_1)
	v_lshl_add_u32 v6, v7, 23, 0x37800000
	v_or3_b32 v1, v3, v6, v1
.LBB18_630:
	s_or_b32 exec_lo, exec_lo, s24
	s_mov_b32 s23, 0
	s_branch .LBB18_636
.LBB18_631:
	s_mov_b32 s24, -1
                                        ; implicit-def: $vgpr1
	s_branch .LBB18_642
.LBB18_632:
	s_or_saveexec_b32 s24, s24
	v_mov_b32_e32 v1, 0x7f800001
	s_xor_b32 exec_lo, exec_lo, s24
	s_cbranch_execz .LBB18_615
.LBB18_633:
	v_cmp_ne_u16_e32 vcc_lo, 0, v3
	v_mov_b32_e32 v1, 0
	s_and_not1_b32 s23, s23, exec_lo
	s_and_b32 s25, vcc_lo, exec_lo
	s_delay_alu instid0(SALU_CYCLE_1)
	s_or_b32 s23, s23, s25
	s_or_b32 exec_lo, exec_lo, s24
	s_and_saveexec_b32 s24, s23
	s_cbranch_execnz .LBB18_616
	s_branch .LBB18_617
.LBB18_634:
	s_mov_b32 s23, -1
                                        ; implicit-def: $vgpr1
	s_branch .LBB18_639
.LBB18_635:
	s_mov_b32 s23, -1
                                        ; implicit-def: $vgpr1
.LBB18_636:
	s_delay_alu instid0(SALU_CYCLE_1)
	s_and_b32 vcc_lo, exec_lo, s23
	s_cbranch_vccz .LBB18_638
; %bb.637:
	s_wait_loadcnt 0x0
	global_load_u8 v1, v[4:5], off
	s_wait_loadcnt 0x0
	v_lshlrev_b32_e32 v1, 24, v1
	s_delay_alu instid0(VALU_DEP_1) | instskip(NEXT) | instid1(VALU_DEP_1)
	v_and_b32_e32 v3, 0x7f000000, v1
	v_clz_i32_u32_e32 v6, v3
	v_cmp_ne_u32_e32 vcc_lo, 0, v3
	v_add_nc_u32_e32 v8, 0x1000000, v3
	s_delay_alu instid0(VALU_DEP_3) | instskip(NEXT) | instid1(VALU_DEP_1)
	v_min_u32_e32 v6, 32, v6
	v_sub_nc_u32_e64 v6, v6, 4 clamp
	s_delay_alu instid0(VALU_DEP_1) | instskip(NEXT) | instid1(VALU_DEP_1)
	v_dual_lshlrev_b32 v7, v6, v3 :: v_dual_lshlrev_b32 v6, 23, v6
	v_lshrrev_b32_e32 v7, 4, v7
	s_delay_alu instid0(VALU_DEP_1) | instskip(NEXT) | instid1(VALU_DEP_1)
	v_dual_sub_nc_u32 v6, v7, v6 :: v_dual_ashrrev_i32 v7, 8, v8
	v_add_nc_u32_e32 v6, 0x3c000000, v6
	s_delay_alu instid0(VALU_DEP_1) | instskip(NEXT) | instid1(VALU_DEP_1)
	v_and_or_b32 v6, 0x7f800000, v7, v6
	v_cndmask_b32_e32 v3, 0, v6, vcc_lo
	s_delay_alu instid0(VALU_DEP_1)
	v_and_or_b32 v1, 0x80000000, v1, v3
.LBB18_638:
	s_mov_b32 s23, 0
.LBB18_639:
	s_delay_alu instid0(SALU_CYCLE_1)
	s_and_not1_b32 vcc_lo, exec_lo, s23
	s_cbranch_vccnz .LBB18_641
; %bb.640:
	s_wait_loadcnt 0x0
	global_load_u8 v1, v[4:5], off
	s_wait_loadcnt 0x0
	v_lshlrev_b32_e32 v3, 25, v1
	v_lshlrev_b16 v1, 8, v1
	s_delay_alu instid0(VALU_DEP_1) | instskip(SKIP_1) | instid1(VALU_DEP_2)
	v_and_or_b32 v7, 0x7f00, v1, 0.5
	v_bfe_i32 v1, v1, 0, 16
	v_add_f32_e32 v7, -0.5, v7
	v_lshrrev_b32_e32 v6, 4, v3
	v_cmp_gt_u32_e32 vcc_lo, 0x8000000, v3
	s_delay_alu instid0(VALU_DEP_2) | instskip(NEXT) | instid1(VALU_DEP_1)
	v_or_b32_e32 v6, 0x70000000, v6
	v_mul_f32_e32 v6, 0x7800000, v6
	s_delay_alu instid0(VALU_DEP_1) | instskip(NEXT) | instid1(VALU_DEP_1)
	v_cndmask_b32_e32 v3, v6, v7, vcc_lo
	v_and_or_b32 v1, 0x80000000, v1, v3
.LBB18_641:
	s_mov_b32 s24, 0
	s_mov_b32 s23, -1
.LBB18_642:
	s_and_not1_b32 vcc_lo, exec_lo, s24
	s_cbranch_vccnz .LBB18_655
; %bb.643:
	s_cmp_gt_i32 s0, 14
	s_cbranch_scc0 .LBB18_646
; %bb.644:
	s_cmp_eq_u32 s0, 15
	s_cbranch_scc0 .LBB18_649
; %bb.645:
	s_wait_loadcnt 0x0
	global_load_u16 v1, v[4:5], off
	s_mov_b32 s23, -1
	s_mov_b32 s22, 0
	s_wait_loadcnt 0x0
	v_lshlrev_b32_e32 v1, 16, v1
	s_branch .LBB18_650
.LBB18_646:
	s_mov_b32 s24, -1
                                        ; implicit-def: $vgpr1
	s_branch .LBB18_651
.LBB18_647:
	s_or_saveexec_b32 s24, s24
	v_mov_b32_e32 v1, 0x7f800001
	s_xor_b32 exec_lo, exec_lo, s24
	s_cbranch_execz .LBB18_628
.LBB18_648:
	v_cmp_ne_u16_e32 vcc_lo, 0, v3
	v_mov_b32_e32 v1, 0
	s_and_not1_b32 s23, s23, exec_lo
	s_and_b32 s25, vcc_lo, exec_lo
	s_delay_alu instid0(SALU_CYCLE_1)
	s_or_b32 s23, s23, s25
	s_or_b32 exec_lo, exec_lo, s24
	s_and_saveexec_b32 s24, s23
	s_cbranch_execnz .LBB18_629
	s_branch .LBB18_630
.LBB18_649:
	s_mov_b32 s22, -1
                                        ; implicit-def: $vgpr1
.LBB18_650:
	s_mov_b32 s24, 0
.LBB18_651:
	s_delay_alu instid0(SALU_CYCLE_1)
	s_and_b32 vcc_lo, exec_lo, s24
	s_cbranch_vccz .LBB18_655
; %bb.652:
	s_cmp_eq_u32 s0, 11
	s_cbranch_scc0 .LBB18_654
; %bb.653:
	s_wait_loadcnt 0x0
	global_load_u8 v1, v[4:5], off
	s_mov_b32 s22, 0
	s_mov_b32 s23, -1
	s_wait_loadcnt 0x0
	v_cmp_ne_u16_e32 vcc_lo, 0, v1
	v_cndmask_b32_e64 v1, 0, 1.0, vcc_lo
	s_branch .LBB18_655
.LBB18_654:
	s_mov_b32 s22, -1
                                        ; implicit-def: $vgpr1
.LBB18_655:
	s_mov_b32 s24, 0
.LBB18_656:
	s_delay_alu instid0(SALU_CYCLE_1)
	s_and_b32 vcc_lo, exec_lo, s24
	s_cbranch_vccz .LBB18_705
; %bb.657:
	s_cmp_lt_i32 s0, 5
	s_cbranch_scc1 .LBB18_662
; %bb.658:
	s_cmp_lt_i32 s0, 8
	s_cbranch_scc1 .LBB18_663
	;; [unrolled: 3-line block ×3, first 2 shown]
; %bb.660:
	s_cmp_gt_i32 s0, 9
	s_cbranch_scc0 .LBB18_665
; %bb.661:
	global_load_b64 v[6:7], v[4:5], off
	s_mov_b32 s23, 0
	s_wait_loadcnt 0x0
	v_cvt_f32_f64_e32 v1, v[6:7]
	s_branch .LBB18_666
.LBB18_662:
	s_mov_b32 s23, -1
                                        ; implicit-def: $vgpr1
	s_branch .LBB18_684
.LBB18_663:
	s_mov_b32 s23, -1
                                        ; implicit-def: $vgpr1
	s_branch .LBB18_672
.LBB18_664:
	s_mov_b32 s23, -1
                                        ; implicit-def: $vgpr1
	s_branch .LBB18_669
.LBB18_665:
	s_mov_b32 s23, -1
                                        ; implicit-def: $vgpr1
.LBB18_666:
	s_delay_alu instid0(SALU_CYCLE_1)
	s_and_not1_b32 vcc_lo, exec_lo, s23
	s_cbranch_vccnz .LBB18_668
; %bb.667:
	s_wait_loadcnt 0x0
	global_load_b32 v1, v[4:5], off
.LBB18_668:
	s_mov_b32 s23, 0
.LBB18_669:
	s_delay_alu instid0(SALU_CYCLE_1)
	s_and_not1_b32 vcc_lo, exec_lo, s23
	s_cbranch_vccnz .LBB18_671
; %bb.670:
	s_wait_loadcnt 0x0
	global_load_b32 v1, v[4:5], off
	s_wait_loadcnt 0x0
	v_cvt_f32_f16_e32 v1, v1
.LBB18_671:
	s_mov_b32 s23, 0
.LBB18_672:
	s_delay_alu instid0(SALU_CYCLE_1)
	s_and_not1_b32 vcc_lo, exec_lo, s23
	s_cbranch_vccnz .LBB18_683
; %bb.673:
	s_cmp_lt_i32 s0, 6
	s_cbranch_scc1 .LBB18_676
; %bb.674:
	s_cmp_gt_i32 s0, 6
	s_cbranch_scc0 .LBB18_677
; %bb.675:
	global_load_b64 v[6:7], v[4:5], off
	s_mov_b32 s23, 0
	s_wait_loadcnt 0x0
	v_cvt_f32_f64_e32 v1, v[6:7]
	s_branch .LBB18_678
.LBB18_676:
	s_mov_b32 s23, -1
                                        ; implicit-def: $vgpr1
	s_branch .LBB18_681
.LBB18_677:
	s_mov_b32 s23, -1
                                        ; implicit-def: $vgpr1
.LBB18_678:
	s_delay_alu instid0(SALU_CYCLE_1)
	s_and_not1_b32 vcc_lo, exec_lo, s23
	s_cbranch_vccnz .LBB18_680
; %bb.679:
	s_wait_loadcnt 0x0
	global_load_b32 v1, v[4:5], off
.LBB18_680:
	s_mov_b32 s23, 0
.LBB18_681:
	s_delay_alu instid0(SALU_CYCLE_1)
	s_and_not1_b32 vcc_lo, exec_lo, s23
	s_cbranch_vccnz .LBB18_683
; %bb.682:
	s_wait_loadcnt 0x0
	global_load_u16 v1, v[4:5], off
	s_wait_loadcnt 0x0
	v_cvt_f32_f16_e32 v1, v1
.LBB18_683:
	s_mov_b32 s23, 0
.LBB18_684:
	s_delay_alu instid0(SALU_CYCLE_1)
	s_and_not1_b32 vcc_lo, exec_lo, s23
	s_cbranch_vccnz .LBB18_704
; %bb.685:
	s_cmp_lt_i32 s0, 2
	s_cbranch_scc1 .LBB18_689
; %bb.686:
	s_cmp_lt_i32 s0, 3
	s_cbranch_scc1 .LBB18_690
; %bb.687:
	s_cmp_gt_i32 s0, 3
	s_cbranch_scc0 .LBB18_691
; %bb.688:
	global_load_b64 v[6:7], v[4:5], off
	s_mov_b32 s23, 0
	s_wait_loadcnt 0x0
	v_xor_b32_e32 v1, v6, v7
	v_cls_i32_e32 v3, v7
	s_delay_alu instid0(VALU_DEP_2) | instskip(NEXT) | instid1(VALU_DEP_1)
	v_ashrrev_i32_e32 v1, 31, v1
	v_add_nc_u32_e32 v1, 32, v1
	s_delay_alu instid0(VALU_DEP_1) | instskip(NEXT) | instid1(VALU_DEP_1)
	v_add_min_u32_e64 v1, v3, -1, v1
	v_lshlrev_b64_e32 v[6:7], v1, v[6:7]
	v_sub_nc_u32_e32 v1, 32, v1
	s_delay_alu instid0(VALU_DEP_2) | instskip(NEXT) | instid1(VALU_DEP_1)
	v_min_u32_e32 v3, 1, v6
	v_or_b32_e32 v3, v7, v3
	s_delay_alu instid0(VALU_DEP_1) | instskip(NEXT) | instid1(VALU_DEP_1)
	v_cvt_f32_i32_e32 v3, v3
	v_ldexp_f32 v1, v3, v1
	s_branch .LBB18_692
.LBB18_689:
	s_mov_b32 s23, -1
                                        ; implicit-def: $vgpr1
	s_branch .LBB18_698
.LBB18_690:
	s_mov_b32 s23, -1
                                        ; implicit-def: $vgpr1
	s_branch .LBB18_695
.LBB18_691:
	s_mov_b32 s23, -1
                                        ; implicit-def: $vgpr1
.LBB18_692:
	s_delay_alu instid0(SALU_CYCLE_1)
	s_and_not1_b32 vcc_lo, exec_lo, s23
	s_cbranch_vccnz .LBB18_694
; %bb.693:
	s_wait_loadcnt 0x0
	global_load_b32 v1, v[4:5], off
	s_wait_loadcnt 0x0
	v_cvt_f32_i32_e32 v1, v1
.LBB18_694:
	s_mov_b32 s23, 0
.LBB18_695:
	s_delay_alu instid0(SALU_CYCLE_1)
	s_and_not1_b32 vcc_lo, exec_lo, s23
	s_cbranch_vccnz .LBB18_697
; %bb.696:
	s_wait_loadcnt 0x0
	global_load_i16 v1, v[4:5], off
	s_wait_loadcnt 0x0
	v_cvt_f32_i32_e32 v1, v1
.LBB18_697:
	s_mov_b32 s23, 0
.LBB18_698:
	s_delay_alu instid0(SALU_CYCLE_1)
	s_and_not1_b32 vcc_lo, exec_lo, s23
	s_cbranch_vccnz .LBB18_704
; %bb.699:
	s_cmp_gt_i32 s0, 0
	s_mov_b32 s0, 0
	s_cbranch_scc0 .LBB18_701
; %bb.700:
	s_wait_loadcnt 0x0
	global_load_i8 v1, v[4:5], off
	s_wait_loadcnt 0x0
	v_cvt_f32_i32_e32 v1, v1
	s_branch .LBB18_702
.LBB18_701:
	s_mov_b32 s0, -1
                                        ; implicit-def: $vgpr1
.LBB18_702:
	s_delay_alu instid0(SALU_CYCLE_1)
	s_and_not1_b32 vcc_lo, exec_lo, s0
	s_cbranch_vccnz .LBB18_704
; %bb.703:
	s_wait_loadcnt 0x0
	global_load_u8 v1, v[4:5], off
	s_wait_loadcnt 0x0
	v_cvt_f32_ubyte0_e32 v1, v1
.LBB18_704:
	s_mov_b32 s23, -1
.LBB18_705:
	s_delay_alu instid0(SALU_CYCLE_1)
	s_and_not1_b32 vcc_lo, exec_lo, s23
	s_cbranch_vccnz .LBB18_717
; %bb.706:
	s_wait_loadcnt 0x0
	s_delay_alu instid0(VALU_DEP_1) | instskip(SKIP_2) | instid1(SALU_CYCLE_1)
	v_cmp_ge_f32_e64 s0, 0x41000000, |v1|
                                        ; implicit-def: $vgpr4
	s_wait_xcnt 0x0
	s_and_saveexec_b32 s23, s0
	s_xor_b32 s0, exec_lo, s23
	s_cbranch_execz .LBB18_708
; %bb.707:
	v_fma_f32 v3, |v1|, 0.5, -2.0
	s_mov_b32 s23, 0xa2a2e5b9
	v_mul_f32_e64 v6, 0x3fb8aa3b, |v1|
	v_cmp_ngt_f32_e64 vcc_lo, 0xc2ce8ed0, |v1|
	s_delay_alu instid0(VALU_DEP_3) | instskip(NEXT) | instid1(VALU_DEP_3)
	v_fmaak_f32 v4, s23, v3, 0x24199b15
	v_rndne_f32_e32 v7, v6
	v_fma_f32 v8, 0x3fb8aa3b, |v1|, -v6
	s_delay_alu instid0(VALU_DEP_2) | instskip(NEXT) | instid1(VALU_DEP_2)
	v_dual_fmaak_f32 v5, v3, v4, 0x22a2e5b9 :: v_dual_sub_f32 v6, v6, v7
	v_fma_f32 v8, 0x32a5705f, |v1|, v8
	v_cvt_i32_f32_e32 v7, v7
	s_delay_alu instid0(VALU_DEP_2) | instskip(NEXT) | instid1(VALU_DEP_1)
	v_dual_add_f32 v5, 0xa58c275c, v5 :: v_dual_add_f32 v6, v6, v8
	v_fma_f32 v4, v3, v5, -v4
	s_delay_alu instid0(VALU_DEP_2) | instskip(NEXT) | instid1(VALU_DEP_1)
	v_exp_f32_e32 v6, v6
	v_add_f32_e32 v4, 0x26f736c5, v4
	s_delay_alu instid0(VALU_DEP_1) | instskip(NEXT) | instid1(VALU_DEP_1)
	v_fma_f32 v5, v3, v4, -v5
	v_add_f32_e32 v5, 0xa8528116, v5
	s_delay_alu instid0(VALU_DEP_1) | instskip(NEXT) | instid1(VALU_DEP_1)
	v_fma_f32 v4, v3, v5, -v4
	;; [unrolled: 3-line block ×25, first 2 shown]
	v_add_f32_e32 v5, 0xbe9bff5e, v5
	s_delay_alu instid0(VALU_DEP_1) | instskip(SKIP_1) | instid1(VALU_DEP_2)
	v_fma_f32 v3, v3, v5, -v4
	v_ldexp_f32 v5, v6, v7
	v_add_f32_e32 v3, 0x3f2d4275, v3
	s_delay_alu instid0(VALU_DEP_2) | instskip(SKIP_1) | instid1(VALU_DEP_3)
	v_cndmask_b32_e32 v5, 0, v5, vcc_lo
	v_cmp_nlt_f32_e64 vcc_lo, 0x42b17218, |v1|
	v_sub_f32_e32 v3, v3, v4
	s_delay_alu instid0(VALU_DEP_3) | instskip(NEXT) | instid1(VALU_DEP_2)
	v_cndmask_b32_e32 v1, 0x7f800000, v5, vcc_lo
	v_mul_f32_e32 v3, 0.5, v3
	s_delay_alu instid0(VALU_DEP_1)
	v_mul_f32_e32 v4, v1, v3
                                        ; implicit-def: $vgpr1
.LBB18_708:
	s_and_not1_saveexec_b32 s23, s0
	s_cbranch_execz .LBB18_710
; %bb.709:
	v_and_b32_e32 v3, 0x7fffffff, v1
	s_mov_b32 s0, 0xa3056dbb
	s_delay_alu instid0(VALU_DEP_1) | instskip(SKIP_1) | instid1(VALU_DEP_2)
	v_div_scale_f32 v4, null, v3, v3, 0x42000000
	v_div_scale_f32 v3, vcc_lo, 0x42000000, v3, 0x42000000
	v_rcp_f32_e32 v5, v4
	v_nop
	s_delay_alu instid0(TRANS32_DEP_1) | instskip(NEXT) | instid1(VALU_DEP_1)
	v_fma_f32 v6, -v4, v5, 1.0
	v_fmac_f32_e32 v5, v6, v5
	s_delay_alu instid0(VALU_DEP_1) | instskip(NEXT) | instid1(VALU_DEP_1)
	v_mul_f32_e32 v6, v3, v5
	v_fma_f32 v7, -v4, v6, v3
	s_delay_alu instid0(VALU_DEP_1) | instskip(SKIP_1) | instid1(VALU_DEP_1)
	v_fmac_f32_e32 v6, v7, v5
	v_mul_f32_e64 v7, 0x3fb8aa3b, |v1|
	v_rndne_f32_e32 v8, v7
	s_delay_alu instid0(VALU_DEP_3) | instskip(SKIP_1) | instid1(VALU_DEP_3)
	v_fma_f32 v3, -v4, v6, v3
	v_fma_f32 v9, 0x3fb8aa3b, |v1|, -v7
	v_sub_f32_e32 v7, v7, v8
	s_delay_alu instid0(VALU_DEP_3)
	v_div_fmas_f32 v3, v3, v5, v6
	v_mul_f32_e64 v6, 0x4f800000, |v1|
	v_cmp_gt_f32_e64 vcc_lo, 0xf800000, |v1|
	v_fma_f32 v9, 0x32a5705f, |v1|, v9
	v_cvt_i32_f32_e32 v8, v8
	v_div_fixup_f32 v3, v3, |v1|, 0x42000000
	s_delay_alu instid0(VALU_DEP_4) | instskip(NEXT) | instid1(VALU_DEP_2)
	v_cndmask_b32_e64 v6, |v1|, v6, vcc_lo
	v_dual_add_f32 v7, v7, v9 :: v_dual_add_f32 v3, -2.0, v3
	s_delay_alu instid0(VALU_DEP_2) | instskip(SKIP_1) | instid1(TRANS32_DEP_1)
	v_sqrt_f32_e32 v10, v6
	v_nop
	v_dual_fmaak_f32 v4, s0, v3, 0xa2b236d3 :: v_dual_add_nc_u32 v11, -1, v10
	s_delay_alu instid0(VALU_DEP_1) | instskip(NEXT) | instid1(VALU_DEP_2)
	v_fmaak_f32 v5, v3, v4, 0x23056dbb
	v_dual_add_nc_u32 v9, 1, v10 :: v_dual_fma_f32 v12, -v11, v10, v6
	s_delay_alu instid0(VALU_DEP_2) | instskip(NEXT) | instid1(VALU_DEP_2)
	v_add_f32_e32 v5, 0x244df0c1, v5
	v_fma_f32 v13, -v9, v10, v6
	s_delay_alu instid0(VALU_DEP_3) | instskip(NEXT) | instid1(VALU_DEP_1)
	v_cmp_ge_f32_e64 s0, 0, v12
	v_dual_fma_f32 v4, v3, v5, -v4 :: v_dual_cndmask_b32 v10, v10, v11, s0
	s_delay_alu instid0(VALU_DEP_1) | instskip(NEXT) | instid1(VALU_DEP_4)
	v_add_f32_e32 v4, 0x241f9ee8, v4
	v_cmp_lt_f32_e64 s0, 0, v13
	s_delay_alu instid0(VALU_DEP_2) | instskip(NEXT) | instid1(VALU_DEP_1)
	v_fma_f32 v5, v3, v4, -v5
	v_add_f32_e32 v5, 0xa5a3005d, v5
	s_delay_alu instid0(VALU_DEP_1) | instskip(NEXT) | instid1(VALU_DEP_1)
	v_fma_f32 v4, v3, v5, -v4
	v_add_f32_e32 v4, 0xa5c5773f, v4
	s_delay_alu instid0(VALU_DEP_1) | instskip(NEXT) | instid1(VALU_DEP_1)
	;; [unrolled: 3-line block ×19, first 2 shown]
	v_fma_f32 v4, v3, v5, -v4
	v_add_f32_e32 v4, 0x3b5ccc65, v4
	v_exp_f32_e32 v7, v7
	s_delay_alu instid0(VALU_DEP_1) | instskip(NEXT) | instid1(TRANS32_DEP_1)
	v_fma_f32 v3, v3, v4, -v5
	v_ldexp_f32 v4, v7, v8
	v_cndmask_b32_e64 v7, v10, v9, s0
	s_delay_alu instid0(VALU_DEP_3) | instskip(SKIP_1) | instid1(VALU_DEP_2)
	v_add_f32_e32 v3, 0x3f4df315, v3
	v_cmp_ngt_f32_e64 s0, 0xc2ce8ed0, |v1|
	v_dual_mul_f32 v8, 0x37800000, v7 :: v_dual_sub_f32 v3, v3, v5
	s_delay_alu instid0(VALU_DEP_2) | instskip(SKIP_1) | instid1(VALU_DEP_3)
	v_cndmask_b32_e64 v4, 0, v4, s0
	v_cmp_nlt_f32_e64 s0, 0x42b17218, |v1|
	v_mul_f32_e32 v3, 0.5, v3
	s_delay_alu instid0(VALU_DEP_2) | instskip(SKIP_2) | instid1(VALU_DEP_2)
	v_cndmask_b32_e64 v1, 0x7f800000, v4, s0
	v_cndmask_b32_e32 v4, v7, v8, vcc_lo
	v_cmp_class_f32_e64 vcc_lo, v6, 0x260
	v_dual_mul_f32 v1, v1, v3 :: v_dual_cndmask_b32 v4, v4, v6
	s_delay_alu instid0(VALU_DEP_1) | instskip(NEXT) | instid1(VALU_DEP_1)
	v_div_scale_f32 v3, null, v4, v4, v1
	v_rcp_f32_e32 v5, v3
	v_nop
	s_delay_alu instid0(TRANS32_DEP_1) | instskip(NEXT) | instid1(VALU_DEP_1)
	v_fma_f32 v6, -v3, v5, 1.0
	v_fmac_f32_e32 v5, v6, v5
	v_div_scale_f32 v6, vcc_lo, v1, v4, v1
	s_delay_alu instid0(VALU_DEP_1) | instskip(NEXT) | instid1(VALU_DEP_1)
	v_mul_f32_e32 v7, v6, v5
	v_fma_f32 v8, -v3, v7, v6
	s_delay_alu instid0(VALU_DEP_1) | instskip(NEXT) | instid1(VALU_DEP_1)
	v_fmac_f32_e32 v7, v8, v5
	v_fma_f32 v3, -v3, v7, v6
	s_delay_alu instid0(VALU_DEP_1) | instskip(NEXT) | instid1(VALU_DEP_1)
	v_div_fmas_f32 v3, v3, v5, v7
	v_div_fixup_f32 v4, v3, v4, v1
.LBB18_710:
	s_or_b32 exec_lo, exec_lo, s23
	v_mov_b32_e32 v3, 0
	s_and_b32 s23, s34, 0xff
	s_delay_alu instid0(SALU_CYCLE_1) | instskip(NEXT) | instid1(VALU_DEP_1)
	s_cmp_lt_i32 s23, 11
	v_add_nc_u64_e32 v[2:3], s[4:5], v[2:3]
	s_cbranch_scc1 .LBB18_718
; %bb.711:
	s_and_b32 s24, 0xffff, s23
	s_delay_alu instid0(SALU_CYCLE_1)
	s_cmp_gt_i32 s24, 25
	s_cbranch_scc0 .LBB18_719
; %bb.712:
	s_cmp_gt_i32 s24, 28
	s_cbranch_scc0 .LBB18_720
; %bb.713:
	;; [unrolled: 3-line block ×4, first 2 shown]
	s_mov_b32 s26, 0
	s_mov_b32 s0, -1
	s_cmp_eq_u32 s24, 46
	s_mov_b32 s25, 0
	s_cbranch_scc0 .LBB18_723
; %bb.716:
	v_bfe_u32 v1, v4, 16, 1
	v_cmp_o_f32_e32 vcc_lo, v4, v4
	s_mov_b32 s25, -1
	s_mov_b32 s0, 0
	s_delay_alu instid0(VALU_DEP_2) | instskip(NEXT) | instid1(VALU_DEP_1)
	v_add3_u32 v1, v4, v1, 0x7fff
	v_lshrrev_b32_e32 v1, 16, v1
	s_delay_alu instid0(VALU_DEP_1)
	v_cndmask_b32_e32 v1, 0x7fc0, v1, vcc_lo
	global_store_b32 v[2:3], v1, off
	s_branch .LBB18_723
.LBB18_717:
	s_mov_b32 s23, 0
	s_mov_b32 s0, s43
	s_branch .LBB18_834
.LBB18_718:
	s_mov_b32 s24, -1
	s_mov_b32 s25, 0
	s_mov_b32 s0, s43
	s_branch .LBB18_792
.LBB18_719:
	s_mov_b32 s26, -1
	s_mov_b32 s25, 0
	s_mov_b32 s0, s43
	s_branch .LBB18_750
.LBB18_720:
	s_mov_b32 s26, -1
	s_mov_b32 s25, 0
	s_mov_b32 s0, s43
	s_branch .LBB18_733
.LBB18_721:
	s_mov_b32 s26, -1
	s_mov_b32 s25, 0
	s_mov_b32 s0, s43
	s_branch .LBB18_729
.LBB18_722:
	s_mov_b32 s26, -1
	s_mov_b32 s25, 0
	s_mov_b32 s0, s43
.LBB18_723:
	s_and_b32 vcc_lo, exec_lo, s26
	s_cbranch_vccz .LBB18_728
; %bb.724:
	s_cmp_eq_u32 s24, 44
	s_mov_b32 s0, -1
	s_cbranch_scc0 .LBB18_728
; %bb.725:
	v_bfe_u32 v5, v4, 23, 8
	s_wait_xcnt 0x0
	v_mov_b32_e32 v1, 0xff
	s_mov_b32 s25, exec_lo
	s_delay_alu instid0(VALU_DEP_2)
	v_cmpx_ne_u32_e32 0xff, v5
	s_cbranch_execz .LBB18_727
; %bb.726:
	v_and_b32_e32 v1, 0x400000, v4
	v_and_or_b32 v5, 0x3fffff, v4, v5
	s_delay_alu instid0(VALU_DEP_2) | instskip(NEXT) | instid1(VALU_DEP_2)
	v_cmp_ne_u32_e32 vcc_lo, 0, v1
	v_cmp_ne_u32_e64 s0, 0, v5
	v_lshrrev_b32_e32 v1, 23, v4
	s_and_b32 s0, vcc_lo, s0
	s_delay_alu instid0(SALU_CYCLE_1) | instskip(NEXT) | instid1(VALU_DEP_1)
	v_cndmask_b32_e64 v5, 0, 1, s0
	v_add_nc_u32_e32 v1, v1, v5
.LBB18_727:
	s_or_b32 exec_lo, exec_lo, s25
	s_mov_b32 s25, -1
	s_mov_b32 s0, 0
	global_store_b8 v[2:3], v1, off
.LBB18_728:
	s_mov_b32 s26, 0
.LBB18_729:
	s_delay_alu instid0(SALU_CYCLE_1)
	s_and_b32 vcc_lo, exec_lo, s26
	s_cbranch_vccz .LBB18_732
; %bb.730:
	s_cmp_eq_u32 s24, 29
	s_mov_b32 s0, -1
	s_cbranch_scc0 .LBB18_732
; %bb.731:
	s_wait_xcnt 0x0
	v_trunc_f32_e32 v1, v4
	s_mov_b32 s25, -1
	s_mov_b32 s0, 0
	s_mov_b32 s26, 0
	s_delay_alu instid0(VALU_DEP_1) | instskip(NEXT) | instid1(VALU_DEP_1)
	v_mul_f32_e32 v5, 0x2f800000, v1
	v_floor_f32_e32 v5, v5
	s_delay_alu instid0(VALU_DEP_1) | instskip(SKIP_1) | instid1(VALU_DEP_2)
	v_fmamk_f32 v1, v5, 0xcf800000, v1
	v_cvt_u32_f32_e32 v7, v5
	v_cvt_u32_f32_e32 v6, v1
	global_store_b64 v[2:3], v[6:7], off
	s_branch .LBB18_733
.LBB18_732:
	s_mov_b32 s26, 0
.LBB18_733:
	s_delay_alu instid0(SALU_CYCLE_1)
	s_and_b32 vcc_lo, exec_lo, s26
	s_cbranch_vccz .LBB18_749
; %bb.734:
	s_cmp_lt_i32 s24, 27
	s_mov_b32 s25, -1
	s_cbranch_scc1 .LBB18_740
; %bb.735:
	s_wait_xcnt 0x0
	v_cvt_u32_f32_e32 v1, v4
	s_cmp_gt_i32 s24, 27
	s_cbranch_scc0 .LBB18_737
; %bb.736:
	s_mov_b32 s25, 0
	global_store_b32 v[2:3], v1, off
.LBB18_737:
	s_and_not1_b32 vcc_lo, exec_lo, s25
	s_cbranch_vccnz .LBB18_739
; %bb.738:
	global_store_b16 v[2:3], v1, off
.LBB18_739:
	s_mov_b32 s25, 0
.LBB18_740:
	s_delay_alu instid0(SALU_CYCLE_1)
	s_and_not1_b32 vcc_lo, exec_lo, s25
	s_cbranch_vccnz .LBB18_748
; %bb.741:
	s_wait_xcnt 0x0
	v_and_b32_e32 v1, 0x7fffffff, v4
	v_mov_b32_e32 v5, 0x80
	s_mov_b32 s25, exec_lo
	s_delay_alu instid0(VALU_DEP_2)
	v_cmpx_gt_u32_e32 0x43800000, v1
	s_cbranch_execz .LBB18_747
; %bb.742:
	v_cmp_lt_u32_e32 vcc_lo, 0x3bffffff, v1
	s_mov_b32 s26, 0
                                        ; implicit-def: $vgpr1
	s_and_saveexec_b32 s27, vcc_lo
	s_delay_alu instid0(SALU_CYCLE_1)
	s_xor_b32 s27, exec_lo, s27
	s_cbranch_execz .LBB18_866
; %bb.743:
	v_bfe_u32 v1, v4, 20, 1
	s_mov_b32 s26, exec_lo
	s_delay_alu instid0(VALU_DEP_1) | instskip(NEXT) | instid1(VALU_DEP_1)
	v_add3_u32 v1, v4, v1, 0x487ffff
	v_lshrrev_b32_e32 v1, 20, v1
	s_and_not1_saveexec_b32 s27, s27
	s_cbranch_execnz .LBB18_867
.LBB18_744:
	s_or_b32 exec_lo, exec_lo, s27
	v_mov_b32_e32 v5, 0
	s_and_saveexec_b32 s27, s26
.LBB18_745:
	v_lshrrev_b32_e32 v5, 24, v4
	s_delay_alu instid0(VALU_DEP_1)
	v_and_or_b32 v5, 0x80, v5, v1
.LBB18_746:
	s_or_b32 exec_lo, exec_lo, s27
.LBB18_747:
	s_delay_alu instid0(SALU_CYCLE_1)
	s_or_b32 exec_lo, exec_lo, s25
	global_store_b8 v[2:3], v5, off
.LBB18_748:
	s_mov_b32 s25, -1
.LBB18_749:
	s_mov_b32 s26, 0
.LBB18_750:
	s_delay_alu instid0(SALU_CYCLE_1)
	s_and_b32 vcc_lo, exec_lo, s26
	s_cbranch_vccz .LBB18_791
; %bb.751:
	s_cmp_gt_i32 s24, 22
	s_mov_b32 s26, -1
	s_cbranch_scc0 .LBB18_783
; %bb.752:
	s_cmp_lt_i32 s24, 24
	s_mov_b32 s25, -1
	s_cbranch_scc1 .LBB18_772
; %bb.753:
	s_cmp_gt_i32 s24, 24
	s_cbranch_scc0 .LBB18_761
; %bb.754:
	s_wait_xcnt 0x0
	v_and_b32_e32 v1, 0x7fffffff, v4
	v_mov_b32_e32 v5, 0x80
	s_mov_b32 s25, exec_lo
	s_delay_alu instid0(VALU_DEP_2)
	v_cmpx_gt_u32_e32 0x47800000, v1
	s_cbranch_execz .LBB18_760
; %bb.755:
	v_cmp_lt_u32_e32 vcc_lo, 0x37ffffff, v1
	s_mov_b32 s26, 0
                                        ; implicit-def: $vgpr1
	s_and_saveexec_b32 s27, vcc_lo
	s_delay_alu instid0(SALU_CYCLE_1)
	s_xor_b32 s27, exec_lo, s27
	s_cbranch_execz .LBB18_869
; %bb.756:
	v_bfe_u32 v1, v4, 21, 1
	s_mov_b32 s26, exec_lo
	s_delay_alu instid0(VALU_DEP_1) | instskip(NEXT) | instid1(VALU_DEP_1)
	v_add3_u32 v1, v4, v1, 0x88fffff
	v_lshrrev_b32_e32 v1, 21, v1
	s_and_not1_saveexec_b32 s27, s27
	s_cbranch_execnz .LBB18_870
.LBB18_757:
	s_or_b32 exec_lo, exec_lo, s27
	v_mov_b32_e32 v5, 0
	s_and_saveexec_b32 s27, s26
.LBB18_758:
	v_lshrrev_b32_e32 v5, 24, v4
	s_delay_alu instid0(VALU_DEP_1)
	v_and_or_b32 v5, 0x80, v5, v1
.LBB18_759:
	s_or_b32 exec_lo, exec_lo, s27
.LBB18_760:
	s_delay_alu instid0(SALU_CYCLE_1)
	s_or_b32 exec_lo, exec_lo, s25
	s_mov_b32 s25, 0
	global_store_b8 v[2:3], v5, off
.LBB18_761:
	s_and_b32 vcc_lo, exec_lo, s25
	s_cbranch_vccz .LBB18_771
; %bb.762:
	s_wait_xcnt 0x0
	v_and_b32_e32 v5, 0x7fffffff, v4
	s_mov_b32 s25, exec_lo
                                        ; implicit-def: $vgpr1
	s_delay_alu instid0(VALU_DEP_1)
	v_cmpx_gt_u32_e32 0x43f00000, v5
	s_xor_b32 s25, exec_lo, s25
	s_cbranch_execz .LBB18_768
; %bb.763:
	s_mov_b32 s26, exec_lo
                                        ; implicit-def: $vgpr1
	v_cmpx_lt_u32_e32 0x3c7fffff, v5
	s_xor_b32 s26, exec_lo, s26
; %bb.764:
	v_bfe_u32 v1, v4, 20, 1
	s_delay_alu instid0(VALU_DEP_1) | instskip(NEXT) | instid1(VALU_DEP_1)
	v_add3_u32 v1, v4, v1, 0x407ffff
	v_and_b32_e32 v5, 0xff00000, v1
	v_lshrrev_b32_e32 v1, 20, v1
	s_delay_alu instid0(VALU_DEP_2) | instskip(NEXT) | instid1(VALU_DEP_2)
	v_cmp_ne_u32_e32 vcc_lo, 0x7f00000, v5
	v_cndmask_b32_e32 v1, 0x7e, v1, vcc_lo
; %bb.765:
	s_and_not1_saveexec_b32 s26, s26
; %bb.766:
	v_add_f32_e64 v1, 0x46800000, |v4|
; %bb.767:
	s_or_b32 exec_lo, exec_lo, s26
                                        ; implicit-def: $vgpr5
.LBB18_768:
	s_and_not1_saveexec_b32 s25, s25
; %bb.769:
	v_mov_b32_e32 v1, 0x7f
	v_cmp_lt_u32_e32 vcc_lo, 0x7f800000, v5
	s_delay_alu instid0(VALU_DEP_2)
	v_cndmask_b32_e32 v1, 0x7e, v1, vcc_lo
; %bb.770:
	s_or_b32 exec_lo, exec_lo, s25
	v_lshrrev_b32_e32 v5, 24, v4
	s_delay_alu instid0(VALU_DEP_1)
	v_and_or_b32 v1, 0x80, v5, v1
	global_store_b8 v[2:3], v1, off
.LBB18_771:
	s_mov_b32 s25, 0
.LBB18_772:
	s_delay_alu instid0(SALU_CYCLE_1)
	s_and_not1_b32 vcc_lo, exec_lo, s25
	s_cbranch_vccnz .LBB18_782
; %bb.773:
	s_wait_xcnt 0x0
	v_and_b32_e32 v5, 0x7fffffff, v4
	s_mov_b32 s25, exec_lo
                                        ; implicit-def: $vgpr1
	s_delay_alu instid0(VALU_DEP_1)
	v_cmpx_gt_u32_e32 0x47800000, v5
	s_xor_b32 s25, exec_lo, s25
	s_cbranch_execz .LBB18_779
; %bb.774:
	s_mov_b32 s26, exec_lo
                                        ; implicit-def: $vgpr1
	v_cmpx_lt_u32_e32 0x387fffff, v5
	s_xor_b32 s26, exec_lo, s26
; %bb.775:
	v_bfe_u32 v1, v4, 21, 1
	s_delay_alu instid0(VALU_DEP_1) | instskip(NEXT) | instid1(VALU_DEP_1)
	v_add3_u32 v1, v4, v1, 0x80fffff
	v_lshrrev_b32_e32 v1, 21, v1
; %bb.776:
	s_and_not1_saveexec_b32 s26, s26
; %bb.777:
	v_add_f32_e64 v1, 0x43000000, |v4|
; %bb.778:
	s_or_b32 exec_lo, exec_lo, s26
                                        ; implicit-def: $vgpr5
.LBB18_779:
	s_and_not1_saveexec_b32 s25, s25
; %bb.780:
	v_mov_b32_e32 v1, 0x7f
	v_cmp_lt_u32_e32 vcc_lo, 0x7f800000, v5
	s_delay_alu instid0(VALU_DEP_2)
	v_cndmask_b32_e32 v1, 0x7c, v1, vcc_lo
; %bb.781:
	s_or_b32 exec_lo, exec_lo, s25
	v_lshrrev_b32_e32 v5, 24, v4
	s_delay_alu instid0(VALU_DEP_1)
	v_and_or_b32 v1, 0x80, v5, v1
	global_store_b8 v[2:3], v1, off
.LBB18_782:
	s_mov_b32 s26, 0
	s_mov_b32 s25, -1
.LBB18_783:
	s_and_not1_b32 vcc_lo, exec_lo, s26
	s_cbranch_vccnz .LBB18_791
; %bb.784:
	s_cmp_gt_i32 s24, 14
	s_mov_b32 s26, -1
	s_cbranch_scc0 .LBB18_788
; %bb.785:
	s_cmp_eq_u32 s24, 15
	s_mov_b32 s0, -1
	s_cbranch_scc0 .LBB18_787
; %bb.786:
	s_wait_xcnt 0x0
	v_bfe_u32 v1, v4, 16, 1
	v_cmp_o_f32_e32 vcc_lo, v4, v4
	s_mov_b32 s25, -1
	s_mov_b32 s0, 0
	s_delay_alu instid0(VALU_DEP_2) | instskip(NEXT) | instid1(VALU_DEP_1)
	v_add3_u32 v1, v4, v1, 0x7fff
	v_lshrrev_b32_e32 v1, 16, v1
	s_delay_alu instid0(VALU_DEP_1)
	v_cndmask_b32_e32 v1, 0x7fc0, v1, vcc_lo
	global_store_b16 v[2:3], v1, off
.LBB18_787:
	s_mov_b32 s26, 0
.LBB18_788:
	s_delay_alu instid0(SALU_CYCLE_1)
	s_and_b32 vcc_lo, exec_lo, s26
	s_cbranch_vccz .LBB18_791
; %bb.789:
	s_cmp_eq_u32 s24, 11
	s_mov_b32 s0, -1
	s_cbranch_scc0 .LBB18_791
; %bb.790:
	v_cmp_neq_f32_e32 vcc_lo, 0, v4
	s_mov_b32 s0, 0
	s_mov_b32 s25, -1
	s_wait_xcnt 0x0
	v_cndmask_b32_e64 v1, 0, 1, vcc_lo
	global_store_b8 v[2:3], v1, off
.LBB18_791:
	s_mov_b32 s24, 0
.LBB18_792:
	s_delay_alu instid0(SALU_CYCLE_1)
	s_and_b32 vcc_lo, exec_lo, s24
	s_cbranch_vccz .LBB18_831
; %bb.793:
	s_and_b32 s23, 0xffff, s23
	s_mov_b32 s24, -1
	s_cmp_lt_i32 s23, 5
	s_cbranch_scc1 .LBB18_814
; %bb.794:
	s_cmp_lt_i32 s23, 8
	s_cbranch_scc1 .LBB18_804
; %bb.795:
	;; [unrolled: 3-line block ×3, first 2 shown]
	s_cmp_gt_i32 s23, 9
	s_cbranch_scc0 .LBB18_798
; %bb.797:
	s_wait_xcnt 0x0
	v_cvt_f64_f32_e32 v[6:7], v4
	v_mov_b32_e32 v8, 0
	s_mov_b32 s24, 0
	s_delay_alu instid0(VALU_DEP_1)
	v_mov_b32_e32 v9, v8
	global_store_b128 v[2:3], v[6:9], off
.LBB18_798:
	s_and_not1_b32 vcc_lo, exec_lo, s24
	s_cbranch_vccnz .LBB18_800
; %bb.799:
	s_wait_xcnt 0x0
	v_mov_b32_e32 v5, 0
	global_store_b64 v[2:3], v[4:5], off
.LBB18_800:
	s_mov_b32 s24, 0
.LBB18_801:
	s_delay_alu instid0(SALU_CYCLE_1)
	s_and_not1_b32 vcc_lo, exec_lo, s24
	s_cbranch_vccnz .LBB18_803
; %bb.802:
	s_wait_xcnt 0x0
	v_cvt_f16_f32_e32 v1, v4
	s_delay_alu instid0(VALU_DEP_1)
	v_and_b32_e32 v1, 0xffff, v1
	global_store_b32 v[2:3], v1, off
.LBB18_803:
	s_mov_b32 s24, 0
.LBB18_804:
	s_delay_alu instid0(SALU_CYCLE_1)
	s_and_not1_b32 vcc_lo, exec_lo, s24
	s_cbranch_vccnz .LBB18_813
; %bb.805:
	s_cmp_lt_i32 s23, 6
	s_mov_b32 s24, -1
	s_cbranch_scc1 .LBB18_811
; %bb.806:
	s_cmp_gt_i32 s23, 6
	s_cbranch_scc0 .LBB18_808
; %bb.807:
	s_wait_xcnt 0x0
	v_cvt_f64_f32_e32 v[6:7], v4
	s_mov_b32 s24, 0
	global_store_b64 v[2:3], v[6:7], off
.LBB18_808:
	s_and_not1_b32 vcc_lo, exec_lo, s24
	s_cbranch_vccnz .LBB18_810
; %bb.809:
	global_store_b32 v[2:3], v4, off
.LBB18_810:
	s_mov_b32 s24, 0
.LBB18_811:
	s_delay_alu instid0(SALU_CYCLE_1)
	s_and_not1_b32 vcc_lo, exec_lo, s24
	s_cbranch_vccnz .LBB18_813
; %bb.812:
	s_wait_xcnt 0x0
	v_cvt_f16_f32_e32 v1, v4
	global_store_b16 v[2:3], v1, off
.LBB18_813:
	s_mov_b32 s24, 0
.LBB18_814:
	s_delay_alu instid0(SALU_CYCLE_1)
	s_and_not1_b32 vcc_lo, exec_lo, s24
	s_cbranch_vccnz .LBB18_830
; %bb.815:
	s_cmp_lt_i32 s23, 2
	s_mov_b32 s24, -1
	s_cbranch_scc1 .LBB18_825
; %bb.816:
	s_cmp_lt_i32 s23, 3
	s_cbranch_scc1 .LBB18_822
; %bb.817:
	s_cmp_gt_i32 s23, 3
	s_cbranch_scc0 .LBB18_819
; %bb.818:
	s_wait_xcnt 0x0
	v_trunc_f32_e32 v1, v4
	s_mov_b32 s24, 0
	s_delay_alu instid0(VALU_DEP_1) | instskip(SKIP_1) | instid1(VALU_DEP_2)
	v_mul_f32_e64 v5, 0x2f800000, |v1|
	v_ashrrev_i32_e32 v6, 31, v1
	v_floor_f32_e32 v5, v5
	s_delay_alu instid0(VALU_DEP_1) | instskip(SKIP_1) | instid1(VALU_DEP_2)
	v_fma_f32 v7, 0xcf800000, v5, |v1|
	v_cvt_u32_f32_e32 v1, v5
	v_cvt_u32_f32_e32 v5, v7
	s_delay_alu instid0(VALU_DEP_2) | instskip(NEXT) | instid1(VALU_DEP_2)
	v_dual_mov_b32 v7, v6 :: v_dual_bitop2_b32 v9, v1, v6 bitop3:0x14
	v_xor_b32_e32 v8, v5, v6
	s_delay_alu instid0(VALU_DEP_1)
	v_sub_nc_u64_e32 v[6:7], v[8:9], v[6:7]
	global_store_b64 v[2:3], v[6:7], off
.LBB18_819:
	s_and_not1_b32 vcc_lo, exec_lo, s24
	s_cbranch_vccnz .LBB18_821
; %bb.820:
	s_wait_xcnt 0x0
	v_cvt_i32_f32_e32 v1, v4
	global_store_b32 v[2:3], v1, off
.LBB18_821:
	s_mov_b32 s24, 0
.LBB18_822:
	s_delay_alu instid0(SALU_CYCLE_1)
	s_and_not1_b32 vcc_lo, exec_lo, s24
	s_cbranch_vccnz .LBB18_824
; %bb.823:
	s_wait_xcnt 0x0
	v_cvt_i32_f32_e32 v1, v4
	global_store_b16 v[2:3], v1, off
.LBB18_824:
	s_mov_b32 s24, 0
.LBB18_825:
	s_delay_alu instid0(SALU_CYCLE_1)
	s_and_not1_b32 vcc_lo, exec_lo, s24
	s_cbranch_vccnz .LBB18_830
; %bb.826:
	s_cmp_gt_i32 s23, 0
	s_mov_b32 s23, -1
	s_cbranch_scc0 .LBB18_828
; %bb.827:
	s_wait_xcnt 0x0
	v_cvt_i32_f32_e32 v1, v4
	s_mov_b32 s23, 0
	global_store_b8 v[2:3], v1, off
.LBB18_828:
	s_and_not1_b32 vcc_lo, exec_lo, s23
	s_cbranch_vccnz .LBB18_830
; %bb.829:
	s_wait_xcnt 0x0
	v_trunc_f32_e32 v1, v4
	s_delay_alu instid0(VALU_DEP_1) | instskip(NEXT) | instid1(VALU_DEP_1)
	v_mul_f32_e64 v4, 0x2f800000, |v1|
	v_floor_f32_e32 v4, v4
	s_delay_alu instid0(VALU_DEP_1) | instskip(SKIP_1) | instid1(VALU_DEP_2)
	v_fma_f32 v4, 0xcf800000, v4, |v1|
	v_ashrrev_i32_e32 v1, 31, v1
	v_cvt_u32_f32_e32 v4, v4
	s_delay_alu instid0(VALU_DEP_1) | instskip(NEXT) | instid1(VALU_DEP_1)
	v_xor_b32_e32 v4, v4, v1
	v_sub_nc_u32_e32 v1, v4, v1
	global_store_b8 v[2:3], v1, off
.LBB18_830:
	s_mov_b32 s25, -1
.LBB18_831:
	s_delay_alu instid0(SALU_CYCLE_1)
	s_and_not1_b32 vcc_lo, exec_lo, s25
	s_cbranch_vccnz .LBB18_833
; %bb.832:
	v_add_nc_u32_e32 v0, 0x80, v0
	s_mov_b32 s23, -1
	s_branch .LBB18_835
.LBB18_833:
	s_mov_b32 s23, 0
.LBB18_834:
                                        ; implicit-def: $vgpr0
.LBB18_835:
	s_and_not1_b32 s24, s43, exec_lo
	s_and_b32 s0, s0, exec_lo
	s_and_not1_b32 s25, s42, exec_lo
	s_and_b32 s22, s22, exec_lo
	s_or_b32 s26, s24, s0
	s_or_b32 s0, s25, s22
	s_or_not1_b32 s25, s23, exec_lo
.LBB18_836:
	s_wait_xcnt 0x0
	s_or_b32 exec_lo, exec_lo, s45
	s_mov_b32 s22, 0
	s_mov_b32 s23, 0
	;; [unrolled: 1-line block ×3, first 2 shown]
                                        ; implicit-def: $vgpr4_vgpr5
                                        ; implicit-def: $vgpr2
                                        ; implicit-def: $vgpr1
	s_and_saveexec_b32 s27, s25
	s_cbranch_execz .LBB18_938
; %bb.837:
	v_cmp_gt_i32_e32 vcc_lo, s36, v0
	s_mov_b32 s25, s0
                                        ; implicit-def: $vgpr4_vgpr5
                                        ; implicit-def: $vgpr2
                                        ; implicit-def: $vgpr1
	s_and_saveexec_b32 s36, vcc_lo
	s_cbranch_execz .LBB18_937
; %bb.838:
	s_and_not1_b32 vcc_lo, exec_lo, s31
	s_cbranch_vccnz .LBB18_844
; %bb.839:
	s_and_not1_b32 vcc_lo, exec_lo, s38
	s_cbranch_vccnz .LBB18_845
; %bb.840:
	s_add_co_i32 s37, s37, 1
	s_cmp_eq_u32 s29, 2
	s_cbranch_scc1 .LBB18_846
; %bb.841:
	v_dual_mov_b32 v2, 0 :: v_dual_mov_b32 v4, 0
	s_wait_loadcnt 0x0
	v_mov_b32_e32 v1, v0
	s_and_b32 s22, s37, 28
	s_mov_b64 s[24:25], s[2:3]
.LBB18_842:                             ; =>This Inner Loop Header: Depth=1
	s_clause 0x1
	s_load_b256 s[48:55], s[24:25], 0x4
	s_load_b128 s[64:67], s[24:25], 0x24
	s_load_b256 s[56:63], s[20:21], 0x0
	s_add_co_i32 s23, s23, 4
	s_wait_xcnt 0x0
	s_add_nc_u64 s[24:25], s[24:25], 48
	s_cmp_eq_u32 s22, s23
	s_add_nc_u64 s[20:21], s[20:21], 32
	s_wait_kmcnt 0x0
	v_mul_hi_u32 v3, s49, v1
	s_delay_alu instid0(VALU_DEP_1) | instskip(NEXT) | instid1(VALU_DEP_1)
	v_add_nc_u32_e32 v3, v1, v3
	v_lshrrev_b32_e32 v3, s50, v3
	s_delay_alu instid0(VALU_DEP_1) | instskip(NEXT) | instid1(VALU_DEP_1)
	v_mul_hi_u32 v5, s52, v3
	v_add_nc_u32_e32 v5, v3, v5
	s_delay_alu instid0(VALU_DEP_1) | instskip(NEXT) | instid1(VALU_DEP_1)
	v_lshrrev_b32_e32 v5, s53, v5
	v_mul_hi_u32 v6, s55, v5
	s_delay_alu instid0(VALU_DEP_1) | instskip(SKIP_1) | instid1(VALU_DEP_1)
	v_add_nc_u32_e32 v6, v5, v6
	v_mul_lo_u32 v7, v3, s48
	v_sub_nc_u32_e32 v1, v1, v7
	v_mul_lo_u32 v7, v5, s51
	s_delay_alu instid0(VALU_DEP_4) | instskip(NEXT) | instid1(VALU_DEP_3)
	v_lshrrev_b32_e32 v6, s64, v6
	v_mad_u32 v4, v1, s57, v4
	v_mad_u32 v1, v1, s56, v2
	s_delay_alu instid0(VALU_DEP_4) | instskip(NEXT) | instid1(VALU_DEP_4)
	v_sub_nc_u32_e32 v2, v3, v7
	v_mul_hi_u32 v8, s66, v6
	v_mul_lo_u32 v3, v6, s54
	s_delay_alu instid0(VALU_DEP_3) | instskip(SKIP_1) | instid1(VALU_DEP_3)
	v_mad_u32 v4, v2, s59, v4
	v_mad_u32 v2, v2, s58, v1
	v_dual_add_nc_u32 v7, v6, v8 :: v_dual_sub_nc_u32 v3, v5, v3
	s_delay_alu instid0(VALU_DEP_1) | instskip(NEXT) | instid1(VALU_DEP_2)
	v_lshrrev_b32_e32 v1, s67, v7
	v_mad_u32 v4, v3, s61, v4
	s_delay_alu instid0(VALU_DEP_4) | instskip(NEXT) | instid1(VALU_DEP_3)
	v_mad_u32 v2, v3, s60, v2
	v_mul_lo_u32 v5, v1, s65
	s_delay_alu instid0(VALU_DEP_1) | instskip(NEXT) | instid1(VALU_DEP_1)
	v_sub_nc_u32_e32 v3, v6, v5
	v_mad_u32 v4, v3, s63, v4
	s_delay_alu instid0(VALU_DEP_4)
	v_mad_u32 v2, v3, s62, v2
	s_cbranch_scc0 .LBB18_842
; %bb.843:
	s_delay_alu instid0(VALU_DEP_2)
	v_mov_b32_e32 v3, v4
	s_branch .LBB18_847
.LBB18_844:
	s_mov_b32 s20, -1
                                        ; implicit-def: $vgpr4
                                        ; implicit-def: $vgpr2
	s_branch .LBB18_852
.LBB18_845:
	v_dual_mov_b32 v4, 0 :: v_dual_mov_b32 v2, 0
	s_branch .LBB18_851
.LBB18_846:
	v_mov_b64_e32 v[2:3], 0
	s_wait_loadcnt 0x0
	v_mov_b32_e32 v1, v0
                                        ; implicit-def: $vgpr4
.LBB18_847:
	s_and_b32 s24, s37, 3
	s_mov_b32 s23, 0
	s_cmp_eq_u32 s24, 0
	s_cbranch_scc1 .LBB18_851
; %bb.848:
	s_lshl_b32 s20, s22, 3
	s_mov_b32 s21, s23
	s_mul_u64 s[22:23], s[22:23], 12
	s_add_nc_u64 s[20:21], s[2:3], s[20:21]
	s_add_nc_u64 s[22:23], s[2:3], s[22:23]
	;; [unrolled: 1-line block ×3, first 2 shown]
.LBB18_849:                             ; =>This Inner Loop Header: Depth=1
	s_load_b96 s[48:50], s[22:23], 0x4
	s_load_b64 s[46:47], s[20:21], 0x0
	s_add_co_i32 s24, s24, -1
	s_wait_xcnt 0x0
	s_add_nc_u64 s[22:23], s[22:23], 12
	s_cmp_lg_u32 s24, 0
	s_add_nc_u64 s[20:21], s[20:21], 8
	s_wait_kmcnt 0x0
	v_mul_hi_u32 v4, s49, v1
	s_delay_alu instid0(VALU_DEP_1) | instskip(NEXT) | instid1(VALU_DEP_1)
	v_add_nc_u32_e32 v4, v1, v4
	v_lshrrev_b32_e32 v4, s50, v4
	s_delay_alu instid0(VALU_DEP_1) | instskip(NEXT) | instid1(VALU_DEP_1)
	v_mul_lo_u32 v5, v4, s48
	v_sub_nc_u32_e32 v1, v1, v5
	s_delay_alu instid0(VALU_DEP_1)
	v_mad_u32 v3, v1, s47, v3
	v_mad_u32 v2, v1, s46, v2
	v_mov_b32_e32 v1, v4
	s_cbranch_scc1 .LBB18_849
; %bb.850:
	s_delay_alu instid0(VALU_DEP_3)
	v_mov_b32_e32 v4, v3
.LBB18_851:
	s_mov_b32 s20, 0
.LBB18_852:
	s_delay_alu instid0(SALU_CYCLE_1)
	s_and_not1_b32 vcc_lo, exec_lo, s20
	s_cbranch_vccnz .LBB18_855
; %bb.853:
	s_wait_loadcnt 0x0
	v_mov_b32_e32 v1, 0
	s_and_not1_b32 vcc_lo, exec_lo, s35
	s_delay_alu instid0(VALU_DEP_1) | instskip(NEXT) | instid1(VALU_DEP_1)
	v_mul_u64_e32 v[2:3], s[16:17], v[0:1]
	v_add_nc_u32_e32 v2, v0, v3
	s_delay_alu instid0(VALU_DEP_1) | instskip(NEXT) | instid1(VALU_DEP_1)
	v_lshrrev_b32_e32 v6, s14, v2
	v_mul_lo_u32 v2, v6, s12
	s_delay_alu instid0(VALU_DEP_1) | instskip(NEXT) | instid1(VALU_DEP_1)
	v_sub_nc_u32_e32 v0, v0, v2
	v_mul_lo_u32 v4, v0, s9
	v_mul_lo_u32 v2, v0, s8
	s_cbranch_vccnz .LBB18_855
; %bb.854:
	v_mov_b32_e32 v7, v1
	s_delay_alu instid0(VALU_DEP_1) | instskip(NEXT) | instid1(VALU_DEP_1)
	v_mul_u64_e32 v[0:1], s[18:19], v[6:7]
	v_add_nc_u32_e32 v0, v6, v1
	s_delay_alu instid0(VALU_DEP_1) | instskip(NEXT) | instid1(VALU_DEP_1)
	v_lshrrev_b32_e32 v0, s1, v0
	v_mul_lo_u32 v0, v0, s15
	s_delay_alu instid0(VALU_DEP_1) | instskip(NEXT) | instid1(VALU_DEP_1)
	v_sub_nc_u32_e32 v0, v6, v0
	v_mad_u32 v2, v0, s10, v2
	v_mad_u32 v4, v0, s11, v4
.LBB18_855:
	v_mov_b32_e32 v5, 0
	s_and_b32 s1, 0xffff, s13
	s_delay_alu instid0(SALU_CYCLE_1) | instskip(NEXT) | instid1(VALU_DEP_1)
	s_cmp_lt_i32 s1, 11
	v_add_nc_u64_e32 v[4:5], s[6:7], v[4:5]
	s_cbranch_scc1 .LBB18_862
; %bb.856:
	s_cmp_gt_i32 s1, 25
	s_mov_b32 s7, 0
	s_cbranch_scc0 .LBB18_863
; %bb.857:
	s_cmp_gt_i32 s1, 28
	s_cbranch_scc0 .LBB18_864
; %bb.858:
	s_cmp_gt_i32 s1, 43
	;; [unrolled: 3-line block ×3, first 2 shown]
	s_cbranch_scc0 .LBB18_868
; %bb.860:
	s_cmp_eq_u32 s1, 46
	s_mov_b32 s9, 0
	s_cbranch_scc0 .LBB18_871
; %bb.861:
	global_load_b32 v0, v[4:5], off
	s_mov_b32 s6, 0
	s_mov_b32 s8, -1
	s_wait_loadcnt 0x0
	v_lshlrev_b32_e32 v1, 16, v0
	s_branch .LBB18_873
.LBB18_862:
	s_mov_b32 s1, -1
	s_mov_b32 s8, 0
	s_mov_b32 s7, 0
	;; [unrolled: 1-line block ×3, first 2 shown]
                                        ; implicit-def: $vgpr1
	s_branch .LBB18_936
.LBB18_863:
	s_mov_b32 s9, -1
	s_mov_b32 s8, 0
	s_mov_b32 s6, s0
                                        ; implicit-def: $vgpr1
	s_branch .LBB18_902
.LBB18_864:
	s_mov_b32 s9, -1
	s_mov_b32 s8, 0
	s_mov_b32 s6, s0
                                        ; implicit-def: $vgpr1
	s_branch .LBB18_883
.LBB18_865:
	s_mov_b32 s9, -1
	s_mov_b32 s8, 0
	s_mov_b32 s6, s0
                                        ; implicit-def: $vgpr1
	s_branch .LBB18_878
.LBB18_866:
	s_and_not1_saveexec_b32 s27, s27
	s_cbranch_execz .LBB18_744
.LBB18_867:
	v_add_f32_e64 v1, 0x46000000, |v4|
	s_and_not1_b32 s26, s26, exec_lo
	s_delay_alu instid0(VALU_DEP_1) | instskip(NEXT) | instid1(VALU_DEP_1)
	v_and_b32_e32 v1, 0xff, v1
	v_cmp_ne_u32_e32 vcc_lo, 0, v1
	s_and_b32 s46, vcc_lo, exec_lo
	s_delay_alu instid0(SALU_CYCLE_1)
	s_or_b32 s26, s26, s46
	s_or_b32 exec_lo, exec_lo, s27
	v_mov_b32_e32 v5, 0
	s_and_saveexec_b32 s27, s26
	s_cbranch_execnz .LBB18_745
	s_branch .LBB18_746
.LBB18_868:
	s_mov_b32 s9, -1
	s_mov_b32 s8, 0
	s_mov_b32 s6, s0
	s_branch .LBB18_872
.LBB18_869:
	s_and_not1_saveexec_b32 s27, s27
	s_cbranch_execz .LBB18_757
.LBB18_870:
	v_add_f32_e64 v1, 0x42800000, |v4|
	s_and_not1_b32 s26, s26, exec_lo
	s_delay_alu instid0(VALU_DEP_1) | instskip(NEXT) | instid1(VALU_DEP_1)
	v_and_b32_e32 v1, 0xff, v1
	v_cmp_ne_u32_e32 vcc_lo, 0, v1
	s_and_b32 s46, vcc_lo, exec_lo
	s_delay_alu instid0(SALU_CYCLE_1)
	s_or_b32 s26, s26, s46
	s_or_b32 exec_lo, exec_lo, s27
	v_mov_b32_e32 v5, 0
	s_and_saveexec_b32 s27, s26
	s_cbranch_execnz .LBB18_758
	s_branch .LBB18_759
.LBB18_871:
	s_mov_b32 s6, -1
	s_mov_b32 s8, 0
.LBB18_872:
                                        ; implicit-def: $vgpr1
.LBB18_873:
	s_and_b32 vcc_lo, exec_lo, s9
	s_cbranch_vccz .LBB18_877
; %bb.874:
	s_cmp_eq_u32 s1, 44
	s_cbranch_scc0 .LBB18_876
; %bb.875:
	global_load_u8 v0, v[4:5], off
	s_mov_b32 s6, 0
	s_mov_b32 s8, -1
	s_wait_loadcnt 0x0
	v_lshlrev_b32_e32 v1, 23, v0
	v_cmp_ne_u32_e32 vcc_lo, 0xff, v0
	s_delay_alu instid0(VALU_DEP_2) | instskip(SKIP_1) | instid1(VALU_DEP_2)
	v_cndmask_b32_e32 v1, 0x7f800001, v1, vcc_lo
	v_cmp_ne_u32_e32 vcc_lo, 0, v0
	v_cndmask_b32_e32 v1, 0x400000, v1, vcc_lo
	s_branch .LBB18_877
.LBB18_876:
	s_mov_b32 s6, -1
                                        ; implicit-def: $vgpr1
.LBB18_877:
	s_mov_b32 s9, 0
.LBB18_878:
	s_delay_alu instid0(SALU_CYCLE_1)
	s_and_b32 vcc_lo, exec_lo, s9
	s_cbranch_vccz .LBB18_882
; %bb.879:
	s_cmp_eq_u32 s1, 29
	s_cbranch_scc0 .LBB18_881
; %bb.880:
	s_wait_loadcnt 0x0
	global_load_b64 v[0:1], v[4:5], off
	s_mov_b32 s6, 0
	s_mov_b32 s8, -1
	s_mov_b32 s9, 0
	s_wait_loadcnt 0x0
	v_clz_i32_u32_e32 v3, v1
	s_delay_alu instid0(VALU_DEP_1) | instskip(NEXT) | instid1(VALU_DEP_1)
	v_min_u32_e32 v3, 32, v3
	v_lshlrev_b64_e32 v[0:1], v3, v[0:1]
	s_delay_alu instid0(VALU_DEP_1) | instskip(NEXT) | instid1(VALU_DEP_1)
	v_min_u32_e32 v0, 1, v0
	v_dual_sub_nc_u32 v1, 32, v3 :: v_dual_bitop2_b32 v0, v1, v0 bitop3:0x54
	s_delay_alu instid0(VALU_DEP_1) | instskip(NEXT) | instid1(VALU_DEP_1)
	v_cvt_f32_u32_e32 v0, v0
	v_ldexp_f32 v1, v0, v1
	s_branch .LBB18_883
.LBB18_881:
	s_mov_b32 s6, -1
                                        ; implicit-def: $vgpr1
.LBB18_882:
	s_mov_b32 s9, 0
.LBB18_883:
	s_delay_alu instid0(SALU_CYCLE_1)
	s_and_b32 vcc_lo, exec_lo, s9
	s_cbranch_vccz .LBB18_901
; %bb.884:
	s_cmp_lt_i32 s1, 27
	s_cbranch_scc1 .LBB18_887
; %bb.885:
	s_cmp_gt_i32 s1, 27
	s_cbranch_scc0 .LBB18_888
; %bb.886:
	global_load_b32 v0, v[4:5], off
	s_mov_b32 s8, 0
	s_wait_loadcnt 0x0
	v_cvt_f32_u32_e32 v1, v0
	s_branch .LBB18_889
.LBB18_887:
	s_mov_b32 s8, -1
                                        ; implicit-def: $vgpr1
	s_branch .LBB18_892
.LBB18_888:
	s_mov_b32 s8, -1
                                        ; implicit-def: $vgpr1
.LBB18_889:
	s_delay_alu instid0(SALU_CYCLE_1)
	s_and_not1_b32 vcc_lo, exec_lo, s8
	s_cbranch_vccnz .LBB18_891
; %bb.890:
	global_load_u16 v0, v[4:5], off
	s_wait_loadcnt 0x0
	v_cvt_f32_u32_e32 v1, v0
.LBB18_891:
	s_mov_b32 s8, 0
.LBB18_892:
	s_delay_alu instid0(SALU_CYCLE_1)
	s_and_not1_b32 vcc_lo, exec_lo, s8
	s_cbranch_vccnz .LBB18_900
; %bb.893:
	global_load_u8 v0, v[4:5], off
	s_mov_b32 s8, 0
	s_mov_b32 s9, exec_lo
	s_wait_loadcnt 0x0
	v_cmpx_lt_i16_e32 0x7f, v0
	s_xor_b32 s9, exec_lo, s9
	s_cbranch_execz .LBB18_914
; %bb.894:
	s_mov_b32 s8, -1
	s_mov_b32 s10, exec_lo
	v_cmpx_eq_u16_e32 0x80, v0
; %bb.895:
	s_xor_b32 s8, exec_lo, -1
; %bb.896:
	s_or_b32 exec_lo, exec_lo, s10
	s_delay_alu instid0(SALU_CYCLE_1)
	s_and_b32 s8, s8, exec_lo
	s_or_saveexec_b32 s9, s9
	v_mov_b32_e32 v1, 0x7f800001
	s_xor_b32 exec_lo, exec_lo, s9
	s_cbranch_execnz .LBB18_915
.LBB18_897:
	s_or_b32 exec_lo, exec_lo, s9
	s_and_saveexec_b32 s9, s8
	s_cbranch_execz .LBB18_899
.LBB18_898:
	v_and_b32_e32 v1, 0xffff, v0
	s_delay_alu instid0(VALU_DEP_1) | instskip(SKIP_1) | instid1(VALU_DEP_2)
	v_and_b32_e32 v3, 7, v1
	v_bfe_u32 v8, v1, 3, 4
	v_clz_i32_u32_e32 v6, v3
	s_delay_alu instid0(VALU_DEP_2) | instskip(NEXT) | instid1(VALU_DEP_2)
	v_cmp_eq_u32_e32 vcc_lo, 0, v8
	v_min_u32_e32 v6, 32, v6
	s_delay_alu instid0(VALU_DEP_1) | instskip(NEXT) | instid1(VALU_DEP_1)
	v_subrev_nc_u32_e32 v7, 28, v6
	v_dual_lshlrev_b32 v1, v7, v1 :: v_dual_sub_nc_u32 v6, 29, v6
	s_delay_alu instid0(VALU_DEP_1) | instskip(NEXT) | instid1(VALU_DEP_1)
	v_dual_lshlrev_b32 v0, 24, v0 :: v_dual_bitop2_b32 v1, 7, v1 bitop3:0x40
	v_dual_cndmask_b32 v6, v8, v6 :: v_dual_cndmask_b32 v1, v3, v1
	s_delay_alu instid0(VALU_DEP_2) | instskip(NEXT) | instid1(VALU_DEP_2)
	v_and_b32_e32 v0, 0x80000000, v0
	v_lshl_add_u32 v3, v6, 23, 0x3b800000
	s_delay_alu instid0(VALU_DEP_3) | instskip(NEXT) | instid1(VALU_DEP_1)
	v_lshlrev_b32_e32 v1, 20, v1
	v_or3_b32 v1, v0, v3, v1
.LBB18_899:
	s_or_b32 exec_lo, exec_lo, s9
.LBB18_900:
	s_mov_b32 s8, -1
.LBB18_901:
	s_mov_b32 s9, 0
.LBB18_902:
	s_delay_alu instid0(SALU_CYCLE_1)
	s_and_b32 vcc_lo, exec_lo, s9
	s_cbranch_vccz .LBB18_935
; %bb.903:
	s_cmp_gt_i32 s1, 22
	s_cbranch_scc0 .LBB18_913
; %bb.904:
	s_cmp_lt_i32 s1, 24
	s_cbranch_scc1 .LBB18_916
; %bb.905:
	s_cmp_gt_i32 s1, 24
	s_cbranch_scc0 .LBB18_917
; %bb.906:
	global_load_u8 v0, v[4:5], off
	s_mov_b32 s8, exec_lo
	s_wait_loadcnt 0x0
	v_cmpx_lt_i16_e32 0x7f, v0
	s_xor_b32 s8, exec_lo, s8
	s_cbranch_execz .LBB18_929
; %bb.907:
	s_mov_b32 s7, -1
	s_mov_b32 s9, exec_lo
	v_cmpx_eq_u16_e32 0x80, v0
; %bb.908:
	s_xor_b32 s7, exec_lo, -1
; %bb.909:
	s_or_b32 exec_lo, exec_lo, s9
	s_delay_alu instid0(SALU_CYCLE_1)
	s_and_b32 s7, s7, exec_lo
	s_or_saveexec_b32 s8, s8
	v_mov_b32_e32 v1, 0x7f800001
	s_xor_b32 exec_lo, exec_lo, s8
	s_cbranch_execnz .LBB18_930
.LBB18_910:
	s_or_b32 exec_lo, exec_lo, s8
	s_and_saveexec_b32 s8, s7
	s_cbranch_execz .LBB18_912
.LBB18_911:
	v_and_b32_e32 v1, 0xffff, v0
	s_delay_alu instid0(VALU_DEP_1) | instskip(SKIP_1) | instid1(VALU_DEP_2)
	v_and_b32_e32 v3, 3, v1
	v_bfe_u32 v8, v1, 2, 5
	v_clz_i32_u32_e32 v6, v3
	s_delay_alu instid0(VALU_DEP_2) | instskip(NEXT) | instid1(VALU_DEP_2)
	v_cmp_eq_u32_e32 vcc_lo, 0, v8
	v_min_u32_e32 v6, 32, v6
	s_delay_alu instid0(VALU_DEP_1) | instskip(NEXT) | instid1(VALU_DEP_1)
	v_subrev_nc_u32_e32 v7, 29, v6
	v_dual_lshlrev_b32 v1, v7, v1 :: v_dual_sub_nc_u32 v6, 30, v6
	s_delay_alu instid0(VALU_DEP_1) | instskip(NEXT) | instid1(VALU_DEP_1)
	v_dual_lshlrev_b32 v0, 24, v0 :: v_dual_bitop2_b32 v1, 3, v1 bitop3:0x40
	v_dual_cndmask_b32 v6, v8, v6 :: v_dual_cndmask_b32 v1, v3, v1
	s_delay_alu instid0(VALU_DEP_2) | instskip(NEXT) | instid1(VALU_DEP_2)
	v_and_b32_e32 v0, 0x80000000, v0
	v_lshl_add_u32 v3, v6, 23, 0x37800000
	s_delay_alu instid0(VALU_DEP_3) | instskip(NEXT) | instid1(VALU_DEP_1)
	v_lshlrev_b32_e32 v1, 21, v1
	v_or3_b32 v1, v0, v3, v1
.LBB18_912:
	s_or_b32 exec_lo, exec_lo, s8
	s_mov_b32 s7, 0
	s_branch .LBB18_918
.LBB18_913:
	s_mov_b32 s7, -1
                                        ; implicit-def: $vgpr1
	s_branch .LBB18_924
.LBB18_914:
	s_or_saveexec_b32 s9, s9
	v_mov_b32_e32 v1, 0x7f800001
	s_xor_b32 exec_lo, exec_lo, s9
	s_cbranch_execz .LBB18_897
.LBB18_915:
	v_cmp_ne_u16_e32 vcc_lo, 0, v0
	v_mov_b32_e32 v1, 0
	s_and_not1_b32 s8, s8, exec_lo
	s_and_b32 s10, vcc_lo, exec_lo
	s_delay_alu instid0(SALU_CYCLE_1)
	s_or_b32 s8, s8, s10
	s_or_b32 exec_lo, exec_lo, s9
	s_and_saveexec_b32 s9, s8
	s_cbranch_execnz .LBB18_898
	s_branch .LBB18_899
.LBB18_916:
	s_mov_b32 s7, -1
                                        ; implicit-def: $vgpr1
	s_branch .LBB18_921
.LBB18_917:
	s_mov_b32 s7, -1
                                        ; implicit-def: $vgpr1
.LBB18_918:
	s_delay_alu instid0(SALU_CYCLE_1)
	s_and_b32 vcc_lo, exec_lo, s7
	s_cbranch_vccz .LBB18_920
; %bb.919:
	global_load_u8 v0, v[4:5], off
	s_wait_loadcnt 0x0
	v_lshlrev_b32_e32 v0, 24, v0
	s_delay_alu instid0(VALU_DEP_1) | instskip(NEXT) | instid1(VALU_DEP_1)
	v_and_b32_e32 v1, 0x7f000000, v0
	v_clz_i32_u32_e32 v3, v1
	v_add_nc_u32_e32 v7, 0x1000000, v1
	v_cmp_ne_u32_e32 vcc_lo, 0, v1
	s_delay_alu instid0(VALU_DEP_3) | instskip(NEXT) | instid1(VALU_DEP_1)
	v_min_u32_e32 v3, 32, v3
	v_sub_nc_u32_e64 v3, v3, 4 clamp
	s_delay_alu instid0(VALU_DEP_1) | instskip(NEXT) | instid1(VALU_DEP_1)
	v_dual_lshlrev_b32 v6, v3, v1 :: v_dual_lshlrev_b32 v3, 23, v3
	v_lshrrev_b32_e32 v6, 4, v6
	s_delay_alu instid0(VALU_DEP_1) | instskip(SKIP_1) | instid1(VALU_DEP_2)
	v_sub_nc_u32_e32 v3, v6, v3
	v_ashrrev_i32_e32 v6, 8, v7
	v_add_nc_u32_e32 v3, 0x3c000000, v3
	s_delay_alu instid0(VALU_DEP_1) | instskip(NEXT) | instid1(VALU_DEP_1)
	v_and_or_b32 v3, 0x7f800000, v6, v3
	v_cndmask_b32_e32 v1, 0, v3, vcc_lo
	s_delay_alu instid0(VALU_DEP_1)
	v_and_or_b32 v1, 0x80000000, v0, v1
.LBB18_920:
	s_mov_b32 s7, 0
.LBB18_921:
	s_delay_alu instid0(SALU_CYCLE_1)
	s_and_not1_b32 vcc_lo, exec_lo, s7
	s_cbranch_vccnz .LBB18_923
; %bb.922:
	global_load_u8 v0, v[4:5], off
	s_wait_loadcnt 0x0
	v_lshlrev_b32_e32 v1, 25, v0
	v_lshlrev_b16 v0, 8, v0
	s_delay_alu instid0(VALU_DEP_1) | instskip(SKIP_1) | instid1(VALU_DEP_2)
	v_and_or_b32 v6, 0x7f00, v0, 0.5
	v_bfe_i32 v0, v0, 0, 16
	v_dual_add_f32 v6, -0.5, v6 :: v_dual_lshrrev_b32 v3, 4, v1
	v_cmp_gt_u32_e32 vcc_lo, 0x8000000, v1
	s_delay_alu instid0(VALU_DEP_2) | instskip(NEXT) | instid1(VALU_DEP_1)
	v_or_b32_e32 v3, 0x70000000, v3
	v_mul_f32_e32 v3, 0x7800000, v3
	s_delay_alu instid0(VALU_DEP_1) | instskip(NEXT) | instid1(VALU_DEP_1)
	v_cndmask_b32_e32 v1, v3, v6, vcc_lo
	v_and_or_b32 v1, 0x80000000, v0, v1
.LBB18_923:
	s_mov_b32 s7, 0
	s_mov_b32 s8, -1
.LBB18_924:
	s_and_not1_b32 vcc_lo, exec_lo, s7
	s_mov_b32 s7, 0
	s_cbranch_vccnz .LBB18_935
; %bb.925:
	s_cmp_gt_i32 s1, 14
	s_cbranch_scc0 .LBB18_928
; %bb.926:
	s_cmp_eq_u32 s1, 15
	s_cbranch_scc0 .LBB18_931
; %bb.927:
	global_load_u16 v0, v[4:5], off
	s_mov_b32 s6, 0
	s_mov_b32 s8, -1
	s_wait_loadcnt 0x0
	v_lshlrev_b32_e32 v1, 16, v0
	s_branch .LBB18_933
.LBB18_928:
	s_mov_b32 s7, -1
	s_branch .LBB18_932
.LBB18_929:
	s_or_saveexec_b32 s8, s8
	v_mov_b32_e32 v1, 0x7f800001
	s_xor_b32 exec_lo, exec_lo, s8
	s_cbranch_execz .LBB18_910
.LBB18_930:
	v_cmp_ne_u16_e32 vcc_lo, 0, v0
	v_mov_b32_e32 v1, 0
	s_and_not1_b32 s7, s7, exec_lo
	s_and_b32 s9, vcc_lo, exec_lo
	s_delay_alu instid0(SALU_CYCLE_1)
	s_or_b32 s7, s7, s9
	s_or_b32 exec_lo, exec_lo, s8
	s_and_saveexec_b32 s8, s7
	s_cbranch_execnz .LBB18_911
	s_branch .LBB18_912
.LBB18_931:
	s_mov_b32 s6, -1
.LBB18_932:
                                        ; implicit-def: $vgpr1
.LBB18_933:
	s_and_b32 vcc_lo, exec_lo, s7
	s_mov_b32 s7, 0
	s_cbranch_vccz .LBB18_935
; %bb.934:
	s_cmp_lg_u32 s1, 11
	s_mov_b32 s7, -1
	s_cselect_b32 s1, -1, 0
	s_and_not1_b32 s6, s6, exec_lo
	s_and_b32 s1, s1, exec_lo
	s_delay_alu instid0(SALU_CYCLE_1)
	s_or_b32 s6, s6, s1
.LBB18_935:
	s_mov_b32 s1, 0
.LBB18_936:
	s_delay_alu instid0(SALU_CYCLE_1)
	s_and_b32 s23, s1, exec_lo
	s_and_not1_b32 s1, s0, exec_lo
	s_and_b32 s6, s6, exec_lo
	s_and_b32 s24, s8, exec_lo
	s_and_b32 s22, s7, exec_lo
	s_or_b32 s25, s1, s6
.LBB18_937:
	s_wait_xcnt 0x0
	s_or_b32 exec_lo, exec_lo, s36
	s_delay_alu instid0(SALU_CYCLE_1)
	s_and_not1_b32 s0, s0, exec_lo
	s_and_b32 s1, s25, exec_lo
	s_and_b32 s24, s24, exec_lo
	s_and_b32 s23, s23, exec_lo
	s_and_b32 s22, s22, exec_lo
	s_or_b32 s0, s0, s1
.LBB18_938:
	s_or_b32 exec_lo, exec_lo, s27
	s_delay_alu instid0(SALU_CYCLE_1)
	s_and_not1_b32 s1, s43, exec_lo
	s_and_b32 s6, s26, exec_lo
	s_and_b32 s0, s0, exec_lo
	s_or_b32 s43, s1, s6
	s_and_not1_b32 s1, s42, exec_lo
	s_and_b32 s24, s24, exec_lo
	s_and_b32 s23, s23, exec_lo
	s_and_b32 s22, s22, exec_lo
	s_or_b32 s42, s1, s0
.LBB18_939:
	s_or_b32 exec_lo, exec_lo, s44
	s_delay_alu instid0(SALU_CYCLE_1)
	s_and_not1_b32 s0, s39, exec_lo
	s_and_b32 s1, s43, exec_lo
	s_and_b32 s6, s42, exec_lo
	s_or_b32 s39, s0, s1
	s_and_not1_b32 s1, s40, exec_lo
	s_and_b32 s0, s24, exec_lo
	s_and_b32 s23, s23, exec_lo
	;; [unrolled: 1-line block ×3, first 2 shown]
	s_or_b32 s40, s1, s6
	s_or_b32 exec_lo, exec_lo, s41
	s_mov_b32 s1, 0
	s_and_saveexec_b32 s6, s40
	s_cbranch_execz .LBB18_280
.LBB18_940:
	s_mov_b32 s1, exec_lo
	s_and_not1_b32 s17, s17, exec_lo
	s_trap 2
	s_or_b32 exec_lo, exec_lo, s6
	s_and_saveexec_b32 s6, s17
	s_delay_alu instid0(SALU_CYCLE_1)
	s_xor_b32 s6, exec_lo, s6
	s_cbranch_execnz .LBB18_281
.LBB18_941:
	s_or_b32 exec_lo, exec_lo, s6
	s_and_saveexec_b32 s6, s23
	s_cbranch_execz .LBB18_987
.LBB18_942:
	s_sext_i32_i16 s7, s13
	s_delay_alu instid0(SALU_CYCLE_1)
	s_cmp_lt_i32 s7, 5
	s_cbranch_scc1 .LBB18_947
; %bb.943:
	s_cmp_lt_i32 s7, 8
	s_cbranch_scc1 .LBB18_948
; %bb.944:
	;; [unrolled: 3-line block ×3, first 2 shown]
	s_cmp_gt_i32 s7, 9
	s_cbranch_scc0 .LBB18_950
; %bb.946:
	s_wait_loadcnt 0x0
	global_load_b64 v[0:1], v[4:5], off
	s_mov_b32 s7, 0
	s_wait_loadcnt 0x0
	v_cvt_f32_f64_e32 v1, v[0:1]
	s_branch .LBB18_951
.LBB18_947:
                                        ; implicit-def: $vgpr1
	s_branch .LBB18_968
.LBB18_948:
                                        ; implicit-def: $vgpr1
	s_branch .LBB18_957
.LBB18_949:
	s_mov_b32 s7, -1
                                        ; implicit-def: $vgpr1
	s_branch .LBB18_954
.LBB18_950:
	s_mov_b32 s7, -1
                                        ; implicit-def: $vgpr1
.LBB18_951:
	s_delay_alu instid0(SALU_CYCLE_1)
	s_and_not1_b32 vcc_lo, exec_lo, s7
	s_cbranch_vccnz .LBB18_953
; %bb.952:
	s_wait_loadcnt 0x0
	global_load_b32 v1, v[4:5], off
.LBB18_953:
	s_mov_b32 s7, 0
.LBB18_954:
	s_delay_alu instid0(SALU_CYCLE_1)
	s_and_not1_b32 vcc_lo, exec_lo, s7
	s_cbranch_vccnz .LBB18_956
; %bb.955:
	global_load_b32 v0, v[4:5], off
	s_wait_loadcnt 0x0
	v_cvt_f32_f16_e32 v1, v0
.LBB18_956:
	s_cbranch_execnz .LBB18_967
.LBB18_957:
	s_sext_i32_i16 s7, s13
	s_delay_alu instid0(SALU_CYCLE_1)
	s_cmp_lt_i32 s7, 6
	s_cbranch_scc1 .LBB18_960
; %bb.958:
	s_cmp_gt_i32 s7, 6
	s_cbranch_scc0 .LBB18_961
; %bb.959:
	s_wait_loadcnt 0x0
	global_load_b64 v[0:1], v[4:5], off
	s_mov_b32 s7, 0
	s_wait_loadcnt 0x0
	v_cvt_f32_f64_e32 v1, v[0:1]
	s_branch .LBB18_962
.LBB18_960:
	s_mov_b32 s7, -1
                                        ; implicit-def: $vgpr1
	s_branch .LBB18_965
.LBB18_961:
	s_mov_b32 s7, -1
                                        ; implicit-def: $vgpr1
.LBB18_962:
	s_delay_alu instid0(SALU_CYCLE_1)
	s_and_not1_b32 vcc_lo, exec_lo, s7
	s_cbranch_vccnz .LBB18_964
; %bb.963:
	s_wait_loadcnt 0x0
	global_load_b32 v1, v[4:5], off
.LBB18_964:
	s_mov_b32 s7, 0
.LBB18_965:
	s_delay_alu instid0(SALU_CYCLE_1)
	s_and_not1_b32 vcc_lo, exec_lo, s7
	s_cbranch_vccnz .LBB18_967
; %bb.966:
	global_load_u16 v0, v[4:5], off
	s_wait_loadcnt 0x0
	v_cvt_f32_f16_e32 v1, v0
.LBB18_967:
	s_cbranch_execnz .LBB18_986
.LBB18_968:
	s_sext_i32_i16 s7, s13
	s_delay_alu instid0(SALU_CYCLE_1)
	s_cmp_lt_i32 s7, 2
	s_cbranch_scc1 .LBB18_972
; %bb.969:
	s_cmp_lt_i32 s7, 3
	s_cbranch_scc1 .LBB18_973
; %bb.970:
	s_cmp_gt_i32 s7, 3
	s_cbranch_scc0 .LBB18_974
; %bb.971:
	s_wait_loadcnt 0x0
	global_load_b64 v[0:1], v[4:5], off
	s_mov_b32 s7, 0
	s_wait_loadcnt 0x0
	v_xor_b32_e32 v3, v0, v1
	v_cls_i32_e32 v6, v1
	s_delay_alu instid0(VALU_DEP_2) | instskip(NEXT) | instid1(VALU_DEP_1)
	v_ashrrev_i32_e32 v3, 31, v3
	v_add_nc_u32_e32 v3, 32, v3
	s_delay_alu instid0(VALU_DEP_1) | instskip(NEXT) | instid1(VALU_DEP_1)
	v_add_min_u32_e64 v3, v6, -1, v3
	v_lshlrev_b64_e32 v[0:1], v3, v[0:1]
	s_delay_alu instid0(VALU_DEP_1) | instskip(NEXT) | instid1(VALU_DEP_1)
	v_min_u32_e32 v0, 1, v0
	v_dual_sub_nc_u32 v1, 32, v3 :: v_dual_bitop2_b32 v0, v1, v0 bitop3:0x54
	s_delay_alu instid0(VALU_DEP_1) | instskip(NEXT) | instid1(VALU_DEP_1)
	v_cvt_f32_i32_e32 v0, v0
	v_ldexp_f32 v1, v0, v1
	s_branch .LBB18_975
.LBB18_972:
                                        ; implicit-def: $vgpr1
	s_branch .LBB18_981
.LBB18_973:
	s_mov_b32 s7, -1
                                        ; implicit-def: $vgpr1
	s_branch .LBB18_978
.LBB18_974:
	s_mov_b32 s7, -1
                                        ; implicit-def: $vgpr1
.LBB18_975:
	s_delay_alu instid0(SALU_CYCLE_1)
	s_and_not1_b32 vcc_lo, exec_lo, s7
	s_cbranch_vccnz .LBB18_977
; %bb.976:
	global_load_b32 v0, v[4:5], off
	s_wait_loadcnt 0x0
	v_cvt_f32_i32_e32 v1, v0
.LBB18_977:
	s_mov_b32 s7, 0
.LBB18_978:
	s_delay_alu instid0(SALU_CYCLE_1)
	s_and_not1_b32 vcc_lo, exec_lo, s7
	s_cbranch_vccnz .LBB18_980
; %bb.979:
	global_load_i16 v0, v[4:5], off
	s_wait_loadcnt 0x0
	v_cvt_f32_i32_e32 v1, v0
.LBB18_980:
	s_cbranch_execnz .LBB18_986
.LBB18_981:
	s_sext_i32_i16 s7, s13
	s_delay_alu instid0(SALU_CYCLE_1)
	s_cmp_gt_i32 s7, 0
	s_mov_b32 s7, 0
	s_cbranch_scc0 .LBB18_983
; %bb.982:
	global_load_i8 v0, v[4:5], off
	s_wait_loadcnt 0x0
	v_cvt_f32_i32_e32 v1, v0
	s_branch .LBB18_984
.LBB18_983:
	s_mov_b32 s7, -1
                                        ; implicit-def: $vgpr1
.LBB18_984:
	s_delay_alu instid0(SALU_CYCLE_1)
	s_and_not1_b32 vcc_lo, exec_lo, s7
	s_cbranch_vccnz .LBB18_986
; %bb.985:
	global_load_u8 v0, v[4:5], off
	s_wait_loadcnt 0x0
	v_cvt_f32_ubyte0_e32 v1, v0
.LBB18_986:
	s_or_b32 s0, s0, exec_lo
.LBB18_987:
	s_wait_xcnt 0x0
	s_or_b32 exec_lo, exec_lo, s6
	s_mov_b32 s9, 0
	s_mov_b32 s8, 0
                                        ; implicit-def: $sgpr6
                                        ; implicit-def: $vgpr4_vgpr5
                                        ; implicit-def: $vgpr0
	s_and_saveexec_b32 s7, s0
	s_cbranch_execz .LBB18_999
; %bb.988:
	s_wait_loadcnt 0x0
	s_delay_alu instid0(VALU_DEP_1) | instskip(SKIP_2) | instid1(SALU_CYCLE_1)
	v_cmp_ge_f32_e64 s0, 0x41000000, |v1|
	v_mul_f32_e64 v3, 0x3fb8aa3b, |v1|
                                        ; implicit-def: $vgpr0
	s_and_saveexec_b32 s6, s0
	s_xor_b32 s0, exec_lo, s6
	s_cbranch_execz .LBB18_990
; %bb.989:
	v_fma_f32 v0, |v1|, 0.5, -2.0
	s_mov_b32 s6, 0xa2a2e5b9
	v_rndne_f32_e32 v6, v3
	v_fma_f32 v7, 0x3fb8aa3b, |v1|, -v3
	v_cmp_ngt_f32_e64 vcc_lo, 0xc2ce8ed0, |v1|
	s_delay_alu instid0(VALU_DEP_3) | instskip(NEXT) | instid1(VALU_DEP_3)
	v_dual_fmaak_f32 v4, s6, v0, 0x24199b15 :: v_dual_sub_f32 v3, v3, v6
	v_fma_f32 v7, 0x32a5705f, |v1|, v7
	v_cvt_i32_f32_e32 v6, v6
	s_delay_alu instid0(VALU_DEP_3) | instskip(NEXT) | instid1(VALU_DEP_3)
	v_fmaak_f32 v5, v0, v4, 0x22a2e5b9
	v_add_f32_e32 v3, v3, v7
	s_delay_alu instid0(VALU_DEP_2) | instskip(NEXT) | instid1(VALU_DEP_2)
	v_add_f32_e32 v5, 0xa58c275c, v5
	v_exp_f32_e32 v3, v3
	s_delay_alu instid0(VALU_DEP_1) | instskip(NEXT) | instid1(TRANS32_DEP_1)
	v_fma_f32 v4, v0, v5, -v4
	v_ldexp_f32 v3, v3, v6
	s_delay_alu instid0(VALU_DEP_1) | instskip(NEXT) | instid1(VALU_DEP_1)
	v_dual_add_f32 v4, 0x26f736c5, v4 :: v_dual_cndmask_b32 v3, 0, v3
	v_fma_f32 v5, v0, v4, -v5
	v_cmp_nlt_f32_e64 vcc_lo, 0x42b17218, |v1|
	s_delay_alu instid0(VALU_DEP_3) | instskip(NEXT) | instid1(VALU_DEP_3)
	v_cndmask_b32_e32 v1, 0x7f800000, v3, vcc_lo
	v_add_f32_e32 v5, 0xa8528116, v5
                                        ; implicit-def: $vgpr3
	s_delay_alu instid0(VALU_DEP_1) | instskip(NEXT) | instid1(VALU_DEP_1)
	v_fma_f32 v4, v0, v5, -v4
	v_add_f32_e32 v4, 0x29acda32, v4
	s_delay_alu instid0(VALU_DEP_1) | instskip(NEXT) | instid1(VALU_DEP_1)
	v_fma_f32 v5, v0, v4, -v5
	v_add_f32_e32 v5, 0xab08b263, v5
	;; [unrolled: 3-line block ×25, first 2 shown]
	s_delay_alu instid0(VALU_DEP_1) | instskip(NEXT) | instid1(VALU_DEP_1)
	v_sub_f32_e32 v0, v0, v4
	v_mul_f32_e32 v0, 0.5, v0
	s_delay_alu instid0(VALU_DEP_1)
	v_mul_f32_e32 v0, v1, v0
                                        ; implicit-def: $vgpr1
.LBB18_990:
	s_and_not1_saveexec_b32 s6, s0
	s_cbranch_execz .LBB18_992
; %bb.991:
	v_and_b32_e32 v0, 0x7fffffff, v1
	v_fma_f32 v8, 0x3fb8aa3b, |v1|, -v3
	s_mov_b32 s0, 0xa3056dbb
	s_delay_alu instid0(VALU_DEP_2) | instskip(SKIP_1) | instid1(VALU_DEP_3)
	v_div_scale_f32 v4, null, v0, v0, 0x42000000
	v_div_scale_f32 v0, vcc_lo, 0x42000000, v0, 0x42000000
	v_fma_f32 v8, 0x32a5705f, |v1|, v8
	s_delay_alu instid0(VALU_DEP_3) | instskip(SKIP_1) | instid1(TRANS32_DEP_1)
	v_rcp_f32_e32 v5, v4
	v_nop
	v_fma_f32 v6, -v4, v5, 1.0
	s_delay_alu instid0(VALU_DEP_1) | instskip(NEXT) | instid1(VALU_DEP_1)
	v_fmac_f32_e32 v5, v6, v5
	v_mul_f32_e32 v6, v0, v5
	s_delay_alu instid0(VALU_DEP_1) | instskip(NEXT) | instid1(VALU_DEP_1)
	v_fma_f32 v7, -v4, v6, v0
	v_fmac_f32_e32 v6, v7, v5
	v_rndne_f32_e32 v7, v3
	s_delay_alu instid0(VALU_DEP_1) | instskip(SKIP_1) | instid1(VALU_DEP_2)
	v_dual_fma_f32 v0, -v4, v6, v0 :: v_dual_sub_f32 v3, v3, v7
	v_cvt_i32_f32_e32 v7, v7
	v_div_fmas_f32 v0, v0, v5, v6
	v_mul_f32_e64 v6, 0x4f800000, |v1|
	v_cmp_gt_f32_e64 vcc_lo, 0xf800000, |v1|
	v_add_f32_e32 v3, v3, v8
	s_delay_alu instid0(VALU_DEP_4) | instskip(NEXT) | instid1(VALU_DEP_3)
	v_div_fixup_f32 v0, v0, |v1|, 0x42000000
	v_cndmask_b32_e64 v6, |v1|, v6, vcc_lo
	s_delay_alu instid0(VALU_DEP_3) | instskip(NEXT) | instid1(VALU_DEP_2)
	v_exp_f32_e32 v3, v3
	v_add_f32_e32 v0, -2.0, v0
	s_delay_alu instid0(VALU_DEP_2) | instskip(NEXT) | instid1(VALU_DEP_1)
	v_sqrt_f32_e32 v9, v6
	v_fmaak_f32 v4, s0, v0, 0xa2b236d3
	s_delay_alu instid0(TRANS32_DEP_2)
	v_ldexp_f32 v3, v3, v7
	s_delay_alu instid0(TRANS32_DEP_1) | instid1(VALU_DEP_2)
	v_dual_fmaak_f32 v5, v0, v4, 0x23056dbb :: v_dual_add_nc_u32 v10, -1, v9
	s_delay_alu instid0(VALU_DEP_1) | instskip(NEXT) | instid1(VALU_DEP_2)
	v_dual_add_nc_u32 v8, 1, v9 :: v_dual_fma_f32 v11, -v10, v9, v6
	v_add_f32_e32 v5, 0x244df0c1, v5
	s_delay_alu instid0(VALU_DEP_2) | instskip(NEXT) | instid1(VALU_DEP_3)
	v_fma_f32 v12, -v8, v9, v6
	v_cmp_ge_f32_e64 s0, 0, v11
	s_delay_alu instid0(VALU_DEP_1) | instskip(NEXT) | instid1(VALU_DEP_1)
	v_dual_fma_f32 v4, v0, v5, -v4 :: v_dual_cndmask_b32 v9, v9, v10, s0
	v_add_f32_e32 v4, 0x241f9ee8, v4
	s_delay_alu instid0(VALU_DEP_4) | instskip(NEXT) | instid1(VALU_DEP_2)
	v_cmp_lt_f32_e64 s0, 0, v12
	v_fma_f32 v5, v0, v4, -v5
	s_delay_alu instid0(VALU_DEP_1) | instskip(NEXT) | instid1(VALU_DEP_1)
	v_add_f32_e32 v5, 0xa5a3005d, v5
	v_fma_f32 v4, v0, v5, -v4
	s_delay_alu instid0(VALU_DEP_1) | instskip(NEXT) | instid1(VALU_DEP_1)
	v_add_f32_e32 v4, 0xa5c5773f, v4
	v_fma_f32 v5, v0, v4, -v5
	s_delay_alu instid0(VALU_DEP_1) | instskip(NEXT) | instid1(VALU_DEP_1)
	v_add_f32_e32 v5, 0x26ff73ed, v5
	v_fma_f32 v4, v0, v5, -v4
	s_delay_alu instid0(VALU_DEP_1) | instskip(NEXT) | instid1(VALU_DEP_1)
	v_add_f32_e32 v4, 0x2789548d, v4
	v_fma_f32 v5, v0, v4, -v5
	s_delay_alu instid0(VALU_DEP_1) | instskip(NEXT) | instid1(VALU_DEP_1)
	v_add_f32_e32 v5, 0xa82c1ff4, v5
	v_fma_f32 v4, v0, v5, -v4
	s_delay_alu instid0(VALU_DEP_1) | instskip(NEXT) | instid1(VALU_DEP_1)
	v_add_f32_e32 v4, 0xa93aecce, v4
	v_fma_f32 v5, v0, v4, -v5
	s_delay_alu instid0(VALU_DEP_1) | instskip(NEXT) | instid1(VALU_DEP_1)
	v_add_f32_e32 v5, 0x288ab7f8, v5
	v_fma_f32 v4, v0, v5, -v4
	s_delay_alu instid0(VALU_DEP_1) | instskip(NEXT) | instid1(VALU_DEP_1)
	v_add_f32_e32 v4, 0x2ad8e463, v4
	v_fma_f32 v5, v0, v4, -v5
	s_delay_alu instid0(VALU_DEP_1) | instskip(NEXT) | instid1(VALU_DEP_1)
	v_add_f32_e32 v5, 0x2b4a1a40, v5
	v_fma_f32 v4, v0, v5, -v4
	s_delay_alu instid0(VALU_DEP_1) | instskip(NEXT) | instid1(VALU_DEP_1)
	v_add_f32_e32 v4, 0xabfc8218, v4
	v_fma_f32 v5, v0, v4, -v5
	s_delay_alu instid0(VALU_DEP_1) | instskip(NEXT) | instid1(VALU_DEP_1)
	v_add_f32_e32 v5, 0xad687eba, v5
	v_fma_f32 v4, v0, v5, -v4
	s_delay_alu instid0(VALU_DEP_1) | instskip(NEXT) | instid1(VALU_DEP_1)
	v_add_f32_e32 v4, 0xae0a88e8, v4
	v_fma_f32 v5, v0, v4, -v5
	s_delay_alu instid0(VALU_DEP_1) | instskip(NEXT) | instid1(VALU_DEP_1)
	v_add_f32_e32 v5, 0x2d5127f5, v5
	v_fma_f32 v4, v0, v5, -v4
	s_delay_alu instid0(VALU_DEP_1) | instskip(NEXT) | instid1(VALU_DEP_1)
	v_add_f32_e32 v4, 0x3007ce66, v4
	v_fma_f32 v5, v0, v4, -v5
	s_delay_alu instid0(VALU_DEP_1) | instskip(NEXT) | instid1(VALU_DEP_1)
	v_add_f32_e32 v5, 0x31696325, v5
	v_fma_f32 v4, v0, v5, -v4
	s_delay_alu instid0(VALU_DEP_1) | instskip(NEXT) | instid1(VALU_DEP_1)
	v_add_f32_e32 v4, 0x32c2b494, v4
	v_fma_f32 v5, v0, v4, -v5
	s_delay_alu instid0(VALU_DEP_1) | instskip(NEXT) | instid1(VALU_DEP_1)
	v_add_f32_e32 v5, 0x345c003f, v5
	v_fma_f32 v4, v0, v5, -v4
	s_delay_alu instid0(VALU_DEP_1) | instskip(NEXT) | instid1(VALU_DEP_1)
	v_add_f32_e32 v4, 0x3642095e, v4
	v_fma_f32 v5, v0, v4, -v5
	s_delay_alu instid0(VALU_DEP_1) | instskip(NEXT) | instid1(VALU_DEP_1)
	v_add_f32_e32 v5, 0x38907d1c, v5
	v_fma_f32 v4, v0, v5, -v4
	s_delay_alu instid0(VALU_DEP_1) | instskip(NEXT) | instid1(VALU_DEP_1)
	v_add_f32_e32 v4, 0x3b5ccc65, v4
	v_fma_f32 v0, v0, v4, -v5
	v_cndmask_b32_e64 v4, v9, v8, s0
	v_cmp_ngt_f32_e64 s0, 0xc2ce8ed0, |v1|
	s_delay_alu instid0(VALU_DEP_2) | instskip(NEXT) | instid1(VALU_DEP_4)
	v_mul_f32_e32 v7, 0x37800000, v4
	v_add_f32_e32 v0, 0x3f4df315, v0
	s_delay_alu instid0(VALU_DEP_3) | instskip(SKIP_1) | instid1(VALU_DEP_1)
	v_cndmask_b32_e64 v3, 0, v3, s0
	v_cmp_nlt_f32_e64 s0, 0x42b17218, |v1|
	v_cndmask_b32_e64 v1, 0x7f800000, v3, s0
	v_cndmask_b32_e32 v3, v4, v7, vcc_lo
	v_sub_f32_e32 v0, v0, v5
	v_cmp_class_f32_e64 vcc_lo, v6, 0x260
	s_delay_alu instid0(VALU_DEP_2) | instskip(NEXT) | instid1(VALU_DEP_1)
	v_dual_mul_f32 v0, 0.5, v0 :: v_dual_cndmask_b32 v3, v3, v6
	v_mul_f32_e32 v0, v1, v0
	s_delay_alu instid0(VALU_DEP_1) | instskip(NEXT) | instid1(VALU_DEP_1)
	v_div_scale_f32 v1, null, v3, v3, v0
	v_rcp_f32_e32 v4, v1
	v_nop
	s_delay_alu instid0(TRANS32_DEP_1) | instskip(NEXT) | instid1(VALU_DEP_1)
	v_fma_f32 v5, -v1, v4, 1.0
	v_fmac_f32_e32 v4, v5, v4
	v_div_scale_f32 v5, vcc_lo, v0, v3, v0
	s_delay_alu instid0(VALU_DEP_1) | instskip(NEXT) | instid1(VALU_DEP_1)
	v_mul_f32_e32 v6, v5, v4
	v_fma_f32 v7, -v1, v6, v5
	s_delay_alu instid0(VALU_DEP_1) | instskip(NEXT) | instid1(VALU_DEP_1)
	v_fmac_f32_e32 v6, v7, v4
	v_fma_f32 v1, -v1, v6, v5
	s_delay_alu instid0(VALU_DEP_1) | instskip(NEXT) | instid1(VALU_DEP_1)
	v_div_fmas_f32 v1, v1, v4, v6
	v_div_fixup_f32 v0, v1, v3, v0
.LBB18_992:
	s_or_b32 exec_lo, exec_lo, s6
	v_mov_b32_e32 v3, 0
	s_and_b32 s6, s34, 0xff
	s_delay_alu instid0(SALU_CYCLE_1) | instskip(NEXT) | instid1(VALU_DEP_1)
	s_cmp_lt_i32 s6, 11
	v_add_nc_u64_e32 v[4:5], s[4:5], v[2:3]
	s_cbranch_scc1 .LBB18_1002
; %bb.993:
	s_and_b32 s4, 0xffff, s6
	s_mov_b32 s5, -1
	s_cmp_gt_i32 s4, 25
	s_mov_b32 s0, s39
	s_cbranch_scc0 .LBB18_1030
; %bb.994:
	s_cmp_gt_i32 s4, 28
	s_mov_b32 s0, s39
	s_cbranch_scc0 .LBB18_1014
; %bb.995:
	;; [unrolled: 4-line block ×4, first 2 shown]
	s_cmp_eq_u32 s4, 46
	s_mov_b32 s0, -1
	s_cbranch_scc0 .LBB18_1003
; %bb.998:
	v_bfe_u32 v1, v0, 16, 1
	v_cmp_o_f32_e32 vcc_lo, v0, v0
	s_mov_b32 s0, 0
	s_mov_b32 s5, 0
	s_delay_alu instid0(VALU_DEP_2) | instskip(NEXT) | instid1(VALU_DEP_1)
	v_add3_u32 v1, v0, v1, 0x7fff
	v_lshrrev_b32_e32 v1, 16, v1
	s_delay_alu instid0(VALU_DEP_1)
	v_cndmask_b32_e32 v1, 0x7fc0, v1, vcc_lo
	global_store_b32 v[4:5], v1, off
	s_branch .LBB18_1004
.LBB18_999:
	s_or_b32 exec_lo, exec_lo, s7
	s_and_saveexec_b32 s0, s39
	s_cbranch_execnz .LBB18_1072
.LBB18_1000:
	s_or_b32 exec_lo, exec_lo, s0
	s_and_saveexec_b32 s0, s9
	s_delay_alu instid0(SALU_CYCLE_1)
	s_xor_b32 s0, exec_lo, s0
	s_cbranch_execz .LBB18_1073
.LBB18_1001:
	v_cmp_neq_f32_e32 vcc_lo, 0, v0
	s_wait_loadcnt 0x0
	v_cndmask_b32_e64 v1, 0, 1, vcc_lo
	global_store_b8 v[4:5], v1, off
	s_wait_xcnt 0x0
	s_or_b32 exec_lo, exec_lo, s0
	s_and_saveexec_b32 s0, s8
	s_delay_alu instid0(SALU_CYCLE_1)
	s_xor_b32 s0, exec_lo, s0
	s_cbranch_execz .LBB18_1111
	s_branch .LBB18_1074
.LBB18_1002:
	s_mov_b32 s5, -1
	s_mov_b32 s0, s39
	s_branch .LBB18_1071
.LBB18_1003:
	s_mov_b32 s5, 0
.LBB18_1004:
	s_delay_alu instid0(SALU_CYCLE_1)
	s_and_b32 vcc_lo, exec_lo, s5
	s_cbranch_vccz .LBB18_1009
; %bb.1005:
	s_cmp_eq_u32 s4, 44
	s_mov_b32 s0, -1
	s_cbranch_scc0 .LBB18_1009
; %bb.1006:
	v_bfe_u32 v2, v0, 23, 8
	s_wait_xcnt 0x0
	v_mov_b32_e32 v1, 0xff
	s_mov_b32 s5, exec_lo
	s_delay_alu instid0(VALU_DEP_2)
	v_cmpx_ne_u32_e32 0xff, v2
	s_cbranch_execz .LBB18_1008
; %bb.1007:
	v_and_b32_e32 v1, 0x400000, v0
	v_and_or_b32 v2, 0x3fffff, v0, v2
	s_delay_alu instid0(VALU_DEP_2) | instskip(NEXT) | instid1(VALU_DEP_2)
	v_cmp_ne_u32_e32 vcc_lo, 0, v1
	v_cmp_ne_u32_e64 s0, 0, v2
	v_lshrrev_b32_e32 v1, 23, v0
	s_and_b32 s0, vcc_lo, s0
	s_delay_alu instid0(SALU_CYCLE_1) | instskip(NEXT) | instid1(VALU_DEP_1)
	v_cndmask_b32_e64 v2, 0, 1, s0
	v_add_nc_u32_e32 v1, v1, v2
.LBB18_1008:
	s_or_b32 exec_lo, exec_lo, s5
	s_mov_b32 s0, 0
	global_store_b8 v[4:5], v1, off
.LBB18_1009:
	s_mov_b32 s5, 0
.LBB18_1010:
	s_delay_alu instid0(SALU_CYCLE_1)
	s_and_b32 vcc_lo, exec_lo, s5
	s_cbranch_vccz .LBB18_1013
; %bb.1011:
	s_cmp_eq_u32 s4, 29
	s_mov_b32 s0, -1
	s_cbranch_scc0 .LBB18_1013
; %bb.1012:
	s_wait_xcnt 0x0
	v_trunc_f32_e32 v1, v0
	s_mov_b32 s0, 0
	s_mov_b32 s5, 0
	s_delay_alu instid0(VALU_DEP_1) | instskip(NEXT) | instid1(VALU_DEP_1)
	v_mul_f32_e32 v2, 0x2f800000, v1
	v_floor_f32_e32 v2, v2
	s_delay_alu instid0(VALU_DEP_1) | instskip(SKIP_1) | instid1(VALU_DEP_2)
	v_fmamk_f32 v1, v2, 0xcf800000, v1
	v_cvt_u32_f32_e32 v3, v2
	v_cvt_u32_f32_e32 v2, v1
	global_store_b64 v[4:5], v[2:3], off
	s_branch .LBB18_1014
.LBB18_1013:
	s_mov_b32 s5, 0
.LBB18_1014:
	s_delay_alu instid0(SALU_CYCLE_1)
	s_and_b32 vcc_lo, exec_lo, s5
	s_cbranch_vccz .LBB18_1029
; %bb.1015:
	s_cmp_lt_i32 s4, 27
	s_mov_b32 s5, -1
	s_cbranch_scc1 .LBB18_1021
; %bb.1016:
	s_cmp_gt_i32 s4, 27
	s_cbranch_scc0 .LBB18_1018
; %bb.1017:
	s_wait_xcnt 0x0
	v_cvt_u32_f32_e32 v1, v0
	s_mov_b32 s5, 0
	global_store_b32 v[4:5], v1, off
.LBB18_1018:
	s_and_not1_b32 vcc_lo, exec_lo, s5
	s_cbranch_vccnz .LBB18_1020
; %bb.1019:
	s_wait_xcnt 0x0
	v_cvt_u32_f32_e32 v1, v0
	global_store_b16 v[4:5], v1, off
.LBB18_1020:
	s_mov_b32 s5, 0
.LBB18_1021:
	s_delay_alu instid0(SALU_CYCLE_1)
	s_and_not1_b32 vcc_lo, exec_lo, s5
	s_cbranch_vccnz .LBB18_1029
; %bb.1022:
	s_wait_xcnt 0x0
	v_and_b32_e32 v1, 0x7fffffff, v0
	v_mov_b32_e32 v2, 0x80
	s_mov_b32 s5, exec_lo
	s_delay_alu instid0(VALU_DEP_2)
	v_cmpx_gt_u32_e32 0x43800000, v1
	s_cbranch_execz .LBB18_1028
; %bb.1023:
	v_cmp_lt_u32_e32 vcc_lo, 0x3bffffff, v1
                                        ; implicit-def: $vgpr1
	s_and_saveexec_b32 s9, vcc_lo
	s_delay_alu instid0(SALU_CYCLE_1)
	s_xor_b32 s9, exec_lo, s9
	s_cbranch_execz .LBB18_1186
; %bb.1024:
	v_bfe_u32 v1, v0, 20, 1
	s_mov_b32 s8, exec_lo
	s_delay_alu instid0(VALU_DEP_1) | instskip(NEXT) | instid1(VALU_DEP_1)
	v_add3_u32 v1, v0, v1, 0x487ffff
	v_lshrrev_b32_e32 v1, 20, v1
	s_and_not1_saveexec_b32 s9, s9
	s_cbranch_execnz .LBB18_1187
.LBB18_1025:
	s_or_b32 exec_lo, exec_lo, s9
	v_mov_b32_e32 v2, 0
	s_and_saveexec_b32 s9, s8
.LBB18_1026:
	v_lshrrev_b32_e32 v2, 24, v0
	s_delay_alu instid0(VALU_DEP_1)
	v_and_or_b32 v2, 0x80, v2, v1
.LBB18_1027:
	s_or_b32 exec_lo, exec_lo, s9
.LBB18_1028:
	s_delay_alu instid0(SALU_CYCLE_1)
	s_or_b32 exec_lo, exec_lo, s5
	global_store_b8 v[4:5], v2, off
.LBB18_1029:
	s_mov_b32 s5, 0
.LBB18_1030:
	s_delay_alu instid0(SALU_CYCLE_1)
	s_and_b32 vcc_lo, exec_lo, s5
	s_mov_b32 s5, 0
	s_cbranch_vccz .LBB18_1070
; %bb.1031:
	s_cmp_gt_i32 s4, 22
	s_mov_b32 s8, -1
	s_cbranch_scc0 .LBB18_1063
; %bb.1032:
	s_cmp_lt_i32 s4, 24
	s_cbranch_scc1 .LBB18_1052
; %bb.1033:
	s_cmp_gt_i32 s4, 24
	s_cbranch_scc0 .LBB18_1041
; %bb.1034:
	s_wait_xcnt 0x0
	v_and_b32_e32 v1, 0x7fffffff, v0
	v_mov_b32_e32 v2, 0x80
	s_mov_b32 s8, exec_lo
	s_delay_alu instid0(VALU_DEP_2)
	v_cmpx_gt_u32_e32 0x47800000, v1
	s_cbranch_execz .LBB18_1040
; %bb.1035:
	v_cmp_lt_u32_e32 vcc_lo, 0x37ffffff, v1
	s_mov_b32 s9, 0
                                        ; implicit-def: $vgpr1
	s_and_saveexec_b32 s10, vcc_lo
	s_delay_alu instid0(SALU_CYCLE_1)
	s_xor_b32 s10, exec_lo, s10
	s_cbranch_execz .LBB18_1316
; %bb.1036:
	v_bfe_u32 v1, v0, 21, 1
	s_mov_b32 s9, exec_lo
	s_delay_alu instid0(VALU_DEP_1) | instskip(NEXT) | instid1(VALU_DEP_1)
	v_add3_u32 v1, v0, v1, 0x88fffff
	v_lshrrev_b32_e32 v1, 21, v1
	s_and_not1_saveexec_b32 s10, s10
	s_cbranch_execnz .LBB18_1317
.LBB18_1037:
	s_or_b32 exec_lo, exec_lo, s10
	v_mov_b32_e32 v2, 0
	s_and_saveexec_b32 s10, s9
.LBB18_1038:
	v_lshrrev_b32_e32 v2, 24, v0
	s_delay_alu instid0(VALU_DEP_1)
	v_and_or_b32 v2, 0x80, v2, v1
.LBB18_1039:
	s_or_b32 exec_lo, exec_lo, s10
.LBB18_1040:
	s_delay_alu instid0(SALU_CYCLE_1)
	s_or_b32 exec_lo, exec_lo, s8
	s_mov_b32 s8, 0
	global_store_b8 v[4:5], v2, off
.LBB18_1041:
	s_and_b32 vcc_lo, exec_lo, s8
	s_cbranch_vccz .LBB18_1051
; %bb.1042:
	s_wait_xcnt 0x0
	v_and_b32_e32 v2, 0x7fffffff, v0
	s_mov_b32 s8, exec_lo
                                        ; implicit-def: $vgpr1
	s_delay_alu instid0(VALU_DEP_1)
	v_cmpx_gt_u32_e32 0x43f00000, v2
	s_xor_b32 s8, exec_lo, s8
	s_cbranch_execz .LBB18_1048
; %bb.1043:
	s_mov_b32 s9, exec_lo
                                        ; implicit-def: $vgpr1
	v_cmpx_lt_u32_e32 0x3c7fffff, v2
	s_xor_b32 s9, exec_lo, s9
; %bb.1044:
	v_bfe_u32 v1, v0, 20, 1
	s_delay_alu instid0(VALU_DEP_1) | instskip(NEXT) | instid1(VALU_DEP_1)
	v_add3_u32 v1, v0, v1, 0x407ffff
	v_and_b32_e32 v2, 0xff00000, v1
	v_lshrrev_b32_e32 v1, 20, v1
	s_delay_alu instid0(VALU_DEP_2) | instskip(NEXT) | instid1(VALU_DEP_2)
	v_cmp_ne_u32_e32 vcc_lo, 0x7f00000, v2
	v_cndmask_b32_e32 v1, 0x7e, v1, vcc_lo
; %bb.1045:
	s_and_not1_saveexec_b32 s9, s9
; %bb.1046:
	v_add_f32_e64 v1, 0x46800000, |v0|
; %bb.1047:
	s_or_b32 exec_lo, exec_lo, s9
                                        ; implicit-def: $vgpr2
.LBB18_1048:
	s_and_not1_saveexec_b32 s8, s8
; %bb.1049:
	v_mov_b32_e32 v1, 0x7f
	v_cmp_lt_u32_e32 vcc_lo, 0x7f800000, v2
	s_delay_alu instid0(VALU_DEP_2)
	v_cndmask_b32_e32 v1, 0x7e, v1, vcc_lo
; %bb.1050:
	s_or_b32 exec_lo, exec_lo, s8
	v_lshrrev_b32_e32 v2, 24, v0
	s_delay_alu instid0(VALU_DEP_1)
	v_and_or_b32 v1, 0x80, v2, v1
	global_store_b8 v[4:5], v1, off
.LBB18_1051:
	s_mov_b32 s8, 0
.LBB18_1052:
	s_delay_alu instid0(SALU_CYCLE_1)
	s_and_not1_b32 vcc_lo, exec_lo, s8
	s_cbranch_vccnz .LBB18_1062
; %bb.1053:
	s_wait_xcnt 0x0
	v_and_b32_e32 v2, 0x7fffffff, v0
	s_mov_b32 s8, exec_lo
                                        ; implicit-def: $vgpr1
	s_delay_alu instid0(VALU_DEP_1)
	v_cmpx_gt_u32_e32 0x47800000, v2
	s_xor_b32 s8, exec_lo, s8
	s_cbranch_execz .LBB18_1059
; %bb.1054:
	s_mov_b32 s9, exec_lo
                                        ; implicit-def: $vgpr1
	v_cmpx_lt_u32_e32 0x387fffff, v2
	s_xor_b32 s9, exec_lo, s9
; %bb.1055:
	v_bfe_u32 v1, v0, 21, 1
	s_delay_alu instid0(VALU_DEP_1) | instskip(NEXT) | instid1(VALU_DEP_1)
	v_add3_u32 v1, v0, v1, 0x80fffff
	v_lshrrev_b32_e32 v1, 21, v1
; %bb.1056:
	s_and_not1_saveexec_b32 s9, s9
; %bb.1057:
	v_add_f32_e64 v1, 0x43000000, |v0|
; %bb.1058:
	s_or_b32 exec_lo, exec_lo, s9
                                        ; implicit-def: $vgpr2
.LBB18_1059:
	s_and_not1_saveexec_b32 s8, s8
; %bb.1060:
	v_mov_b32_e32 v1, 0x7f
	v_cmp_lt_u32_e32 vcc_lo, 0x7f800000, v2
	s_delay_alu instid0(VALU_DEP_2)
	v_cndmask_b32_e32 v1, 0x7c, v1, vcc_lo
; %bb.1061:
	s_or_b32 exec_lo, exec_lo, s8
	v_lshrrev_b32_e32 v2, 24, v0
	s_delay_alu instid0(VALU_DEP_1)
	v_and_or_b32 v1, 0x80, v2, v1
	global_store_b8 v[4:5], v1, off
.LBB18_1062:
	s_mov_b32 s8, 0
.LBB18_1063:
	s_delay_alu instid0(SALU_CYCLE_1)
	s_and_not1_b32 vcc_lo, exec_lo, s8
	s_mov_b32 s9, 0
	s_cbranch_vccnz .LBB18_1071
; %bb.1064:
	s_cmp_gt_i32 s4, 14
	s_mov_b32 s8, -1
	s_cbranch_scc0 .LBB18_1068
; %bb.1065:
	s_cmp_eq_u32 s4, 15
	s_mov_b32 s0, -1
	s_cbranch_scc0 .LBB18_1067
; %bb.1066:
	s_wait_xcnt 0x0
	v_bfe_u32 v1, v0, 16, 1
	v_cmp_o_f32_e32 vcc_lo, v0, v0
	s_mov_b32 s0, 0
	s_delay_alu instid0(VALU_DEP_2) | instskip(NEXT) | instid1(VALU_DEP_1)
	v_add3_u32 v1, v0, v1, 0x7fff
	v_lshrrev_b32_e32 v1, 16, v1
	s_delay_alu instid0(VALU_DEP_1)
	v_cndmask_b32_e32 v1, 0x7fc0, v1, vcc_lo
	global_store_b16 v[4:5], v1, off
.LBB18_1067:
	s_mov_b32 s8, 0
.LBB18_1068:
	s_delay_alu instid0(SALU_CYCLE_1)
	s_and_b32 vcc_lo, exec_lo, s8
	s_cbranch_vccz .LBB18_1071
; %bb.1069:
	s_cmp_lg_u32 s4, 11
	s_mov_b32 s9, -1
	s_cselect_b32 s4, -1, 0
	s_and_not1_b32 s0, s0, exec_lo
	s_and_b32 s4, s4, exec_lo
	s_delay_alu instid0(SALU_CYCLE_1)
	s_or_b32 s0, s0, s4
	s_branch .LBB18_1071
.LBB18_1070:
	s_mov_b32 s9, 0
.LBB18_1071:
	s_and_not1_b32 s4, s39, exec_lo
	s_and_b32 s0, s0, exec_lo
	s_and_b32 s8, s5, exec_lo
	;; [unrolled: 1-line block ×3, first 2 shown]
	s_or_b32 s39, s4, s0
	s_wait_xcnt 0x0
	s_or_b32 exec_lo, exec_lo, s7
	s_and_saveexec_b32 s0, s39
	s_cbranch_execz .LBB18_1000
.LBB18_1072:
	s_or_b32 s1, s1, exec_lo
	s_and_not1_b32 s9, s9, exec_lo
	s_trap 2
	s_or_b32 exec_lo, exec_lo, s0
	s_and_saveexec_b32 s0, s9
	s_delay_alu instid0(SALU_CYCLE_1)
	s_xor_b32 s0, exec_lo, s0
	s_cbranch_execnz .LBB18_1001
.LBB18_1073:
	s_or_b32 exec_lo, exec_lo, s0
	s_and_saveexec_b32 s0, s8
	s_delay_alu instid0(SALU_CYCLE_1)
	s_xor_b32 s0, exec_lo, s0
	s_cbranch_execz .LBB18_1111
.LBB18_1074:
	s_sext_i32_i16 s5, s6
	s_mov_b32 s4, -1
	s_cmp_lt_i32 s5, 5
	s_cbranch_scc1 .LBB18_1095
; %bb.1075:
	s_cmp_lt_i32 s5, 8
	s_cbranch_scc1 .LBB18_1085
; %bb.1076:
	;; [unrolled: 3-line block ×3, first 2 shown]
	s_cmp_gt_i32 s5, 9
	s_cbranch_scc0 .LBB18_1079
; %bb.1078:
	v_cvt_f64_f32_e32 v[6:7], v0
	v_mov_b32_e32 v8, 0
	s_mov_b32 s4, 0
	s_delay_alu instid0(VALU_DEP_1)
	v_mov_b32_e32 v9, v8
	global_store_b128 v[4:5], v[6:9], off
.LBB18_1079:
	s_and_not1_b32 vcc_lo, exec_lo, s4
	s_cbranch_vccnz .LBB18_1081
; %bb.1080:
	s_wait_loadcnt 0x0
	v_mov_b32_e32 v1, 0
	global_store_b64 v[4:5], v[0:1], off
.LBB18_1081:
	s_mov_b32 s4, 0
.LBB18_1082:
	s_delay_alu instid0(SALU_CYCLE_1)
	s_and_not1_b32 vcc_lo, exec_lo, s4
	s_cbranch_vccnz .LBB18_1084
; %bb.1083:
	s_wait_loadcnt 0x0
	v_cvt_f16_f32_e32 v1, v0
	s_delay_alu instid0(VALU_DEP_1)
	v_and_b32_e32 v1, 0xffff, v1
	global_store_b32 v[4:5], v1, off
.LBB18_1084:
	s_mov_b32 s4, 0
.LBB18_1085:
	s_delay_alu instid0(SALU_CYCLE_1)
	s_and_not1_b32 vcc_lo, exec_lo, s4
	s_cbranch_vccnz .LBB18_1094
; %bb.1086:
	s_sext_i32_i16 s5, s6
	s_mov_b32 s4, -1
	s_cmp_lt_i32 s5, 6
	s_cbranch_scc1 .LBB18_1092
; %bb.1087:
	s_cmp_gt_i32 s5, 6
	s_cbranch_scc0 .LBB18_1089
; %bb.1088:
	v_cvt_f64_f32_e32 v[2:3], v0
	s_mov_b32 s4, 0
	global_store_b64 v[4:5], v[2:3], off
.LBB18_1089:
	s_and_not1_b32 vcc_lo, exec_lo, s4
	s_cbranch_vccnz .LBB18_1091
; %bb.1090:
	global_store_b32 v[4:5], v0, off
.LBB18_1091:
	s_mov_b32 s4, 0
.LBB18_1092:
	s_delay_alu instid0(SALU_CYCLE_1)
	s_and_not1_b32 vcc_lo, exec_lo, s4
	s_cbranch_vccnz .LBB18_1094
; %bb.1093:
	s_wait_loadcnt 0x0
	v_cvt_f16_f32_e32 v1, v0
	global_store_b16 v[4:5], v1, off
.LBB18_1094:
	s_mov_b32 s4, 0
.LBB18_1095:
	s_delay_alu instid0(SALU_CYCLE_1)
	s_and_not1_b32 vcc_lo, exec_lo, s4
	s_cbranch_vccnz .LBB18_1111
; %bb.1096:
	s_sext_i32_i16 s5, s6
	s_mov_b32 s4, -1
	s_cmp_lt_i32 s5, 2
	s_cbranch_scc1 .LBB18_1106
; %bb.1097:
	s_cmp_lt_i32 s5, 3
	s_cbranch_scc1 .LBB18_1103
; %bb.1098:
	s_cmp_gt_i32 s5, 3
	s_cbranch_scc0 .LBB18_1100
; %bb.1099:
	s_wait_loadcnt 0x0
	v_trunc_f32_e32 v1, v0
	s_mov_b32 s4, 0
	s_delay_alu instid0(VALU_DEP_1) | instskip(NEXT) | instid1(VALU_DEP_1)
	v_mul_f32_e64 v2, 0x2f800000, |v1|
	v_floor_f32_e32 v3, v2
	v_ashrrev_i32_e32 v2, 31, v1
	s_delay_alu instid0(VALU_DEP_2) | instskip(SKIP_1) | instid1(VALU_DEP_3)
	v_fma_f32 v6, 0xcf800000, v3, |v1|
	v_cvt_u32_f32_e32 v1, v3
	v_mov_b32_e32 v3, v2
	s_delay_alu instid0(VALU_DEP_3) | instskip(NEXT) | instid1(VALU_DEP_3)
	v_cvt_u32_f32_e32 v6, v6
	v_xor_b32_e32 v7, v1, v2
	s_delay_alu instid0(VALU_DEP_2) | instskip(NEXT) | instid1(VALU_DEP_1)
	v_xor_b32_e32 v6, v6, v2
	v_sub_nc_u64_e32 v[2:3], v[6:7], v[2:3]
	global_store_b64 v[4:5], v[2:3], off
.LBB18_1100:
	s_and_not1_b32 vcc_lo, exec_lo, s4
	s_cbranch_vccnz .LBB18_1102
; %bb.1101:
	s_wait_loadcnt 0x0
	v_cvt_i32_f32_e32 v1, v0
	global_store_b32 v[4:5], v1, off
.LBB18_1102:
	s_mov_b32 s4, 0
.LBB18_1103:
	s_delay_alu instid0(SALU_CYCLE_1)
	s_and_not1_b32 vcc_lo, exec_lo, s4
	s_cbranch_vccnz .LBB18_1105
; %bb.1104:
	s_wait_loadcnt 0x0
	v_cvt_i32_f32_e32 v1, v0
	global_store_b16 v[4:5], v1, off
.LBB18_1105:
	s_mov_b32 s4, 0
.LBB18_1106:
	s_delay_alu instid0(SALU_CYCLE_1)
	s_and_not1_b32 vcc_lo, exec_lo, s4
	s_cbranch_vccnz .LBB18_1111
; %bb.1107:
	s_sext_i32_i16 s4, s6
	s_delay_alu instid0(SALU_CYCLE_1)
	s_cmp_gt_i32 s4, 0
	s_mov_b32 s4, -1
	s_cbranch_scc0 .LBB18_1109
; %bb.1108:
	s_wait_loadcnt 0x0
	v_cvt_i32_f32_e32 v1, v0
	s_mov_b32 s4, 0
	global_store_b8 v[4:5], v1, off
.LBB18_1109:
	s_and_not1_b32 vcc_lo, exec_lo, s4
	s_cbranch_vccnz .LBB18_1111
; %bb.1110:
	s_wait_xcnt 0x0
	v_trunc_f32_e32 v0, v0
	s_wait_loadcnt 0x0
	s_delay_alu instid0(VALU_DEP_1) | instskip(NEXT) | instid1(VALU_DEP_1)
	v_mul_f32_e64 v1, 0x2f800000, |v0|
	v_floor_f32_e32 v1, v1
	s_delay_alu instid0(VALU_DEP_1) | instskip(SKIP_1) | instid1(VALU_DEP_2)
	v_fma_f32 v1, 0xcf800000, v1, |v0|
	v_ashrrev_i32_e32 v0, 31, v0
	v_cvt_u32_f32_e32 v1, v1
	s_delay_alu instid0(VALU_DEP_1) | instskip(NEXT) | instid1(VALU_DEP_1)
	v_xor_b32_e32 v1, v1, v0
	v_sub_nc_u32_e32 v0, v1, v0
	global_store_b8 v[4:5], v0, off
.LBB18_1111:
	s_wait_xcnt 0x0
	s_or_b32 exec_lo, exec_lo, s0
	s_delay_alu instid0(SALU_CYCLE_1)
	s_and_b32 s8, s1, exec_lo
                                        ; implicit-def: $vgpr9
                                        ; implicit-def: $vgpr0
.LBB18_1112:
	s_or_saveexec_b32 s9, s33
	s_mov_b32 s0, 0
                                        ; implicit-def: $vgpr2_vgpr3
                                        ; implicit-def: $sgpr6
                                        ; implicit-def: $vgpr14
	s_xor_b32 exec_lo, exec_lo, s9
	s_cbranch_execz .LBB18_1785
; %bb.1113:
	s_wait_loadcnt 0x0
	v_cndmask_b32_e64 v1, 0, 1, s31
	s_and_not1_b32 vcc_lo, exec_lo, s31
	s_cbranch_vccnz .LBB18_1119
; %bb.1114:
	s_cmp_lg_u32 s28, 0
	s_mov_b32 s10, 0
	s_cbranch_scc0 .LBB18_1120
; %bb.1115:
	s_min_u32 s1, s29, 15
	s_delay_alu instid0(SALU_CYCLE_1)
	s_add_co_i32 s1, s1, 1
	s_cmp_eq_u32 s29, 2
	s_cbranch_scc1 .LBB18_1121
; %bb.1116:
	v_dual_mov_b32 v6, 0 :: v_dual_mov_b32 v8, 0
	v_mov_b32_e32 v2, v0
	s_and_b32 s0, s1, 28
	s_add_nc_u64 s[4:5], s[2:3], 0xc4
	s_mov_b32 s11, 0
	s_mov_b64 s[6:7], s[2:3]
.LBB18_1117:                            ; =>This Inner Loop Header: Depth=1
	s_clause 0x1
	s_load_b256 s[12:19], s[6:7], 0x4
	s_load_b128 s[36:39], s[6:7], 0x24
	s_load_b256 s[20:27], s[4:5], 0x0
	s_add_co_i32 s11, s11, 4
	s_wait_xcnt 0x0
	s_add_nc_u64 s[6:7], s[6:7], 48
	s_cmp_lg_u32 s0, s11
	s_add_nc_u64 s[4:5], s[4:5], 32
	s_wait_kmcnt 0x0
	v_mul_hi_u32 v3, s13, v2
	s_delay_alu instid0(VALU_DEP_1) | instskip(NEXT) | instid1(VALU_DEP_1)
	v_add_nc_u32_e32 v3, v2, v3
	v_lshrrev_b32_e32 v3, s14, v3
	s_delay_alu instid0(VALU_DEP_1) | instskip(NEXT) | instid1(VALU_DEP_1)
	v_mul_hi_u32 v4, s16, v3
	v_add_nc_u32_e32 v4, v3, v4
	s_delay_alu instid0(VALU_DEP_1) | instskip(NEXT) | instid1(VALU_DEP_1)
	v_lshrrev_b32_e32 v4, s17, v4
	v_mul_hi_u32 v5, s19, v4
	s_delay_alu instid0(VALU_DEP_1) | instskip(SKIP_1) | instid1(VALU_DEP_1)
	v_add_nc_u32_e32 v5, v4, v5
	v_mul_lo_u32 v7, v3, s12
	v_sub_nc_u32_e32 v2, v2, v7
	v_mul_lo_u32 v7, v4, s15
	s_delay_alu instid0(VALU_DEP_4) | instskip(NEXT) | instid1(VALU_DEP_3)
	v_lshrrev_b32_e32 v5, s36, v5
	v_mad_u32 v8, v2, s21, v8
	v_mad_u32 v2, v2, s20, v6
	s_delay_alu instid0(VALU_DEP_4) | instskip(NEXT) | instid1(VALU_DEP_4)
	v_sub_nc_u32_e32 v3, v3, v7
	v_mul_hi_u32 v10, s38, v5
	v_mul_lo_u32 v6, v5, s18
	s_delay_alu instid0(VALU_DEP_3) | instskip(SKIP_1) | instid1(VALU_DEP_4)
	v_mad_u32 v8, v3, s23, v8
	v_mad_u32 v3, v3, s22, v2
	v_add_nc_u32_e32 v7, v5, v10
	s_delay_alu instid0(VALU_DEP_1) | instskip(NEXT) | instid1(VALU_DEP_1)
	v_dual_sub_nc_u32 v4, v4, v6 :: v_dual_lshrrev_b32 v2, s39, v7
	v_mad_u32 v7, v4, s25, v8
	s_delay_alu instid0(VALU_DEP_4) | instskip(NEXT) | instid1(VALU_DEP_3)
	v_mad_u32 v3, v4, s24, v3
	v_mul_lo_u32 v6, v2, s37
	s_delay_alu instid0(VALU_DEP_1) | instskip(NEXT) | instid1(VALU_DEP_1)
	v_sub_nc_u32_e32 v4, v5, v6
	v_mad_u32 v8, v4, s27, v7
	s_delay_alu instid0(VALU_DEP_4)
	v_mad_u32 v6, v4, s26, v3
	s_cbranch_scc1 .LBB18_1117
; %bb.1118:
	s_delay_alu instid0(VALU_DEP_2)
	v_mov_b32_e32 v7, v8
	s_and_b32 s6, s1, 3
	s_mov_b32 s1, 0
	s_cmp_eq_u32 s6, 0
	s_cbranch_scc0 .LBB18_1122
	s_branch .LBB18_1125
.LBB18_1119:
	s_mov_b32 s10, -1
                                        ; implicit-def: $vgpr8
                                        ; implicit-def: $vgpr6
	s_branch .LBB18_1125
.LBB18_1120:
	v_dual_mov_b32 v8, 0 :: v_dual_mov_b32 v6, 0
	s_branch .LBB18_1125
.LBB18_1121:
	v_mov_b64_e32 v[6:7], 0
	v_mov_b32_e32 v2, v0
                                        ; implicit-def: $vgpr8
	s_and_b32 s6, s1, 3
	s_mov_b32 s1, 0
	s_cmp_eq_u32 s6, 0
	s_cbranch_scc1 .LBB18_1125
.LBB18_1122:
	s_lshl_b32 s4, s0, 3
	s_mov_b32 s5, s1
	s_mul_u64 s[12:13], s[0:1], 12
	s_add_nc_u64 s[4:5], s[2:3], s[4:5]
	s_delay_alu instid0(SALU_CYCLE_1)
	s_add_nc_u64 s[0:1], s[4:5], 0xc4
	s_add_nc_u64 s[4:5], s[2:3], s[12:13]
.LBB18_1123:                            ; =>This Inner Loop Header: Depth=1
	s_load_b96 s[12:14], s[4:5], 0x4
	s_add_co_i32 s6, s6, -1
	s_wait_xcnt 0x0
	s_add_nc_u64 s[4:5], s[4:5], 12
	s_cmp_lg_u32 s6, 0
	s_wait_kmcnt 0x0
	v_mul_hi_u32 v3, s13, v2
	s_delay_alu instid0(VALU_DEP_1) | instskip(NEXT) | instid1(VALU_DEP_1)
	v_add_nc_u32_e32 v3, v2, v3
	v_lshrrev_b32_e32 v3, s14, v3
	s_load_b64 s[14:15], s[0:1], 0x0
	s_wait_xcnt 0x0
	s_add_nc_u64 s[0:1], s[0:1], 8
	s_delay_alu instid0(VALU_DEP_1) | instskip(NEXT) | instid1(VALU_DEP_1)
	v_mul_lo_u32 v4, v3, s12
	v_sub_nc_u32_e32 v2, v2, v4
	s_wait_kmcnt 0x0
	s_delay_alu instid0(VALU_DEP_1)
	v_mad_u32 v7, v2, s15, v7
	v_mad_u32 v6, v2, s14, v6
	v_mov_b32_e32 v2, v3
	s_cbranch_scc1 .LBB18_1123
; %bb.1124:
	s_delay_alu instid0(VALU_DEP_3)
	v_mov_b32_e32 v8, v7
.LBB18_1125:
	s_and_not1_b32 vcc_lo, exec_lo, s10
	s_cbranch_vccnz .LBB18_1128
; %bb.1126:
	s_clause 0x1
	s_load_b96 s[4:6], s[2:3], 0x4
	s_load_b64 s[0:1], s[2:3], 0xc4
	s_cmp_lt_u32 s28, 2
	s_wait_kmcnt 0x0
	v_mul_hi_u32 v2, s5, v0
	s_delay_alu instid0(VALU_DEP_1) | instskip(NEXT) | instid1(VALU_DEP_1)
	v_add_nc_u32_e32 v2, v0, v2
	v_lshrrev_b32_e32 v2, s6, v2
	s_delay_alu instid0(VALU_DEP_1) | instskip(NEXT) | instid1(VALU_DEP_1)
	v_mul_lo_u32 v3, v2, s4
	v_sub_nc_u32_e32 v3, v0, v3
	s_delay_alu instid0(VALU_DEP_1)
	v_mul_lo_u32 v8, v3, s1
	v_mul_lo_u32 v6, v3, s0
	s_cbranch_scc1 .LBB18_1128
; %bb.1127:
	s_clause 0x1
	s_load_b96 s[4:6], s[2:3], 0x10
	s_load_b64 s[0:1], s[2:3], 0xcc
	s_wait_kmcnt 0x0
	v_mul_hi_u32 v3, s5, v2
	s_delay_alu instid0(VALU_DEP_1) | instskip(NEXT) | instid1(VALU_DEP_1)
	v_add_nc_u32_e32 v3, v2, v3
	v_lshrrev_b32_e32 v3, s6, v3
	s_delay_alu instid0(VALU_DEP_1) | instskip(NEXT) | instid1(VALU_DEP_1)
	v_mul_lo_u32 v3, v3, s4
	v_sub_nc_u32_e32 v2, v2, v3
	s_delay_alu instid0(VALU_DEP_1)
	v_mad_u32 v6, v2, s0, v6
	v_mad_u32 v8, v2, s1, v8
.LBB18_1128:
	v_cmp_ne_u32_e32 vcc_lo, 1, v1
	v_add_nc_u32_e32 v2, 0x80, v0
	s_cbranch_vccnz .LBB18_1134
; %bb.1129:
	s_cmp_lg_u32 s28, 0
	s_mov_b32 s10, 0
	s_cbranch_scc0 .LBB18_1135
; %bb.1130:
	s_min_u32 s1, s29, 15
	s_delay_alu instid0(SALU_CYCLE_1)
	s_add_co_i32 s1, s1, 1
	s_cmp_eq_u32 s29, 2
	s_cbranch_scc1 .LBB18_1136
; %bb.1131:
	v_dual_mov_b32 v4, 0 :: v_dual_mov_b32 v10, 0
	v_mov_b32_e32 v3, v2
	s_and_b32 s0, s1, 28
	s_add_nc_u64 s[4:5], s[2:3], 0xc4
	s_mov_b32 s11, 0
	s_mov_b64 s[6:7], s[2:3]
.LBB18_1132:                            ; =>This Inner Loop Header: Depth=1
	s_clause 0x1
	s_load_b256 s[12:19], s[6:7], 0x4
	s_load_b128 s[36:39], s[6:7], 0x24
	s_load_b256 s[20:27], s[4:5], 0x0
	s_add_co_i32 s11, s11, 4
	s_wait_xcnt 0x0
	s_add_nc_u64 s[6:7], s[6:7], 48
	s_cmp_lg_u32 s0, s11
	s_add_nc_u64 s[4:5], s[4:5], 32
	s_wait_kmcnt 0x0
	v_mul_hi_u32 v5, s13, v3
	s_delay_alu instid0(VALU_DEP_1) | instskip(NEXT) | instid1(VALU_DEP_1)
	v_add_nc_u32_e32 v5, v3, v5
	v_lshrrev_b32_e32 v5, s14, v5
	s_delay_alu instid0(VALU_DEP_1) | instskip(NEXT) | instid1(VALU_DEP_1)
	v_mul_hi_u32 v7, s16, v5
	v_add_nc_u32_e32 v7, v5, v7
	s_delay_alu instid0(VALU_DEP_1) | instskip(NEXT) | instid1(VALU_DEP_1)
	v_lshrrev_b32_e32 v7, s17, v7
	v_mul_hi_u32 v11, s19, v7
	s_delay_alu instid0(VALU_DEP_1) | instskip(SKIP_1) | instid1(VALU_DEP_1)
	v_add_nc_u32_e32 v11, v7, v11
	v_mul_lo_u32 v12, v5, s12
	v_sub_nc_u32_e32 v3, v3, v12
	v_mul_lo_u32 v12, v7, s15
	s_delay_alu instid0(VALU_DEP_4) | instskip(NEXT) | instid1(VALU_DEP_3)
	v_lshrrev_b32_e32 v11, s36, v11
	v_mad_u32 v10, v3, s21, v10
	v_mad_u32 v3, v3, s20, v4
	s_delay_alu instid0(VALU_DEP_4) | instskip(NEXT) | instid1(VALU_DEP_4)
	v_sub_nc_u32_e32 v4, v5, v12
	v_mul_hi_u32 v13, s38, v11
	v_mul_lo_u32 v5, v11, s18
	s_delay_alu instid0(VALU_DEP_3) | instskip(SKIP_1) | instid1(VALU_DEP_4)
	v_mad_u32 v10, v4, s23, v10
	v_mad_u32 v4, v4, s22, v3
	v_add_nc_u32_e32 v12, v11, v13
	s_delay_alu instid0(VALU_DEP_1) | instskip(NEXT) | instid1(VALU_DEP_1)
	v_dual_sub_nc_u32 v5, v7, v5 :: v_dual_lshrrev_b32 v3, s39, v12
	v_mad_u32 v10, v5, s25, v10
	s_delay_alu instid0(VALU_DEP_4) | instskip(NEXT) | instid1(VALU_DEP_3)
	v_mad_u32 v4, v5, s24, v4
	v_mul_lo_u32 v7, v3, s37
	s_delay_alu instid0(VALU_DEP_1) | instskip(NEXT) | instid1(VALU_DEP_1)
	v_sub_nc_u32_e32 v5, v11, v7
	v_mad_u32 v10, v5, s27, v10
	s_delay_alu instid0(VALU_DEP_4)
	v_mad_u32 v4, v5, s26, v4
	s_cbranch_scc1 .LBB18_1132
; %bb.1133:
	s_delay_alu instid0(VALU_DEP_2)
	v_mov_b32_e32 v5, v10
	s_and_b32 s6, s1, 3
	s_mov_b32 s1, 0
	s_cmp_eq_u32 s6, 0
	s_cbranch_scc0 .LBB18_1137
	s_branch .LBB18_1140
.LBB18_1134:
	s_mov_b32 s10, -1
                                        ; implicit-def: $vgpr10
                                        ; implicit-def: $vgpr4
	s_branch .LBB18_1140
.LBB18_1135:
	v_dual_mov_b32 v10, 0 :: v_dual_mov_b32 v4, 0
	s_branch .LBB18_1140
.LBB18_1136:
	v_mov_b64_e32 v[4:5], 0
	v_mov_b32_e32 v3, v2
	s_mov_b32 s0, 0
                                        ; implicit-def: $vgpr10
	s_and_b32 s6, s1, 3
	s_mov_b32 s1, 0
	s_cmp_eq_u32 s6, 0
	s_cbranch_scc1 .LBB18_1140
.LBB18_1137:
	s_lshl_b32 s4, s0, 3
	s_mov_b32 s5, s1
	s_mul_u64 s[12:13], s[0:1], 12
	s_add_nc_u64 s[4:5], s[2:3], s[4:5]
	s_delay_alu instid0(SALU_CYCLE_1)
	s_add_nc_u64 s[0:1], s[4:5], 0xc4
	s_add_nc_u64 s[4:5], s[2:3], s[12:13]
.LBB18_1138:                            ; =>This Inner Loop Header: Depth=1
	s_load_b96 s[12:14], s[4:5], 0x4
	s_add_co_i32 s6, s6, -1
	s_wait_xcnt 0x0
	s_add_nc_u64 s[4:5], s[4:5], 12
	s_cmp_lg_u32 s6, 0
	s_wait_kmcnt 0x0
	v_mul_hi_u32 v7, s13, v3
	s_delay_alu instid0(VALU_DEP_1) | instskip(NEXT) | instid1(VALU_DEP_1)
	v_add_nc_u32_e32 v7, v3, v7
	v_lshrrev_b32_e32 v7, s14, v7
	s_load_b64 s[14:15], s[0:1], 0x0
	s_wait_xcnt 0x0
	s_add_nc_u64 s[0:1], s[0:1], 8
	s_delay_alu instid0(VALU_DEP_1) | instskip(NEXT) | instid1(VALU_DEP_1)
	v_mul_lo_u32 v10, v7, s12
	v_sub_nc_u32_e32 v3, v3, v10
	s_wait_kmcnt 0x0
	s_delay_alu instid0(VALU_DEP_1)
	v_mad_u32 v5, v3, s15, v5
	v_mad_u32 v4, v3, s14, v4
	v_mov_b32_e32 v3, v7
	s_cbranch_scc1 .LBB18_1138
; %bb.1139:
	s_delay_alu instid0(VALU_DEP_3)
	v_mov_b32_e32 v10, v5
.LBB18_1140:
	s_and_not1_b32 vcc_lo, exec_lo, s10
	s_cbranch_vccnz .LBB18_1143
; %bb.1141:
	s_clause 0x1
	s_load_b96 s[4:6], s[2:3], 0x4
	s_load_b64 s[0:1], s[2:3], 0xc4
	s_cmp_lt_u32 s28, 2
	s_wait_kmcnt 0x0
	v_mul_hi_u32 v3, s5, v2
	s_delay_alu instid0(VALU_DEP_1) | instskip(NEXT) | instid1(VALU_DEP_1)
	v_add_nc_u32_e32 v3, v2, v3
	v_lshrrev_b32_e32 v3, s6, v3
	s_delay_alu instid0(VALU_DEP_1) | instskip(NEXT) | instid1(VALU_DEP_1)
	v_mul_lo_u32 v4, v3, s4
	v_sub_nc_u32_e32 v2, v2, v4
	s_delay_alu instid0(VALU_DEP_1)
	v_mul_lo_u32 v10, v2, s1
	v_mul_lo_u32 v4, v2, s0
	s_cbranch_scc1 .LBB18_1143
; %bb.1142:
	s_clause 0x1
	s_load_b96 s[4:6], s[2:3], 0x10
	s_load_b64 s[0:1], s[2:3], 0xcc
	s_wait_kmcnt 0x0
	v_mul_hi_u32 v2, s5, v3
	s_delay_alu instid0(VALU_DEP_1) | instskip(NEXT) | instid1(VALU_DEP_1)
	v_add_nc_u32_e32 v2, v3, v2
	v_lshrrev_b32_e32 v2, s6, v2
	s_delay_alu instid0(VALU_DEP_1) | instskip(NEXT) | instid1(VALU_DEP_1)
	v_mul_lo_u32 v2, v2, s4
	v_sub_nc_u32_e32 v2, v3, v2
	s_delay_alu instid0(VALU_DEP_1)
	v_mad_u32 v4, v2, s0, v4
	v_mad_u32 v10, v2, s1, v10
.LBB18_1143:
	v_cmp_ne_u32_e32 vcc_lo, 1, v1
	v_add_nc_u32_e32 v0, 0x100, v0
	s_cbranch_vccnz .LBB18_1149
; %bb.1144:
	s_cmp_lg_u32 s28, 0
	s_mov_b32 s10, 0
	s_cbranch_scc0 .LBB18_1150
; %bb.1145:
	s_min_u32 s1, s29, 15
	s_delay_alu instid0(SALU_CYCLE_1)
	s_add_co_i32 s1, s1, 1
	s_cmp_eq_u32 s29, 2
	s_cbranch_scc1 .LBB18_1151
; %bb.1146:
	v_dual_mov_b32 v2, 0 :: v_dual_mov_b32 v12, 0
	v_mov_b32_e32 v5, v0
	s_and_b32 s0, s1, 28
	s_add_nc_u64 s[4:5], s[2:3], 0xc4
	s_mov_b32 s11, 0
	s_mov_b64 s[6:7], s[2:3]
.LBB18_1147:                            ; =>This Inner Loop Header: Depth=1
	s_clause 0x1
	s_load_b256 s[12:19], s[6:7], 0x4
	s_load_b128 s[36:39], s[6:7], 0x24
	s_load_b256 s[20:27], s[4:5], 0x0
	s_add_co_i32 s11, s11, 4
	s_wait_xcnt 0x0
	s_add_nc_u64 s[6:7], s[6:7], 48
	s_cmp_lg_u32 s0, s11
	s_add_nc_u64 s[4:5], s[4:5], 32
	s_wait_kmcnt 0x0
	v_mul_hi_u32 v3, s13, v5
	s_delay_alu instid0(VALU_DEP_1) | instskip(NEXT) | instid1(VALU_DEP_1)
	v_add_nc_u32_e32 v3, v5, v3
	v_lshrrev_b32_e32 v3, s14, v3
	s_delay_alu instid0(VALU_DEP_1) | instskip(SKIP_1) | instid1(VALU_DEP_1)
	v_mul_hi_u32 v7, s16, v3
	v_mul_lo_u32 v13, v3, s12
	v_dual_add_nc_u32 v7, v3, v7 :: v_dual_sub_nc_u32 v5, v5, v13
	s_delay_alu instid0(VALU_DEP_1) | instskip(NEXT) | instid1(VALU_DEP_2)
	v_lshrrev_b32_e32 v7, s17, v7
	v_mad_u32 v12, v5, s21, v12
	v_mad_u32 v2, v5, s20, v2
	s_delay_alu instid0(VALU_DEP_3) | instskip(NEXT) | instid1(VALU_DEP_1)
	v_mul_hi_u32 v11, s19, v7
	v_add_nc_u32_e32 v11, v7, v11
	s_delay_alu instid0(VALU_DEP_1) | instskip(NEXT) | instid1(VALU_DEP_1)
	v_lshrrev_b32_e32 v11, s36, v11
	v_mul_hi_u32 v14, s38, v11
	s_delay_alu instid0(VALU_DEP_1) | instskip(NEXT) | instid1(VALU_DEP_1)
	v_add_nc_u32_e32 v5, v11, v14
	v_lshrrev_b32_e32 v5, s39, v5
	v_mul_lo_u32 v13, v7, s15
	s_delay_alu instid0(VALU_DEP_1) | instskip(SKIP_1) | instid1(VALU_DEP_2)
	v_sub_nc_u32_e32 v3, v3, v13
	v_mul_lo_u32 v13, v11, s18
	v_mad_u32 v12, v3, s23, v12
	v_mad_u32 v2, v3, s22, v2
	s_delay_alu instid0(VALU_DEP_3) | instskip(SKIP_1) | instid1(VALU_DEP_2)
	v_sub_nc_u32_e32 v3, v7, v13
	v_mul_lo_u32 v7, v5, s37
	v_mad_u32 v12, v3, s25, v12
	s_delay_alu instid0(VALU_DEP_4) | instskip(NEXT) | instid1(VALU_DEP_3)
	v_mad_u32 v2, v3, s24, v2
	v_sub_nc_u32_e32 v3, v11, v7
	s_delay_alu instid0(VALU_DEP_1) | instskip(NEXT) | instid1(VALU_DEP_3)
	v_mad_u32 v12, v3, s27, v12
	v_mad_u32 v2, v3, s26, v2
	s_cbranch_scc1 .LBB18_1147
; %bb.1148:
	s_delay_alu instid0(VALU_DEP_2)
	v_mov_b32_e32 v3, v12
	s_and_b32 s6, s1, 3
	s_mov_b32 s1, 0
	s_cmp_eq_u32 s6, 0
	s_cbranch_scc0 .LBB18_1152
	s_branch .LBB18_1155
.LBB18_1149:
	s_mov_b32 s10, -1
                                        ; implicit-def: $vgpr12
                                        ; implicit-def: $vgpr2
	s_branch .LBB18_1155
.LBB18_1150:
	v_dual_mov_b32 v12, 0 :: v_dual_mov_b32 v2, 0
	s_branch .LBB18_1155
.LBB18_1151:
	v_mov_b64_e32 v[2:3], 0
	v_mov_b32_e32 v5, v0
	s_mov_b32 s0, 0
                                        ; implicit-def: $vgpr12
	s_and_b32 s6, s1, 3
	s_mov_b32 s1, 0
	s_cmp_eq_u32 s6, 0
	s_cbranch_scc1 .LBB18_1155
.LBB18_1152:
	s_lshl_b32 s4, s0, 3
	s_mov_b32 s5, s1
	s_mul_u64 s[12:13], s[0:1], 12
	s_add_nc_u64 s[4:5], s[2:3], s[4:5]
	s_delay_alu instid0(SALU_CYCLE_1)
	s_add_nc_u64 s[0:1], s[4:5], 0xc4
	s_add_nc_u64 s[4:5], s[2:3], s[12:13]
.LBB18_1153:                            ; =>This Inner Loop Header: Depth=1
	s_load_b96 s[12:14], s[4:5], 0x4
	s_add_co_i32 s6, s6, -1
	s_wait_xcnt 0x0
	s_add_nc_u64 s[4:5], s[4:5], 12
	s_cmp_lg_u32 s6, 0
	s_wait_kmcnt 0x0
	v_mul_hi_u32 v7, s13, v5
	s_delay_alu instid0(VALU_DEP_1) | instskip(NEXT) | instid1(VALU_DEP_1)
	v_add_nc_u32_e32 v7, v5, v7
	v_lshrrev_b32_e32 v7, s14, v7
	s_load_b64 s[14:15], s[0:1], 0x0
	s_wait_xcnt 0x0
	s_add_nc_u64 s[0:1], s[0:1], 8
	s_delay_alu instid0(VALU_DEP_1) | instskip(NEXT) | instid1(VALU_DEP_1)
	v_mul_lo_u32 v11, v7, s12
	v_sub_nc_u32_e32 v5, v5, v11
	s_wait_kmcnt 0x0
	s_delay_alu instid0(VALU_DEP_1)
	v_mad_u32 v3, v5, s15, v3
	v_mad_u32 v2, v5, s14, v2
	v_mov_b32_e32 v5, v7
	s_cbranch_scc1 .LBB18_1153
; %bb.1154:
	s_delay_alu instid0(VALU_DEP_3)
	v_mov_b32_e32 v12, v3
.LBB18_1155:
	s_and_not1_b32 vcc_lo, exec_lo, s10
	s_cbranch_vccnz .LBB18_1158
; %bb.1156:
	s_clause 0x1
	s_load_b96 s[4:6], s[2:3], 0x4
	s_load_b64 s[0:1], s[2:3], 0xc4
	s_cmp_lt_u32 s28, 2
	s_wait_kmcnt 0x0
	v_mul_hi_u32 v2, s5, v0
	s_delay_alu instid0(VALU_DEP_1) | instskip(NEXT) | instid1(VALU_DEP_1)
	v_add_nc_u32_e32 v2, v0, v2
	v_lshrrev_b32_e32 v3, s6, v2
	s_delay_alu instid0(VALU_DEP_1) | instskip(NEXT) | instid1(VALU_DEP_1)
	v_mul_lo_u32 v2, v3, s4
	v_sub_nc_u32_e32 v0, v0, v2
	s_delay_alu instid0(VALU_DEP_1)
	v_mul_lo_u32 v12, v0, s1
	v_mul_lo_u32 v2, v0, s0
	s_cbranch_scc1 .LBB18_1158
; %bb.1157:
	s_clause 0x1
	s_load_b96 s[4:6], s[2:3], 0x10
	s_load_b64 s[0:1], s[2:3], 0xcc
	s_wait_kmcnt 0x0
	v_mul_hi_u32 v0, s5, v3
	s_delay_alu instid0(VALU_DEP_1) | instskip(NEXT) | instid1(VALU_DEP_1)
	v_add_nc_u32_e32 v0, v3, v0
	v_lshrrev_b32_e32 v0, s6, v0
	s_delay_alu instid0(VALU_DEP_1) | instskip(NEXT) | instid1(VALU_DEP_1)
	v_mul_lo_u32 v0, v0, s4
	v_sub_nc_u32_e32 v0, v3, v0
	s_delay_alu instid0(VALU_DEP_1)
	v_mad_u32 v2, v0, s0, v2
	v_mad_u32 v12, v0, s1, v12
.LBB18_1158:
	v_cmp_ne_u32_e32 vcc_lo, 1, v1
	s_cbranch_vccnz .LBB18_1164
; %bb.1159:
	s_cmp_lg_u32 s28, 0
	s_mov_b32 s10, 0
	s_cbranch_scc0 .LBB18_1165
; %bb.1160:
	s_min_u32 s1, s29, 15
	s_delay_alu instid0(SALU_CYCLE_1)
	s_add_co_i32 s1, s1, 1
	s_cmp_eq_u32 s29, 2
	s_cbranch_scc1 .LBB18_1166
; %bb.1161:
	v_dual_mov_b32 v0, 0 :: v_dual_mov_b32 v14, 0
	v_mov_b32_e32 v3, v9
	s_and_b32 s0, s1, 28
	s_add_nc_u64 s[4:5], s[2:3], 0xc4
	s_mov_b32 s11, 0
	s_mov_b64 s[6:7], s[2:3]
.LBB18_1162:                            ; =>This Inner Loop Header: Depth=1
	s_clause 0x1
	s_load_b256 s[12:19], s[6:7], 0x4
	s_load_b128 s[36:39], s[6:7], 0x24
	s_load_b256 s[20:27], s[4:5], 0x0
	s_add_co_i32 s11, s11, 4
	s_wait_xcnt 0x0
	s_add_nc_u64 s[6:7], s[6:7], 48
	s_cmp_lg_u32 s0, s11
	s_add_nc_u64 s[4:5], s[4:5], 32
	s_wait_kmcnt 0x0
	v_mul_hi_u32 v1, s13, v3
	s_delay_alu instid0(VALU_DEP_1) | instskip(NEXT) | instid1(VALU_DEP_1)
	v_add_nc_u32_e32 v1, v3, v1
	v_lshrrev_b32_e32 v1, s14, v1
	s_delay_alu instid0(VALU_DEP_1) | instskip(NEXT) | instid1(VALU_DEP_1)
	v_mul_lo_u32 v11, v1, s12
	v_sub_nc_u32_e32 v3, v3, v11
	v_mul_hi_u32 v5, s16, v1
	s_delay_alu instid0(VALU_DEP_2) | instskip(SKIP_1) | instid1(VALU_DEP_3)
	v_mad_u32 v14, v3, s21, v14
	v_mad_u32 v0, v3, s20, v0
	v_add_nc_u32_e32 v5, v1, v5
	s_delay_alu instid0(VALU_DEP_1) | instskip(NEXT) | instid1(VALU_DEP_1)
	v_lshrrev_b32_e32 v5, s17, v5
	v_mul_lo_u32 v11, v5, s15
	s_delay_alu instid0(VALU_DEP_1) | instskip(SKIP_1) | instid1(VALU_DEP_2)
	v_sub_nc_u32_e32 v1, v1, v11
	v_mul_hi_u32 v7, s19, v5
	v_mad_u32 v0, v1, s22, v0
	s_delay_alu instid0(VALU_DEP_2) | instskip(NEXT) | instid1(VALU_DEP_1)
	v_add_nc_u32_e32 v7, v5, v7
	v_lshrrev_b32_e32 v7, s36, v7
	s_delay_alu instid0(VALU_DEP_1) | instskip(SKIP_1) | instid1(VALU_DEP_2)
	v_mul_hi_u32 v13, s38, v7
	v_mul_lo_u32 v11, v7, s18
	v_add_nc_u32_e32 v3, v7, v13
	v_mad_u32 v13, v1, s23, v14
	s_delay_alu instid0(VALU_DEP_3) | instskip(NEXT) | instid1(VALU_DEP_3)
	v_sub_nc_u32_e32 v1, v5, v11
	v_lshrrev_b32_e32 v3, s39, v3
	s_delay_alu instid0(VALU_DEP_2) | instskip(NEXT) | instid1(VALU_DEP_2)
	v_mad_u32 v0, v1, s24, v0
	v_mul_lo_u32 v5, v3, s37
	v_mad_u32 v11, v1, s25, v13
	s_delay_alu instid0(VALU_DEP_2) | instskip(NEXT) | instid1(VALU_DEP_1)
	v_sub_nc_u32_e32 v1, v7, v5
	v_mad_u32 v14, v1, s27, v11
	v_mad_u32 v0, v1, s26, v0
	s_cbranch_scc1 .LBB18_1162
; %bb.1163:
	s_delay_alu instid0(VALU_DEP_2)
	v_mov_b32_e32 v1, v14
	s_and_b32 s6, s1, 3
	s_mov_b32 s1, 0
	s_cmp_eq_u32 s6, 0
	s_cbranch_scc0 .LBB18_1167
	s_branch .LBB18_1170
.LBB18_1164:
	s_mov_b32 s10, -1
                                        ; implicit-def: $vgpr14
                                        ; implicit-def: $vgpr0
	s_branch .LBB18_1170
.LBB18_1165:
	v_dual_mov_b32 v14, 0 :: v_dual_mov_b32 v0, 0
	s_branch .LBB18_1170
.LBB18_1166:
	v_mov_b64_e32 v[0:1], 0
	v_mov_b32_e32 v3, v9
	s_mov_b32 s0, 0
                                        ; implicit-def: $vgpr14
	s_and_b32 s6, s1, 3
	s_mov_b32 s1, 0
	s_cmp_eq_u32 s6, 0
	s_cbranch_scc1 .LBB18_1170
.LBB18_1167:
	s_lshl_b32 s4, s0, 3
	s_mov_b32 s5, s1
	s_mul_u64 s[12:13], s[0:1], 12
	s_add_nc_u64 s[4:5], s[2:3], s[4:5]
	s_delay_alu instid0(SALU_CYCLE_1)
	s_add_nc_u64 s[0:1], s[4:5], 0xc4
	s_add_nc_u64 s[4:5], s[2:3], s[12:13]
.LBB18_1168:                            ; =>This Inner Loop Header: Depth=1
	s_load_b96 s[12:14], s[4:5], 0x4
	s_add_co_i32 s6, s6, -1
	s_wait_xcnt 0x0
	s_add_nc_u64 s[4:5], s[4:5], 12
	s_cmp_lg_u32 s6, 0
	s_wait_kmcnt 0x0
	v_mul_hi_u32 v5, s13, v3
	s_delay_alu instid0(VALU_DEP_1) | instskip(NEXT) | instid1(VALU_DEP_1)
	v_add_nc_u32_e32 v5, v3, v5
	v_lshrrev_b32_e32 v5, s14, v5
	s_load_b64 s[14:15], s[0:1], 0x0
	s_wait_xcnt 0x0
	s_add_nc_u64 s[0:1], s[0:1], 8
	s_delay_alu instid0(VALU_DEP_1) | instskip(NEXT) | instid1(VALU_DEP_1)
	v_mul_lo_u32 v7, v5, s12
	v_sub_nc_u32_e32 v3, v3, v7
	s_wait_kmcnt 0x0
	s_delay_alu instid0(VALU_DEP_1)
	v_mad_u32 v1, v3, s15, v1
	v_mad_u32 v0, v3, s14, v0
	v_mov_b32_e32 v3, v5
	s_cbranch_scc1 .LBB18_1168
; %bb.1169:
	s_delay_alu instid0(VALU_DEP_3)
	v_mov_b32_e32 v14, v1
.LBB18_1170:
	s_and_not1_b32 vcc_lo, exec_lo, s10
	s_cbranch_vccnz .LBB18_1173
; %bb.1171:
	s_clause 0x1
	s_load_b96 s[4:6], s[2:3], 0x4
	s_load_b64 s[0:1], s[2:3], 0xc4
	s_cmp_lt_u32 s28, 2
	s_wait_kmcnt 0x0
	v_mul_hi_u32 v0, s5, v9
	s_delay_alu instid0(VALU_DEP_1) | instskip(NEXT) | instid1(VALU_DEP_1)
	v_add_nc_u32_e32 v0, v9, v0
	v_lshrrev_b32_e32 v1, s6, v0
	s_delay_alu instid0(VALU_DEP_1) | instskip(NEXT) | instid1(VALU_DEP_1)
	v_mul_lo_u32 v0, v1, s4
	v_sub_nc_u32_e32 v0, v9, v0
	s_delay_alu instid0(VALU_DEP_1)
	v_mul_lo_u32 v14, v0, s1
	v_mul_lo_u32 v0, v0, s0
	s_cbranch_scc1 .LBB18_1173
; %bb.1172:
	s_clause 0x1
	s_load_b96 s[4:6], s[2:3], 0x10
	s_load_b64 s[0:1], s[2:3], 0xcc
	s_wait_kmcnt 0x0
	v_mul_hi_u32 v3, s5, v1
	s_delay_alu instid0(VALU_DEP_1) | instskip(NEXT) | instid1(VALU_DEP_1)
	v_add_nc_u32_e32 v3, v1, v3
	v_lshrrev_b32_e32 v3, s6, v3
	s_delay_alu instid0(VALU_DEP_1) | instskip(NEXT) | instid1(VALU_DEP_1)
	v_mul_lo_u32 v3, v3, s4
	v_sub_nc_u32_e32 v1, v1, v3
	s_delay_alu instid0(VALU_DEP_1)
	v_mad_u32 v0, v1, s0, v0
	v_mad_u32 v14, v1, s1, v14
.LBB18_1173:
	v_mov_b32_e32 v9, 0
	s_load_b128 s[4:7], s[2:3], 0x148
	global_load_u8 v1, v9, s[2:3] offset:346
	s_wait_kmcnt 0x0
	v_add_nc_u64_e32 v[8:9], s[6:7], v[8:9]
	s_wait_loadcnt 0x0
	v_and_b32_e32 v3, 0xffff, v1
	v_readfirstlane_b32 s10, v1
	s_delay_alu instid0(VALU_DEP_2)
	v_cmp_gt_i32_e32 vcc_lo, 11, v3
	s_cbranch_vccnz .LBB18_1180
; %bb.1174:
	s_and_b32 s0, 0xffff, s10
	s_mov_b32 s11, 0
	s_cmp_gt_i32 s0, 25
	s_cbranch_scc0 .LBB18_1182
; %bb.1175:
	s_cmp_gt_i32 s0, 28
	s_cbranch_scc0 .LBB18_1183
; %bb.1176:
	;; [unrolled: 3-line block ×4, first 2 shown]
	s_cmp_eq_u32 s0, 46
	s_mov_b32 s13, 0
	s_cbranch_scc0 .LBB18_1188
; %bb.1179:
	global_load_b32 v1, v[8:9], off
	s_mov_b32 s1, 0
	s_mov_b32 s12, -1
	s_wait_loadcnt 0x0
	v_lshlrev_b32_e32 v1, 16, v1
	s_branch .LBB18_1190
.LBB18_1180:
	s_mov_b32 s12, 0
	s_mov_b32 s1, s8
                                        ; implicit-def: $vgpr1
	s_cbranch_execnz .LBB18_1253
.LBB18_1181:
	s_and_not1_b32 vcc_lo, exec_lo, s12
	s_cbranch_vccz .LBB18_1298
	s_branch .LBB18_1783
.LBB18_1182:
	s_mov_b32 s12, 0
	s_mov_b32 s1, 0
                                        ; implicit-def: $vgpr1
	s_cbranch_execnz .LBB18_1218
	s_branch .LBB18_1249
.LBB18_1183:
	s_mov_b32 s13, -1
	s_mov_b32 s12, 0
	s_mov_b32 s1, 0
                                        ; implicit-def: $vgpr1
	s_branch .LBB18_1199
.LBB18_1184:
	s_mov_b32 s12, 0
	s_mov_b32 s1, 0
                                        ; implicit-def: $vgpr1
	s_cbranch_execnz .LBB18_1195
	s_branch .LBB18_1198
.LBB18_1185:
	s_mov_b32 s13, -1
	s_mov_b32 s12, 0
	s_mov_b32 s1, 0
	s_branch .LBB18_1189
.LBB18_1186:
	s_and_not1_saveexec_b32 s9, s9
	s_cbranch_execz .LBB18_1025
.LBB18_1187:
	v_add_f32_e64 v1, 0x46000000, |v0|
	s_and_not1_b32 s8, s8, exec_lo
	s_delay_alu instid0(VALU_DEP_1) | instskip(NEXT) | instid1(VALU_DEP_1)
	v_and_b32_e32 v1, 0xff, v1
	v_cmp_ne_u32_e32 vcc_lo, 0, v1
	s_and_b32 s10, vcc_lo, exec_lo
	s_delay_alu instid0(SALU_CYCLE_1)
	s_or_b32 s8, s8, s10
	s_or_b32 exec_lo, exec_lo, s9
	v_mov_b32_e32 v2, 0
	s_and_saveexec_b32 s9, s8
	s_cbranch_execnz .LBB18_1026
	s_branch .LBB18_1027
.LBB18_1188:
	s_mov_b32 s1, -1
	s_mov_b32 s12, 0
.LBB18_1189:
                                        ; implicit-def: $vgpr1
.LBB18_1190:
	s_and_b32 vcc_lo, exec_lo, s13
	s_cbranch_vccz .LBB18_1193
; %bb.1191:
	s_cmp_eq_u32 s0, 44
	s_cbranch_scc0 .LBB18_1194
; %bb.1192:
	global_load_u8 v1, v[8:9], off
	s_mov_b32 s1, 0
	s_mov_b32 s12, -1
	s_wait_loadcnt 0x0
	v_lshlrev_b32_e32 v3, 23, v1
	v_cmp_ne_u32_e32 vcc_lo, 0xff, v1
	s_delay_alu instid0(VALU_DEP_2) | instskip(SKIP_1) | instid1(VALU_DEP_2)
	v_cndmask_b32_e32 v3, 0x7f800001, v3, vcc_lo
	v_cmp_ne_u32_e32 vcc_lo, 0, v1
	v_cndmask_b32_e32 v1, 0x400000, v3, vcc_lo
.LBB18_1193:
	s_branch .LBB18_1198
.LBB18_1194:
	s_mov_b32 s1, -1
                                        ; implicit-def: $vgpr1
	s_branch .LBB18_1198
.LBB18_1195:
	s_cmp_eq_u32 s0, 29
	s_cbranch_scc0 .LBB18_1197
; %bb.1196:
	global_load_b64 v[16:17], v[8:9], off
	s_mov_b32 s1, 0
	s_mov_b32 s12, -1
	s_mov_b32 s13, 0
	s_wait_loadcnt 0x0
	v_clz_i32_u32_e32 v1, v17
	s_delay_alu instid0(VALU_DEP_1) | instskip(NEXT) | instid1(VALU_DEP_1)
	v_min_u32_e32 v1, 32, v1
	v_lshlrev_b64_e32 v[16:17], v1, v[16:17]
	v_sub_nc_u32_e32 v1, 32, v1
	s_delay_alu instid0(VALU_DEP_2) | instskip(NEXT) | instid1(VALU_DEP_1)
	v_min_u32_e32 v3, 1, v16
	v_or_b32_e32 v3, v17, v3
	s_delay_alu instid0(VALU_DEP_1) | instskip(NEXT) | instid1(VALU_DEP_1)
	v_cvt_f32_u32_e32 v3, v3
	v_ldexp_f32 v1, v3, v1
	s_branch .LBB18_1199
.LBB18_1197:
	s_mov_b32 s1, -1
                                        ; implicit-def: $vgpr1
.LBB18_1198:
	s_mov_b32 s13, 0
.LBB18_1199:
	s_delay_alu instid0(SALU_CYCLE_1)
	s_and_b32 vcc_lo, exec_lo, s13
	s_cbranch_vccz .LBB18_1217
; %bb.1200:
	s_cmp_lt_i32 s0, 27
	s_cbranch_scc1 .LBB18_1203
; %bb.1201:
	s_cmp_gt_i32 s0, 27
	s_cbranch_scc0 .LBB18_1204
; %bb.1202:
	global_load_b32 v1, v[8:9], off
	s_mov_b32 s12, 0
	s_wait_loadcnt 0x0
	v_cvt_f32_u32_e32 v1, v1
	s_branch .LBB18_1205
.LBB18_1203:
	s_mov_b32 s12, -1
                                        ; implicit-def: $vgpr1
	s_branch .LBB18_1208
.LBB18_1204:
	s_mov_b32 s12, -1
                                        ; implicit-def: $vgpr1
.LBB18_1205:
	s_delay_alu instid0(SALU_CYCLE_1)
	s_and_not1_b32 vcc_lo, exec_lo, s12
	s_cbranch_vccnz .LBB18_1207
; %bb.1206:
	global_load_u16 v1, v[8:9], off
	s_wait_loadcnt 0x0
	v_cvt_f32_u32_e32 v1, v1
.LBB18_1207:
	s_mov_b32 s12, 0
.LBB18_1208:
	s_delay_alu instid0(SALU_CYCLE_1)
	s_and_not1_b32 vcc_lo, exec_lo, s12
	s_cbranch_vccnz .LBB18_1216
; %bb.1209:
	global_load_u8 v3, v[8:9], off
	s_mov_b32 s12, 0
	s_mov_b32 s13, exec_lo
	s_wait_loadcnt 0x0
	v_cmpx_lt_i16_e32 0x7f, v3
	s_xor_b32 s13, exec_lo, s13
	s_cbranch_execz .LBB18_1229
; %bb.1210:
	s_mov_b32 s12, -1
	s_mov_b32 s14, exec_lo
	v_cmpx_eq_u16_e32 0x80, v3
; %bb.1211:
	s_xor_b32 s12, exec_lo, -1
; %bb.1212:
	s_or_b32 exec_lo, exec_lo, s14
	s_delay_alu instid0(SALU_CYCLE_1)
	s_and_b32 s12, s12, exec_lo
	s_or_saveexec_b32 s13, s13
	v_mov_b32_e32 v1, 0x7f800001
	s_xor_b32 exec_lo, exec_lo, s13
	s_cbranch_execnz .LBB18_1230
.LBB18_1213:
	s_or_b32 exec_lo, exec_lo, s13
	s_and_saveexec_b32 s13, s12
	s_cbranch_execz .LBB18_1215
.LBB18_1214:
	v_and_b32_e32 v1, 0xffff, v3
	s_delay_alu instid0(VALU_DEP_1) | instskip(SKIP_1) | instid1(VALU_DEP_2)
	v_and_b32_e32 v5, 7, v1
	v_bfe_u32 v13, v1, 3, 4
	v_clz_i32_u32_e32 v7, v5
	s_delay_alu instid0(VALU_DEP_2) | instskip(NEXT) | instid1(VALU_DEP_2)
	v_cmp_eq_u32_e32 vcc_lo, 0, v13
	v_min_u32_e32 v7, 32, v7
	s_delay_alu instid0(VALU_DEP_1) | instskip(NEXT) | instid1(VALU_DEP_1)
	v_subrev_nc_u32_e32 v11, 28, v7
	v_dual_lshlrev_b32 v1, v11, v1 :: v_dual_sub_nc_u32 v7, 29, v7
	s_delay_alu instid0(VALU_DEP_1) | instskip(NEXT) | instid1(VALU_DEP_1)
	v_dual_lshlrev_b32 v3, 24, v3 :: v_dual_bitop2_b32 v1, 7, v1 bitop3:0x40
	v_cndmask_b32_e32 v1, v5, v1, vcc_lo
	s_delay_alu instid0(VALU_DEP_3) | instskip(NEXT) | instid1(VALU_DEP_3)
	v_cndmask_b32_e32 v7, v13, v7, vcc_lo
	v_and_b32_e32 v3, 0x80000000, v3
	s_delay_alu instid0(VALU_DEP_3) | instskip(NEXT) | instid1(VALU_DEP_3)
	v_lshlrev_b32_e32 v1, 20, v1
	v_lshl_add_u32 v5, v7, 23, 0x3b800000
	s_delay_alu instid0(VALU_DEP_1)
	v_or3_b32 v1, v3, v5, v1
.LBB18_1215:
	s_or_b32 exec_lo, exec_lo, s13
.LBB18_1216:
	s_mov_b32 s12, -1
.LBB18_1217:
	s_branch .LBB18_1249
.LBB18_1218:
	s_cmp_gt_i32 s0, 22
	s_cbranch_scc0 .LBB18_1228
; %bb.1219:
	s_cmp_lt_i32 s0, 24
	s_cbranch_scc1 .LBB18_1231
; %bb.1220:
	s_cmp_gt_i32 s0, 24
	s_cbranch_scc0 .LBB18_1232
; %bb.1221:
	global_load_u8 v3, v[8:9], off
	s_mov_b32 s12, exec_lo
	s_wait_loadcnt 0x0
	v_cmpx_lt_i16_e32 0x7f, v3
	s_xor_b32 s12, exec_lo, s12
	s_cbranch_execz .LBB18_1243
; %bb.1222:
	s_mov_b32 s11, -1
	s_mov_b32 s13, exec_lo
	v_cmpx_eq_u16_e32 0x80, v3
; %bb.1223:
	s_xor_b32 s11, exec_lo, -1
; %bb.1224:
	s_or_b32 exec_lo, exec_lo, s13
	s_delay_alu instid0(SALU_CYCLE_1)
	s_and_b32 s11, s11, exec_lo
	s_or_saveexec_b32 s12, s12
	v_mov_b32_e32 v1, 0x7f800001
	s_xor_b32 exec_lo, exec_lo, s12
	s_cbranch_execnz .LBB18_1244
.LBB18_1225:
	s_or_b32 exec_lo, exec_lo, s12
	s_and_saveexec_b32 s12, s11
	s_cbranch_execz .LBB18_1227
.LBB18_1226:
	v_and_b32_e32 v1, 0xffff, v3
	s_delay_alu instid0(VALU_DEP_1) | instskip(SKIP_1) | instid1(VALU_DEP_2)
	v_and_b32_e32 v5, 3, v1
	v_bfe_u32 v13, v1, 2, 5
	v_clz_i32_u32_e32 v7, v5
	s_delay_alu instid0(VALU_DEP_2) | instskip(NEXT) | instid1(VALU_DEP_2)
	v_cmp_eq_u32_e32 vcc_lo, 0, v13
	v_min_u32_e32 v7, 32, v7
	s_delay_alu instid0(VALU_DEP_1) | instskip(NEXT) | instid1(VALU_DEP_1)
	v_subrev_nc_u32_e32 v11, 29, v7
	v_dual_lshlrev_b32 v1, v11, v1 :: v_dual_sub_nc_u32 v7, 30, v7
	s_delay_alu instid0(VALU_DEP_1) | instskip(NEXT) | instid1(VALU_DEP_1)
	v_dual_lshlrev_b32 v3, 24, v3 :: v_dual_bitop2_b32 v1, 3, v1 bitop3:0x40
	v_cndmask_b32_e32 v1, v5, v1, vcc_lo
	s_delay_alu instid0(VALU_DEP_3) | instskip(NEXT) | instid1(VALU_DEP_3)
	v_cndmask_b32_e32 v7, v13, v7, vcc_lo
	v_and_b32_e32 v3, 0x80000000, v3
	s_delay_alu instid0(VALU_DEP_3) | instskip(NEXT) | instid1(VALU_DEP_3)
	v_lshlrev_b32_e32 v1, 21, v1
	v_lshl_add_u32 v5, v7, 23, 0x37800000
	s_delay_alu instid0(VALU_DEP_1)
	v_or3_b32 v1, v3, v5, v1
.LBB18_1227:
	s_or_b32 exec_lo, exec_lo, s12
	s_mov_b32 s11, 0
	s_branch .LBB18_1233
.LBB18_1228:
                                        ; implicit-def: $vgpr1
	s_mov_b32 s11, 0
	s_branch .LBB18_1239
.LBB18_1229:
	s_or_saveexec_b32 s13, s13
	v_mov_b32_e32 v1, 0x7f800001
	s_xor_b32 exec_lo, exec_lo, s13
	s_cbranch_execz .LBB18_1213
.LBB18_1230:
	v_cmp_ne_u16_e32 vcc_lo, 0, v3
	v_mov_b32_e32 v1, 0
	s_and_not1_b32 s12, s12, exec_lo
	s_and_b32 s14, vcc_lo, exec_lo
	s_delay_alu instid0(SALU_CYCLE_1)
	s_or_b32 s12, s12, s14
	s_or_b32 exec_lo, exec_lo, s13
	s_and_saveexec_b32 s13, s12
	s_cbranch_execnz .LBB18_1214
	s_branch .LBB18_1215
.LBB18_1231:
	s_mov_b32 s11, -1
                                        ; implicit-def: $vgpr1
	s_branch .LBB18_1236
.LBB18_1232:
	s_mov_b32 s11, -1
                                        ; implicit-def: $vgpr1
.LBB18_1233:
	s_delay_alu instid0(SALU_CYCLE_1)
	s_and_b32 vcc_lo, exec_lo, s11
	s_cbranch_vccz .LBB18_1235
; %bb.1234:
	global_load_u8 v1, v[8:9], off
	s_wait_loadcnt 0x0
	v_lshlrev_b32_e32 v1, 24, v1
	s_delay_alu instid0(VALU_DEP_1) | instskip(NEXT) | instid1(VALU_DEP_1)
	v_and_b32_e32 v3, 0x7f000000, v1
	v_clz_i32_u32_e32 v5, v3
	v_add_nc_u32_e32 v11, 0x1000000, v3
	v_cmp_ne_u32_e32 vcc_lo, 0, v3
	s_delay_alu instid0(VALU_DEP_3) | instskip(NEXT) | instid1(VALU_DEP_1)
	v_min_u32_e32 v5, 32, v5
	v_sub_nc_u32_e64 v5, v5, 4 clamp
	s_delay_alu instid0(VALU_DEP_1) | instskip(NEXT) | instid1(VALU_DEP_1)
	v_dual_lshlrev_b32 v7, v5, v3 :: v_dual_lshlrev_b32 v5, 23, v5
	v_lshrrev_b32_e32 v7, 4, v7
	s_delay_alu instid0(VALU_DEP_1) | instskip(NEXT) | instid1(VALU_DEP_1)
	v_dual_sub_nc_u32 v5, v7, v5 :: v_dual_ashrrev_i32 v7, 8, v11
	v_add_nc_u32_e32 v5, 0x3c000000, v5
	s_delay_alu instid0(VALU_DEP_1) | instskip(NEXT) | instid1(VALU_DEP_1)
	v_and_or_b32 v5, 0x7f800000, v7, v5
	v_cndmask_b32_e32 v3, 0, v5, vcc_lo
	s_delay_alu instid0(VALU_DEP_1)
	v_and_or_b32 v1, 0x80000000, v1, v3
.LBB18_1235:
	s_mov_b32 s11, 0
.LBB18_1236:
	s_delay_alu instid0(SALU_CYCLE_1)
	s_and_not1_b32 vcc_lo, exec_lo, s11
	s_cbranch_vccnz .LBB18_1238
; %bb.1237:
	global_load_u8 v1, v[8:9], off
	s_wait_loadcnt 0x0
	v_lshlrev_b32_e32 v3, 25, v1
	v_lshlrev_b16 v1, 8, v1
	s_delay_alu instid0(VALU_DEP_1) | instskip(SKIP_1) | instid1(VALU_DEP_2)
	v_and_or_b32 v7, 0x7f00, v1, 0.5
	v_bfe_i32 v1, v1, 0, 16
	v_add_f32_e32 v7, -0.5, v7
	v_lshrrev_b32_e32 v5, 4, v3
	v_cmp_gt_u32_e32 vcc_lo, 0x8000000, v3
	s_delay_alu instid0(VALU_DEP_2) | instskip(NEXT) | instid1(VALU_DEP_1)
	v_or_b32_e32 v5, 0x70000000, v5
	v_mul_f32_e32 v5, 0x7800000, v5
	s_delay_alu instid0(VALU_DEP_1) | instskip(NEXT) | instid1(VALU_DEP_1)
	v_cndmask_b32_e32 v3, v5, v7, vcc_lo
	v_and_or_b32 v1, 0x80000000, v1, v3
.LBB18_1238:
	s_mov_b32 s12, -1
	s_mov_b32 s11, 0
	s_cbranch_execnz .LBB18_1249
.LBB18_1239:
	s_cmp_gt_i32 s0, 14
	s_cbranch_scc0 .LBB18_1242
; %bb.1240:
	s_cmp_eq_u32 s0, 15
	s_cbranch_scc0 .LBB18_1245
; %bb.1241:
	global_load_u16 v1, v[8:9], off
	s_mov_b32 s1, 0
	s_mov_b32 s12, -1
	s_wait_loadcnt 0x0
	v_lshlrev_b32_e32 v1, 16, v1
	s_branch .LBB18_1247
.LBB18_1242:
	s_mov_b32 s11, -1
	s_branch .LBB18_1246
.LBB18_1243:
	s_or_saveexec_b32 s12, s12
	v_mov_b32_e32 v1, 0x7f800001
	s_xor_b32 exec_lo, exec_lo, s12
	s_cbranch_execz .LBB18_1225
.LBB18_1244:
	v_cmp_ne_u16_e32 vcc_lo, 0, v3
	v_mov_b32_e32 v1, 0
	s_and_not1_b32 s11, s11, exec_lo
	s_and_b32 s13, vcc_lo, exec_lo
	s_delay_alu instid0(SALU_CYCLE_1)
	s_or_b32 s11, s11, s13
	s_or_b32 exec_lo, exec_lo, s12
	s_and_saveexec_b32 s12, s11
	s_cbranch_execnz .LBB18_1226
	s_branch .LBB18_1227
.LBB18_1245:
	s_mov_b32 s1, -1
.LBB18_1246:
                                        ; implicit-def: $vgpr1
.LBB18_1247:
	s_and_b32 vcc_lo, exec_lo, s11
	s_mov_b32 s11, 0
	s_cbranch_vccz .LBB18_1249
; %bb.1248:
	s_cmp_lg_u32 s0, 11
	s_mov_b32 s11, -1
	s_cselect_b32 s1, -1, 0
.LBB18_1249:
	s_delay_alu instid0(SALU_CYCLE_1)
	s_and_b32 vcc_lo, exec_lo, s1
	s_mov_b32 s1, s8
	s_cbranch_vccnz .LBB18_1314
; %bb.1250:
	s_and_not1_b32 vcc_lo, exec_lo, s11
	s_cbranch_vccnz .LBB18_1252
.LBB18_1251:
	global_load_u8 v1, v[8:9], off
	s_mov_b32 s12, -1
	s_wait_loadcnt 0x0
	v_cmp_ne_u16_e32 vcc_lo, 0, v1
	v_cndmask_b32_e64 v1, 0, 1.0, vcc_lo
.LBB18_1252:
	s_branch .LBB18_1181
.LBB18_1253:
	s_and_b32 s0, 0xffff, s10
	s_delay_alu instid0(SALU_CYCLE_1)
	s_cmp_lt_i32 s0, 5
	s_cbranch_scc1 .LBB18_1258
; %bb.1254:
	s_cmp_lt_i32 s0, 8
	s_cbranch_scc1 .LBB18_1259
; %bb.1255:
	;; [unrolled: 3-line block ×3, first 2 shown]
	s_cmp_gt_i32 s0, 9
	s_cbranch_scc0 .LBB18_1261
; %bb.1257:
	global_load_b64 v[16:17], v[8:9], off
	s_mov_b32 s11, 0
	s_wait_loadcnt 0x0
	v_cvt_f32_f64_e32 v1, v[16:17]
	s_branch .LBB18_1262
.LBB18_1258:
                                        ; implicit-def: $vgpr1
	s_branch .LBB18_1279
.LBB18_1259:
                                        ; implicit-def: $vgpr1
	s_branch .LBB18_1268
.LBB18_1260:
	s_mov_b32 s11, -1
                                        ; implicit-def: $vgpr1
	s_branch .LBB18_1265
.LBB18_1261:
	s_mov_b32 s11, -1
                                        ; implicit-def: $vgpr1
.LBB18_1262:
	s_delay_alu instid0(SALU_CYCLE_1)
	s_and_not1_b32 vcc_lo, exec_lo, s11
	s_cbranch_vccnz .LBB18_1264
; %bb.1263:
	global_load_b32 v1, v[8:9], off
.LBB18_1264:
	s_mov_b32 s11, 0
.LBB18_1265:
	s_delay_alu instid0(SALU_CYCLE_1)
	s_and_not1_b32 vcc_lo, exec_lo, s11
	s_cbranch_vccnz .LBB18_1267
; %bb.1266:
	s_wait_loadcnt 0x0
	global_load_b32 v1, v[8:9], off
	s_wait_loadcnt 0x0
	v_cvt_f32_f16_e32 v1, v1
.LBB18_1267:
	s_cbranch_execnz .LBB18_1278
.LBB18_1268:
	s_cmp_lt_i32 s0, 6
	s_cbranch_scc1 .LBB18_1271
; %bb.1269:
	s_cmp_gt_i32 s0, 6
	s_cbranch_scc0 .LBB18_1272
; %bb.1270:
	global_load_b64 v[16:17], v[8:9], off
	s_mov_b32 s11, 0
	s_wait_loadcnt 0x0
	v_cvt_f32_f64_e32 v1, v[16:17]
	s_branch .LBB18_1273
.LBB18_1271:
	s_mov_b32 s11, -1
                                        ; implicit-def: $vgpr1
	s_branch .LBB18_1276
.LBB18_1272:
	s_mov_b32 s11, -1
                                        ; implicit-def: $vgpr1
.LBB18_1273:
	s_delay_alu instid0(SALU_CYCLE_1)
	s_and_not1_b32 vcc_lo, exec_lo, s11
	s_cbranch_vccnz .LBB18_1275
; %bb.1274:
	s_wait_loadcnt 0x0
	global_load_b32 v1, v[8:9], off
.LBB18_1275:
	s_mov_b32 s11, 0
.LBB18_1276:
	s_delay_alu instid0(SALU_CYCLE_1)
	s_and_not1_b32 vcc_lo, exec_lo, s11
	s_cbranch_vccnz .LBB18_1278
; %bb.1277:
	s_wait_loadcnt 0x0
	global_load_u16 v1, v[8:9], off
	s_wait_loadcnt 0x0
	v_cvt_f32_f16_e32 v1, v1
.LBB18_1278:
	s_cbranch_execnz .LBB18_1297
.LBB18_1279:
	s_cmp_lt_i32 s0, 2
	s_cbranch_scc1 .LBB18_1283
; %bb.1280:
	s_cmp_lt_i32 s0, 3
	s_cbranch_scc1 .LBB18_1284
; %bb.1281:
	s_cmp_gt_i32 s0, 3
	s_cbranch_scc0 .LBB18_1285
; %bb.1282:
	global_load_b64 v[16:17], v[8:9], off
	s_mov_b32 s11, 0
	s_wait_loadcnt 0x0
	v_xor_b32_e32 v1, v16, v17
	v_cls_i32_e32 v3, v17
	s_delay_alu instid0(VALU_DEP_2) | instskip(NEXT) | instid1(VALU_DEP_1)
	v_ashrrev_i32_e32 v1, 31, v1
	v_add_nc_u32_e32 v1, 32, v1
	s_delay_alu instid0(VALU_DEP_1) | instskip(NEXT) | instid1(VALU_DEP_1)
	v_add_min_u32_e64 v1, v3, -1, v1
	v_lshlrev_b64_e32 v[16:17], v1, v[16:17]
	v_sub_nc_u32_e32 v1, 32, v1
	s_delay_alu instid0(VALU_DEP_2) | instskip(NEXT) | instid1(VALU_DEP_1)
	v_min_u32_e32 v3, 1, v16
	v_or_b32_e32 v3, v17, v3
	s_delay_alu instid0(VALU_DEP_1) | instskip(NEXT) | instid1(VALU_DEP_1)
	v_cvt_f32_i32_e32 v3, v3
	v_ldexp_f32 v1, v3, v1
	s_branch .LBB18_1286
.LBB18_1283:
                                        ; implicit-def: $vgpr1
	s_branch .LBB18_1292
.LBB18_1284:
	s_mov_b32 s11, -1
                                        ; implicit-def: $vgpr1
	s_branch .LBB18_1289
.LBB18_1285:
	s_mov_b32 s11, -1
                                        ; implicit-def: $vgpr1
.LBB18_1286:
	s_delay_alu instid0(SALU_CYCLE_1)
	s_and_not1_b32 vcc_lo, exec_lo, s11
	s_cbranch_vccnz .LBB18_1288
; %bb.1287:
	s_wait_loadcnt 0x0
	global_load_b32 v1, v[8:9], off
	s_wait_loadcnt 0x0
	v_cvt_f32_i32_e32 v1, v1
.LBB18_1288:
	s_mov_b32 s11, 0
.LBB18_1289:
	s_delay_alu instid0(SALU_CYCLE_1)
	s_and_not1_b32 vcc_lo, exec_lo, s11
	s_cbranch_vccnz .LBB18_1291
; %bb.1290:
	s_wait_loadcnt 0x0
	global_load_i16 v1, v[8:9], off
	s_wait_loadcnt 0x0
	v_cvt_f32_i32_e32 v1, v1
.LBB18_1291:
	s_cbranch_execnz .LBB18_1297
.LBB18_1292:
	s_cmp_gt_i32 s0, 0
	s_mov_b32 s0, 0
	s_cbranch_scc0 .LBB18_1294
; %bb.1293:
	s_wait_loadcnt 0x0
	global_load_i8 v1, v[8:9], off
	s_wait_loadcnt 0x0
	v_cvt_f32_i32_e32 v1, v1
	s_branch .LBB18_1295
.LBB18_1294:
	s_mov_b32 s0, -1
                                        ; implicit-def: $vgpr1
.LBB18_1295:
	s_delay_alu instid0(SALU_CYCLE_1)
	s_and_not1_b32 vcc_lo, exec_lo, s0
	s_cbranch_vccnz .LBB18_1297
; %bb.1296:
	s_wait_loadcnt 0x0
	global_load_u8 v1, v[8:9], off
	s_wait_loadcnt 0x0
	v_cvt_f32_ubyte0_e32 v1, v1
.LBB18_1297:
.LBB18_1298:
	s_wait_loadcnt 0x0
	s_delay_alu instid0(VALU_DEP_1) | instskip(SKIP_3) | instid1(SALU_CYCLE_1)
	v_cmp_ge_f32_e64 s0, 0x41000000, |v1|
	v_mul_f32_e64 v3, 0x3fb8aa3b, |v1|
                                        ; implicit-def: $vgpr8
	s_wait_xcnt 0x0
	s_and_saveexec_b32 s11, s0
	s_xor_b32 s0, exec_lo, s11
	s_cbranch_execz .LBB18_1300
; %bb.1299:
	v_rndne_f32_e32 v9, v3
	v_fma_f32 v11, 0x3fb8aa3b, |v1|, -v3
	v_fma_f32 v5, |v1|, 0.5, -2.0
	v_cmp_ngt_f32_e64 vcc_lo, 0xc2ce8ed0, |v1|
	s_mov_b32 s11, 0xa2a2e5b9
	v_sub_f32_e32 v3, v3, v9
	v_fma_f32 v11, 0x32a5705f, |v1|, v11
	v_cvt_i32_f32_e32 v9, v9
	s_delay_alu instid0(VALU_DEP_2) | instskip(NEXT) | instid1(VALU_DEP_1)
	v_add_f32_e32 v3, v3, v11
	v_exp_f32_e32 v3, v3
	v_nop
	s_delay_alu instid0(TRANS32_DEP_1) | instskip(NEXT) | instid1(VALU_DEP_1)
	v_ldexp_f32 v3, v3, v9
	v_cndmask_b32_e32 v3, 0, v3, vcc_lo
	v_cmp_nlt_f32_e64 vcc_lo, 0x42b17218, |v1|
	s_delay_alu instid0(VALU_DEP_2) | instskip(SKIP_1) | instid1(VALU_DEP_1)
	v_cndmask_b32_e32 v1, 0x7f800000, v3, vcc_lo
	v_fmaak_f32 v7, s11, v5, 0x24199b15
	v_fmaak_f32 v8, v5, v7, 0x22a2e5b9
	s_delay_alu instid0(VALU_DEP_1) | instskip(NEXT) | instid1(VALU_DEP_1)
	v_add_f32_e32 v8, 0xa58c275c, v8
	v_fma_f32 v7, v5, v8, -v7
	s_delay_alu instid0(VALU_DEP_1) | instskip(NEXT) | instid1(VALU_DEP_1)
	v_add_f32_e32 v7, 0x26f736c5, v7
	v_fma_f32 v8, v5, v7, -v8
	;; [unrolled: 3-line block ×27, first 2 shown]
	s_delay_alu instid0(VALU_DEP_1) | instskip(NEXT) | instid1(VALU_DEP_1)
	v_add_f32_e32 v5, 0x3f2d4275, v5
	v_sub_f32_e32 v5, v5, v7
	s_delay_alu instid0(VALU_DEP_1) | instskip(NEXT) | instid1(VALU_DEP_1)
	v_mul_f32_e32 v3, 0.5, v5
	v_mul_f32_e32 v8, v1, v3
                                        ; implicit-def: $vgpr1
                                        ; implicit-def: $vgpr3
.LBB18_1300:
	s_and_not1_saveexec_b32 s11, s0
	s_cbranch_execz .LBB18_1302
; %bb.1301:
	v_and_b32_e32 v5, 0x7fffffff, v1
	s_mov_b32 s0, 0xa3056dbb
	v_fma_f32 v13, 0x3fb8aa3b, |v1|, -v3
	s_delay_alu instid0(VALU_DEP_2) | instskip(SKIP_1) | instid1(VALU_DEP_3)
	v_div_scale_f32 v7, null, v5, v5, 0x42000000
	v_div_scale_f32 v5, vcc_lo, 0x42000000, v5, 0x42000000
	v_fma_f32 v13, 0x32a5705f, |v1|, v13
	s_delay_alu instid0(VALU_DEP_3) | instskip(SKIP_1) | instid1(TRANS32_DEP_1)
	v_rcp_f32_e32 v8, v7
	v_nop
	v_fma_f32 v9, -v7, v8, 1.0
	s_delay_alu instid0(VALU_DEP_1) | instskip(NEXT) | instid1(VALU_DEP_1)
	v_fmac_f32_e32 v8, v9, v8
	v_mul_f32_e32 v9, v5, v8
	s_delay_alu instid0(VALU_DEP_1) | instskip(NEXT) | instid1(VALU_DEP_1)
	v_fma_f32 v11, -v7, v9, v5
	v_fmac_f32_e32 v9, v11, v8
	v_rndne_f32_e32 v11, v3
	s_delay_alu instid0(VALU_DEP_2) | instskip(NEXT) | instid1(VALU_DEP_2)
	v_fma_f32 v5, -v7, v9, v5
	v_sub_f32_e32 v3, v3, v11
	v_cvt_i32_f32_e32 v11, v11
	s_delay_alu instid0(VALU_DEP_3) | instskip(SKIP_3) | instid1(VALU_DEP_4)
	v_div_fmas_f32 v5, v5, v8, v9
	v_mul_f32_e64 v9, 0x4f800000, |v1|
	v_cmp_gt_f32_e64 vcc_lo, 0xf800000, |v1|
	v_add_f32_e32 v3, v3, v13
	v_div_fixup_f32 v5, v5, |v1|, 0x42000000
	s_delay_alu instid0(VALU_DEP_3) | instskip(NEXT) | instid1(VALU_DEP_3)
	v_cndmask_b32_e64 v9, |v1|, v9, vcc_lo
	v_exp_f32_e32 v3, v3
	s_delay_alu instid0(VALU_DEP_2) | instskip(NEXT) | instid1(VALU_DEP_2)
	v_add_f32_e32 v5, -2.0, v5
	v_sqrt_f32_e32 v15, v9
	s_delay_alu instid0(VALU_DEP_1) | instskip(NEXT) | instid1(TRANS32_DEP_2)
	v_fmaak_f32 v7, s0, v5, 0xa2b236d3
	v_ldexp_f32 v3, v3, v11
	s_delay_alu instid0(TRANS32_DEP_1) | instskip(NEXT) | instid1(VALU_DEP_3)
	v_add_nc_u32_e32 v16, -1, v15
	v_fmaak_f32 v8, v5, v7, 0x23056dbb
	s_delay_alu instid0(VALU_DEP_2) | instskip(NEXT) | instid1(VALU_DEP_2)
	v_dual_add_nc_u32 v13, 1, v15 :: v_dual_fma_f32 v17, -v16, v15, v9
	v_add_f32_e32 v8, 0x244df0c1, v8
	s_delay_alu instid0(VALU_DEP_2) | instskip(NEXT) | instid1(VALU_DEP_3)
	v_fma_f32 v18, -v13, v15, v9
	v_cmp_ge_f32_e64 s0, 0, v17
	s_delay_alu instid0(VALU_DEP_3) | instskip(NEXT) | instid1(VALU_DEP_2)
	v_fma_f32 v7, v5, v8, -v7
	v_cndmask_b32_e64 v15, v15, v16, s0
	s_delay_alu instid0(VALU_DEP_2) | instskip(SKIP_1) | instid1(VALU_DEP_2)
	v_add_f32_e32 v7, 0x241f9ee8, v7
	v_cmp_lt_f32_e64 s0, 0, v18
	v_fma_f32 v8, v5, v7, -v8
	s_delay_alu instid0(VALU_DEP_1) | instskip(NEXT) | instid1(VALU_DEP_1)
	v_add_f32_e32 v8, 0xa5a3005d, v8
	v_fma_f32 v7, v5, v8, -v7
	s_delay_alu instid0(VALU_DEP_1) | instskip(NEXT) | instid1(VALU_DEP_1)
	v_add_f32_e32 v7, 0xa5c5773f, v7
	;; [unrolled: 3-line block ×20, first 2 shown]
	v_dual_fma_f32 v5, v5, v7, -v8 :: v_dual_cndmask_b32 v7, v15, v13, s0
	v_cmp_ngt_f32_e64 s0, 0xc2ce8ed0, |v1|
	s_delay_alu instid0(VALU_DEP_2) | instskip(NEXT) | instid1(VALU_DEP_3)
	v_add_f32_e32 v5, 0x3f4df315, v5
	v_mul_f32_e32 v11, 0x37800000, v7
	s_delay_alu instid0(VALU_DEP_3) | instskip(SKIP_1) | instid1(VALU_DEP_4)
	v_cndmask_b32_e64 v3, 0, v3, s0
	v_cmp_nlt_f32_e64 s0, 0x42b17218, |v1|
	v_sub_f32_e32 v5, v5, v8
	s_delay_alu instid0(VALU_DEP_2) | instskip(NEXT) | instid1(VALU_DEP_2)
	v_cndmask_b32_e64 v1, 0x7f800000, v3, s0
	v_dual_cndmask_b32 v3, v7, v11, vcc_lo :: v_dual_mul_f32 v5, 0.5, v5
	v_cmp_class_f32_e64 vcc_lo, v9, 0x260
	s_delay_alu instid0(VALU_DEP_2) | instskip(NEXT) | instid1(VALU_DEP_3)
	v_mul_f32_e32 v1, v1, v5
	v_cndmask_b32_e32 v3, v3, v9, vcc_lo
	s_delay_alu instid0(VALU_DEP_1) | instskip(NEXT) | instid1(VALU_DEP_1)
	v_div_scale_f32 v5, null, v3, v3, v1
	v_rcp_f32_e32 v7, v5
	v_nop
	s_delay_alu instid0(TRANS32_DEP_1) | instskip(NEXT) | instid1(VALU_DEP_1)
	v_fma_f32 v8, -v5, v7, 1.0
	v_fmac_f32_e32 v7, v8, v7
	v_div_scale_f32 v8, vcc_lo, v1, v3, v1
	s_delay_alu instid0(VALU_DEP_1) | instskip(NEXT) | instid1(VALU_DEP_1)
	v_mul_f32_e32 v9, v8, v7
	v_fma_f32 v11, -v5, v9, v8
	s_delay_alu instid0(VALU_DEP_1) | instskip(NEXT) | instid1(VALU_DEP_1)
	v_fmac_f32_e32 v9, v11, v7
	v_fma_f32 v5, -v5, v9, v8
	s_delay_alu instid0(VALU_DEP_1) | instskip(NEXT) | instid1(VALU_DEP_1)
	v_div_fmas_f32 v5, v5, v7, v9
	v_div_fixup_f32 v8, v5, v3, v1
.LBB18_1302:
	s_or_b32 exec_lo, exec_lo, s11
	v_mov_b32_e32 v11, 0
	s_and_b32 s10, 0xffff, s10
	s_delay_alu instid0(SALU_CYCLE_1) | instskip(NEXT) | instid1(VALU_DEP_1)
	s_cmp_lt_i32 s10, 11
	v_add_nc_u64_e32 v[10:11], s[6:7], v[10:11]
	s_cbranch_scc1 .LBB18_1309
; %bb.1303:
	s_cmp_gt_i32 s10, 25
	s_mov_b32 s11, 0
	s_cbranch_scc0 .LBB18_1311
; %bb.1304:
	s_cmp_gt_i32 s10, 28
	s_cbranch_scc0 .LBB18_1312
; %bb.1305:
	s_cmp_gt_i32 s10, 43
	;; [unrolled: 3-line block ×3, first 2 shown]
	s_cbranch_scc0 .LBB18_1315
; %bb.1307:
	s_cmp_eq_u32 s10, 46
	s_mov_b32 s13, 0
	s_cbranch_scc0 .LBB18_1318
; %bb.1308:
	global_load_b32 v1, v[10:11], off
	s_mov_b32 s0, 0
	s_mov_b32 s12, -1
	s_wait_loadcnt 0x0
	v_lshlrev_b32_e32 v1, 16, v1
	s_branch .LBB18_1320
.LBB18_1309:
	s_mov_b32 s12, 0
                                        ; implicit-def: $vgpr1
	s_cbranch_execnz .LBB18_1385
.LBB18_1310:
	s_and_not1_b32 vcc_lo, exec_lo, s12
	s_cbranch_vccnz .LBB18_1783
	s_branch .LBB18_1432
.LBB18_1311:
	s_mov_b32 s12, 0
	s_mov_b32 s0, 0
                                        ; implicit-def: $vgpr1
	s_cbranch_execnz .LBB18_1349
	s_branch .LBB18_1381
.LBB18_1312:
	s_mov_b32 s13, -1
	s_mov_b32 s12, 0
	s_mov_b32 s0, 0
                                        ; implicit-def: $vgpr1
	s_branch .LBB18_1330
.LBB18_1313:
	s_mov_b32 s13, -1
	s_mov_b32 s12, 0
	s_mov_b32 s0, 0
                                        ; implicit-def: $vgpr1
	s_branch .LBB18_1325
.LBB18_1314:
	s_or_b32 s1, s8, exec_lo
	s_trap 2
	s_cbranch_execz .LBB18_1251
	s_branch .LBB18_1252
.LBB18_1315:
	s_mov_b32 s13, -1
	s_mov_b32 s12, 0
	s_mov_b32 s0, 0
	s_branch .LBB18_1319
.LBB18_1316:
	s_and_not1_saveexec_b32 s10, s10
	s_cbranch_execz .LBB18_1037
.LBB18_1317:
	v_add_f32_e64 v1, 0x42800000, |v0|
	s_and_not1_b32 s9, s9, exec_lo
	s_delay_alu instid0(VALU_DEP_1) | instskip(NEXT) | instid1(VALU_DEP_1)
	v_and_b32_e32 v1, 0xff, v1
	v_cmp_ne_u32_e32 vcc_lo, 0, v1
	s_and_b32 s11, vcc_lo, exec_lo
	s_delay_alu instid0(SALU_CYCLE_1)
	s_or_b32 s9, s9, s11
	s_or_b32 exec_lo, exec_lo, s10
	v_mov_b32_e32 v2, 0
	s_and_saveexec_b32 s10, s9
	s_cbranch_execnz .LBB18_1038
	s_branch .LBB18_1039
.LBB18_1318:
	s_mov_b32 s0, -1
	s_mov_b32 s12, 0
.LBB18_1319:
                                        ; implicit-def: $vgpr1
.LBB18_1320:
	s_and_b32 vcc_lo, exec_lo, s13
	s_cbranch_vccz .LBB18_1324
; %bb.1321:
	s_cmp_eq_u32 s10, 44
	s_cbranch_scc0 .LBB18_1323
; %bb.1322:
	global_load_u8 v1, v[10:11], off
	s_mov_b32 s0, 0
	s_mov_b32 s12, -1
	s_wait_loadcnt 0x0
	v_lshlrev_b32_e32 v3, 23, v1
	v_cmp_ne_u32_e32 vcc_lo, 0xff, v1
	s_delay_alu instid0(VALU_DEP_2) | instskip(SKIP_1) | instid1(VALU_DEP_2)
	v_cndmask_b32_e32 v3, 0x7f800001, v3, vcc_lo
	v_cmp_ne_u32_e32 vcc_lo, 0, v1
	v_cndmask_b32_e32 v1, 0x400000, v3, vcc_lo
	s_branch .LBB18_1324
.LBB18_1323:
	s_mov_b32 s0, -1
                                        ; implicit-def: $vgpr1
.LBB18_1324:
	s_mov_b32 s13, 0
.LBB18_1325:
	s_delay_alu instid0(SALU_CYCLE_1)
	s_and_b32 vcc_lo, exec_lo, s13
	s_cbranch_vccz .LBB18_1329
; %bb.1326:
	s_cmp_eq_u32 s10, 29
	s_cbranch_scc0 .LBB18_1328
; %bb.1327:
	global_load_b64 v[16:17], v[10:11], off
	s_mov_b32 s0, 0
	s_mov_b32 s12, -1
	s_mov_b32 s13, 0
	s_wait_loadcnt 0x0
	v_clz_i32_u32_e32 v1, v17
	s_delay_alu instid0(VALU_DEP_1) | instskip(NEXT) | instid1(VALU_DEP_1)
	v_min_u32_e32 v1, 32, v1
	v_lshlrev_b64_e32 v[16:17], v1, v[16:17]
	v_sub_nc_u32_e32 v1, 32, v1
	s_delay_alu instid0(VALU_DEP_2) | instskip(NEXT) | instid1(VALU_DEP_1)
	v_min_u32_e32 v3, 1, v16
	v_or_b32_e32 v3, v17, v3
	s_delay_alu instid0(VALU_DEP_1) | instskip(NEXT) | instid1(VALU_DEP_1)
	v_cvt_f32_u32_e32 v3, v3
	v_ldexp_f32 v1, v3, v1
	s_branch .LBB18_1330
.LBB18_1328:
	s_mov_b32 s0, -1
                                        ; implicit-def: $vgpr1
.LBB18_1329:
	s_mov_b32 s13, 0
.LBB18_1330:
	s_delay_alu instid0(SALU_CYCLE_1)
	s_and_b32 vcc_lo, exec_lo, s13
	s_cbranch_vccz .LBB18_1348
; %bb.1331:
	s_cmp_lt_i32 s10, 27
	s_cbranch_scc1 .LBB18_1334
; %bb.1332:
	s_cmp_gt_i32 s10, 27
	s_cbranch_scc0 .LBB18_1335
; %bb.1333:
	global_load_b32 v1, v[10:11], off
	s_mov_b32 s12, 0
	s_wait_loadcnt 0x0
	v_cvt_f32_u32_e32 v1, v1
	s_branch .LBB18_1336
.LBB18_1334:
	s_mov_b32 s12, -1
                                        ; implicit-def: $vgpr1
	s_branch .LBB18_1339
.LBB18_1335:
	s_mov_b32 s12, -1
                                        ; implicit-def: $vgpr1
.LBB18_1336:
	s_delay_alu instid0(SALU_CYCLE_1)
	s_and_not1_b32 vcc_lo, exec_lo, s12
	s_cbranch_vccnz .LBB18_1338
; %bb.1337:
	global_load_u16 v1, v[10:11], off
	s_wait_loadcnt 0x0
	v_cvt_f32_u32_e32 v1, v1
.LBB18_1338:
	s_mov_b32 s12, 0
.LBB18_1339:
	s_delay_alu instid0(SALU_CYCLE_1)
	s_and_not1_b32 vcc_lo, exec_lo, s12
	s_cbranch_vccnz .LBB18_1347
; %bb.1340:
	global_load_u8 v3, v[10:11], off
	s_mov_b32 s12, 0
	s_mov_b32 s13, exec_lo
	s_wait_loadcnt 0x0
	v_cmpx_lt_i16_e32 0x7f, v3
	s_xor_b32 s13, exec_lo, s13
	s_cbranch_execz .LBB18_1360
; %bb.1341:
	s_mov_b32 s12, -1
	s_mov_b32 s14, exec_lo
	v_cmpx_eq_u16_e32 0x80, v3
; %bb.1342:
	s_xor_b32 s12, exec_lo, -1
; %bb.1343:
	s_or_b32 exec_lo, exec_lo, s14
	s_delay_alu instid0(SALU_CYCLE_1)
	s_and_b32 s12, s12, exec_lo
	s_or_saveexec_b32 s13, s13
	v_mov_b32_e32 v1, 0x7f800001
	s_xor_b32 exec_lo, exec_lo, s13
	s_cbranch_execnz .LBB18_1361
.LBB18_1344:
	s_or_b32 exec_lo, exec_lo, s13
	s_and_saveexec_b32 s13, s12
	s_cbranch_execz .LBB18_1346
.LBB18_1345:
	v_and_b32_e32 v1, 0xffff, v3
	s_delay_alu instid0(VALU_DEP_1) | instskip(SKIP_1) | instid1(VALU_DEP_2)
	v_and_b32_e32 v5, 7, v1
	v_bfe_u32 v13, v1, 3, 4
	v_clz_i32_u32_e32 v7, v5
	s_delay_alu instid0(VALU_DEP_2) | instskip(NEXT) | instid1(VALU_DEP_2)
	v_cmp_eq_u32_e32 vcc_lo, 0, v13
	v_min_u32_e32 v7, 32, v7
	s_delay_alu instid0(VALU_DEP_1) | instskip(NEXT) | instid1(VALU_DEP_1)
	v_subrev_nc_u32_e32 v9, 28, v7
	v_dual_lshlrev_b32 v1, v9, v1 :: v_dual_sub_nc_u32 v7, 29, v7
	s_delay_alu instid0(VALU_DEP_1) | instskip(NEXT) | instid1(VALU_DEP_1)
	v_dual_lshlrev_b32 v3, 24, v3 :: v_dual_bitop2_b32 v1, 7, v1 bitop3:0x40
	v_cndmask_b32_e32 v1, v5, v1, vcc_lo
	s_delay_alu instid0(VALU_DEP_3) | instskip(NEXT) | instid1(VALU_DEP_3)
	v_cndmask_b32_e32 v7, v13, v7, vcc_lo
	v_and_b32_e32 v3, 0x80000000, v3
	s_delay_alu instid0(VALU_DEP_3) | instskip(NEXT) | instid1(VALU_DEP_3)
	v_lshlrev_b32_e32 v1, 20, v1
	v_lshl_add_u32 v5, v7, 23, 0x3b800000
	s_delay_alu instid0(VALU_DEP_1)
	v_or3_b32 v1, v3, v5, v1
.LBB18_1346:
	s_or_b32 exec_lo, exec_lo, s13
.LBB18_1347:
	s_mov_b32 s12, -1
.LBB18_1348:
	s_branch .LBB18_1381
.LBB18_1349:
	s_cmp_gt_i32 s10, 22
	s_cbranch_scc0 .LBB18_1359
; %bb.1350:
	s_cmp_lt_i32 s10, 24
	s_cbranch_scc1 .LBB18_1362
; %bb.1351:
	s_cmp_gt_i32 s10, 24
	s_cbranch_scc0 .LBB18_1363
; %bb.1352:
	global_load_u8 v3, v[10:11], off
	s_mov_b32 s12, exec_lo
	s_wait_loadcnt 0x0
	v_cmpx_lt_i16_e32 0x7f, v3
	s_xor_b32 s12, exec_lo, s12
	s_cbranch_execz .LBB18_1375
; %bb.1353:
	s_mov_b32 s11, -1
	s_mov_b32 s13, exec_lo
	v_cmpx_eq_u16_e32 0x80, v3
; %bb.1354:
	s_xor_b32 s11, exec_lo, -1
; %bb.1355:
	s_or_b32 exec_lo, exec_lo, s13
	s_delay_alu instid0(SALU_CYCLE_1)
	s_and_b32 s11, s11, exec_lo
	s_or_saveexec_b32 s12, s12
	v_mov_b32_e32 v1, 0x7f800001
	s_xor_b32 exec_lo, exec_lo, s12
	s_cbranch_execnz .LBB18_1376
.LBB18_1356:
	s_or_b32 exec_lo, exec_lo, s12
	s_and_saveexec_b32 s12, s11
	s_cbranch_execz .LBB18_1358
.LBB18_1357:
	v_and_b32_e32 v1, 0xffff, v3
	s_delay_alu instid0(VALU_DEP_1) | instskip(SKIP_1) | instid1(VALU_DEP_2)
	v_and_b32_e32 v5, 3, v1
	v_bfe_u32 v13, v1, 2, 5
	v_clz_i32_u32_e32 v7, v5
	s_delay_alu instid0(VALU_DEP_2) | instskip(NEXT) | instid1(VALU_DEP_2)
	v_cmp_eq_u32_e32 vcc_lo, 0, v13
	v_min_u32_e32 v7, 32, v7
	s_delay_alu instid0(VALU_DEP_1) | instskip(NEXT) | instid1(VALU_DEP_1)
	v_subrev_nc_u32_e32 v9, 29, v7
	v_dual_lshlrev_b32 v1, v9, v1 :: v_dual_sub_nc_u32 v7, 30, v7
	s_delay_alu instid0(VALU_DEP_1) | instskip(NEXT) | instid1(VALU_DEP_1)
	v_dual_lshlrev_b32 v3, 24, v3 :: v_dual_bitop2_b32 v1, 3, v1 bitop3:0x40
	v_cndmask_b32_e32 v1, v5, v1, vcc_lo
	s_delay_alu instid0(VALU_DEP_3) | instskip(NEXT) | instid1(VALU_DEP_3)
	v_cndmask_b32_e32 v7, v13, v7, vcc_lo
	v_and_b32_e32 v3, 0x80000000, v3
	s_delay_alu instid0(VALU_DEP_3) | instskip(NEXT) | instid1(VALU_DEP_3)
	v_lshlrev_b32_e32 v1, 21, v1
	v_lshl_add_u32 v5, v7, 23, 0x37800000
	s_delay_alu instid0(VALU_DEP_1)
	v_or3_b32 v1, v3, v5, v1
.LBB18_1358:
	s_or_b32 exec_lo, exec_lo, s12
	s_mov_b32 s11, 0
	s_branch .LBB18_1364
.LBB18_1359:
	s_mov_b32 s11, -1
                                        ; implicit-def: $vgpr1
	s_branch .LBB18_1370
.LBB18_1360:
	s_or_saveexec_b32 s13, s13
	v_mov_b32_e32 v1, 0x7f800001
	s_xor_b32 exec_lo, exec_lo, s13
	s_cbranch_execz .LBB18_1344
.LBB18_1361:
	v_cmp_ne_u16_e32 vcc_lo, 0, v3
	v_mov_b32_e32 v1, 0
	s_and_not1_b32 s12, s12, exec_lo
	s_and_b32 s14, vcc_lo, exec_lo
	s_delay_alu instid0(SALU_CYCLE_1)
	s_or_b32 s12, s12, s14
	s_or_b32 exec_lo, exec_lo, s13
	s_and_saveexec_b32 s13, s12
	s_cbranch_execnz .LBB18_1345
	s_branch .LBB18_1346
.LBB18_1362:
	s_mov_b32 s11, -1
                                        ; implicit-def: $vgpr1
	s_branch .LBB18_1367
.LBB18_1363:
	s_mov_b32 s11, -1
                                        ; implicit-def: $vgpr1
.LBB18_1364:
	s_delay_alu instid0(SALU_CYCLE_1)
	s_and_b32 vcc_lo, exec_lo, s11
	s_cbranch_vccz .LBB18_1366
; %bb.1365:
	global_load_u8 v1, v[10:11], off
	s_wait_loadcnt 0x0
	v_lshlrev_b32_e32 v1, 24, v1
	s_delay_alu instid0(VALU_DEP_1) | instskip(NEXT) | instid1(VALU_DEP_1)
	v_and_b32_e32 v3, 0x7f000000, v1
	v_clz_i32_u32_e32 v5, v3
	v_add_nc_u32_e32 v9, 0x1000000, v3
	v_cmp_ne_u32_e32 vcc_lo, 0, v3
	s_delay_alu instid0(VALU_DEP_3) | instskip(NEXT) | instid1(VALU_DEP_1)
	v_min_u32_e32 v5, 32, v5
	v_sub_nc_u32_e64 v5, v5, 4 clamp
	s_delay_alu instid0(VALU_DEP_1) | instskip(NEXT) | instid1(VALU_DEP_1)
	v_dual_lshlrev_b32 v7, v5, v3 :: v_dual_lshlrev_b32 v5, 23, v5
	v_lshrrev_b32_e32 v7, 4, v7
	s_delay_alu instid0(VALU_DEP_1) | instskip(SKIP_1) | instid1(VALU_DEP_2)
	v_sub_nc_u32_e32 v5, v7, v5
	v_ashrrev_i32_e32 v7, 8, v9
	v_add_nc_u32_e32 v5, 0x3c000000, v5
	s_delay_alu instid0(VALU_DEP_1) | instskip(NEXT) | instid1(VALU_DEP_1)
	v_and_or_b32 v5, 0x7f800000, v7, v5
	v_cndmask_b32_e32 v3, 0, v5, vcc_lo
	s_delay_alu instid0(VALU_DEP_1)
	v_and_or_b32 v1, 0x80000000, v1, v3
.LBB18_1366:
	s_mov_b32 s11, 0
.LBB18_1367:
	s_delay_alu instid0(SALU_CYCLE_1)
	s_and_not1_b32 vcc_lo, exec_lo, s11
	s_cbranch_vccnz .LBB18_1369
; %bb.1368:
	global_load_u8 v1, v[10:11], off
	s_wait_loadcnt 0x0
	v_lshlrev_b32_e32 v3, 25, v1
	v_lshlrev_b16 v1, 8, v1
	s_delay_alu instid0(VALU_DEP_1) | instskip(SKIP_1) | instid1(VALU_DEP_2)
	v_and_or_b32 v7, 0x7f00, v1, 0.5
	v_bfe_i32 v1, v1, 0, 16
	v_add_f32_e32 v7, -0.5, v7
	v_lshrrev_b32_e32 v5, 4, v3
	v_cmp_gt_u32_e32 vcc_lo, 0x8000000, v3
	s_delay_alu instid0(VALU_DEP_2) | instskip(NEXT) | instid1(VALU_DEP_1)
	v_or_b32_e32 v5, 0x70000000, v5
	v_mul_f32_e32 v5, 0x7800000, v5
	s_delay_alu instid0(VALU_DEP_1) | instskip(NEXT) | instid1(VALU_DEP_1)
	v_cndmask_b32_e32 v3, v5, v7, vcc_lo
	v_and_or_b32 v1, 0x80000000, v1, v3
.LBB18_1369:
	s_mov_b32 s11, 0
	s_mov_b32 s12, -1
.LBB18_1370:
	s_and_not1_b32 vcc_lo, exec_lo, s11
	s_mov_b32 s11, 0
	s_cbranch_vccnz .LBB18_1381
; %bb.1371:
	s_cmp_gt_i32 s10, 14
	s_cbranch_scc0 .LBB18_1374
; %bb.1372:
	s_cmp_eq_u32 s10, 15
	s_cbranch_scc0 .LBB18_1377
; %bb.1373:
	global_load_u16 v1, v[10:11], off
	s_mov_b32 s0, 0
	s_mov_b32 s12, -1
	s_wait_loadcnt 0x0
	v_lshlrev_b32_e32 v1, 16, v1
	s_branch .LBB18_1379
.LBB18_1374:
	s_mov_b32 s11, -1
	s_branch .LBB18_1378
.LBB18_1375:
	s_or_saveexec_b32 s12, s12
	v_mov_b32_e32 v1, 0x7f800001
	s_xor_b32 exec_lo, exec_lo, s12
	s_cbranch_execz .LBB18_1356
.LBB18_1376:
	v_cmp_ne_u16_e32 vcc_lo, 0, v3
	v_mov_b32_e32 v1, 0
	s_and_not1_b32 s11, s11, exec_lo
	s_and_b32 s13, vcc_lo, exec_lo
	s_delay_alu instid0(SALU_CYCLE_1)
	s_or_b32 s11, s11, s13
	s_or_b32 exec_lo, exec_lo, s12
	s_and_saveexec_b32 s12, s11
	s_cbranch_execnz .LBB18_1357
	s_branch .LBB18_1358
.LBB18_1377:
	s_mov_b32 s0, -1
.LBB18_1378:
                                        ; implicit-def: $vgpr1
.LBB18_1379:
	s_and_b32 vcc_lo, exec_lo, s11
	s_mov_b32 s11, 0
	s_cbranch_vccz .LBB18_1381
; %bb.1380:
	s_cmp_lg_u32 s10, 11
	s_mov_b32 s11, -1
	s_cselect_b32 s0, -1, 0
.LBB18_1381:
	s_delay_alu instid0(SALU_CYCLE_1)
	s_and_b32 vcc_lo, exec_lo, s0
	s_cbranch_vccnz .LBB18_1448
; %bb.1382:
	s_and_not1_b32 vcc_lo, exec_lo, s11
	s_cbranch_vccnz .LBB18_1384
.LBB18_1383:
	global_load_u8 v1, v[10:11], off
	s_mov_b32 s12, -1
	s_wait_loadcnt 0x0
	v_cmp_ne_u16_e32 vcc_lo, 0, v1
	v_cndmask_b32_e64 v1, 0, 1.0, vcc_lo
.LBB18_1384:
	s_branch .LBB18_1310
.LBB18_1385:
	s_cmp_lt_i32 s10, 5
	s_cbranch_scc1 .LBB18_1390
; %bb.1386:
	s_cmp_lt_i32 s10, 8
	s_cbranch_scc1 .LBB18_1391
; %bb.1387:
	;; [unrolled: 3-line block ×3, first 2 shown]
	s_cmp_gt_i32 s10, 9
	s_cbranch_scc0 .LBB18_1393
; %bb.1389:
	global_load_b64 v[16:17], v[10:11], off
	s_mov_b32 s0, 0
	s_wait_loadcnt 0x0
	v_cvt_f32_f64_e32 v1, v[16:17]
	s_branch .LBB18_1394
.LBB18_1390:
                                        ; implicit-def: $vgpr1
	s_branch .LBB18_1412
.LBB18_1391:
	s_mov_b32 s0, -1
                                        ; implicit-def: $vgpr1
	s_branch .LBB18_1400
.LBB18_1392:
	s_mov_b32 s0, -1
                                        ; implicit-def: $vgpr1
	s_branch .LBB18_1397
.LBB18_1393:
	s_mov_b32 s0, -1
                                        ; implicit-def: $vgpr1
.LBB18_1394:
	s_delay_alu instid0(SALU_CYCLE_1)
	s_and_not1_b32 vcc_lo, exec_lo, s0
	s_cbranch_vccnz .LBB18_1396
; %bb.1395:
	global_load_b32 v1, v[10:11], off
.LBB18_1396:
	s_mov_b32 s0, 0
.LBB18_1397:
	s_delay_alu instid0(SALU_CYCLE_1)
	s_and_not1_b32 vcc_lo, exec_lo, s0
	s_cbranch_vccnz .LBB18_1399
; %bb.1398:
	s_wait_loadcnt 0x0
	global_load_b32 v1, v[10:11], off
	s_wait_loadcnt 0x0
	v_cvt_f32_f16_e32 v1, v1
.LBB18_1399:
	s_mov_b32 s0, 0
.LBB18_1400:
	s_delay_alu instid0(SALU_CYCLE_1)
	s_and_not1_b32 vcc_lo, exec_lo, s0
	s_cbranch_vccnz .LBB18_1411
; %bb.1401:
	s_cmp_lt_i32 s10, 6
	s_cbranch_scc1 .LBB18_1404
; %bb.1402:
	s_cmp_gt_i32 s10, 6
	s_cbranch_scc0 .LBB18_1405
; %bb.1403:
	global_load_b64 v[16:17], v[10:11], off
	s_mov_b32 s0, 0
	s_wait_loadcnt 0x0
	v_cvt_f32_f64_e32 v1, v[16:17]
	s_branch .LBB18_1406
.LBB18_1404:
	s_mov_b32 s0, -1
                                        ; implicit-def: $vgpr1
	s_branch .LBB18_1409
.LBB18_1405:
	s_mov_b32 s0, -1
                                        ; implicit-def: $vgpr1
.LBB18_1406:
	s_delay_alu instid0(SALU_CYCLE_1)
	s_and_not1_b32 vcc_lo, exec_lo, s0
	s_cbranch_vccnz .LBB18_1408
; %bb.1407:
	s_wait_loadcnt 0x0
	global_load_b32 v1, v[10:11], off
.LBB18_1408:
	s_mov_b32 s0, 0
.LBB18_1409:
	s_delay_alu instid0(SALU_CYCLE_1)
	s_and_not1_b32 vcc_lo, exec_lo, s0
	s_cbranch_vccnz .LBB18_1411
; %bb.1410:
	s_wait_loadcnt 0x0
	global_load_u16 v1, v[10:11], off
	s_wait_loadcnt 0x0
	v_cvt_f32_f16_e32 v1, v1
.LBB18_1411:
	s_cbranch_execnz .LBB18_1431
.LBB18_1412:
	s_cmp_lt_i32 s10, 2
	s_cbranch_scc1 .LBB18_1416
; %bb.1413:
	s_cmp_lt_i32 s10, 3
	s_cbranch_scc1 .LBB18_1417
; %bb.1414:
	s_cmp_gt_i32 s10, 3
	s_cbranch_scc0 .LBB18_1418
; %bb.1415:
	global_load_b64 v[16:17], v[10:11], off
	s_mov_b32 s0, 0
	s_wait_loadcnt 0x0
	v_xor_b32_e32 v1, v16, v17
	v_cls_i32_e32 v3, v17
	s_delay_alu instid0(VALU_DEP_2) | instskip(NEXT) | instid1(VALU_DEP_1)
	v_ashrrev_i32_e32 v1, 31, v1
	v_add_nc_u32_e32 v1, 32, v1
	s_delay_alu instid0(VALU_DEP_1) | instskip(NEXT) | instid1(VALU_DEP_1)
	v_add_min_u32_e64 v1, v3, -1, v1
	v_lshlrev_b64_e32 v[16:17], v1, v[16:17]
	v_sub_nc_u32_e32 v1, 32, v1
	s_delay_alu instid0(VALU_DEP_2) | instskip(NEXT) | instid1(VALU_DEP_1)
	v_min_u32_e32 v3, 1, v16
	v_or_b32_e32 v3, v17, v3
	s_delay_alu instid0(VALU_DEP_1) | instskip(NEXT) | instid1(VALU_DEP_1)
	v_cvt_f32_i32_e32 v3, v3
	v_ldexp_f32 v1, v3, v1
	s_branch .LBB18_1419
.LBB18_1416:
	s_mov_b32 s0, -1
                                        ; implicit-def: $vgpr1
	s_branch .LBB18_1425
.LBB18_1417:
	s_mov_b32 s0, -1
                                        ; implicit-def: $vgpr1
	s_branch .LBB18_1422
.LBB18_1418:
	s_mov_b32 s0, -1
                                        ; implicit-def: $vgpr1
.LBB18_1419:
	s_delay_alu instid0(SALU_CYCLE_1)
	s_and_not1_b32 vcc_lo, exec_lo, s0
	s_cbranch_vccnz .LBB18_1421
; %bb.1420:
	s_wait_loadcnt 0x0
	global_load_b32 v1, v[10:11], off
	s_wait_loadcnt 0x0
	v_cvt_f32_i32_e32 v1, v1
.LBB18_1421:
	s_mov_b32 s0, 0
.LBB18_1422:
	s_delay_alu instid0(SALU_CYCLE_1)
	s_and_not1_b32 vcc_lo, exec_lo, s0
	s_cbranch_vccnz .LBB18_1424
; %bb.1423:
	s_wait_loadcnt 0x0
	global_load_i16 v1, v[10:11], off
	s_wait_loadcnt 0x0
	v_cvt_f32_i32_e32 v1, v1
.LBB18_1424:
	s_mov_b32 s0, 0
.LBB18_1425:
	s_delay_alu instid0(SALU_CYCLE_1)
	s_and_not1_b32 vcc_lo, exec_lo, s0
	s_cbranch_vccnz .LBB18_1431
; %bb.1426:
	s_cmp_gt_i32 s10, 0
	s_mov_b32 s0, 0
	s_cbranch_scc0 .LBB18_1428
; %bb.1427:
	s_wait_loadcnt 0x0
	global_load_i8 v1, v[10:11], off
	s_wait_loadcnt 0x0
	v_cvt_f32_i32_e32 v1, v1
	s_branch .LBB18_1429
.LBB18_1428:
	s_mov_b32 s0, -1
                                        ; implicit-def: $vgpr1
.LBB18_1429:
	s_delay_alu instid0(SALU_CYCLE_1)
	s_and_not1_b32 vcc_lo, exec_lo, s0
	s_cbranch_vccnz .LBB18_1431
; %bb.1430:
	s_wait_loadcnt 0x0
	global_load_u8 v1, v[10:11], off
	s_wait_loadcnt 0x0
	v_cvt_f32_ubyte0_e32 v1, v1
.LBB18_1431:
.LBB18_1432:
	s_wait_loadcnt 0x0
	s_delay_alu instid0(VALU_DEP_1) | instskip(SKIP_2) | instid1(SALU_CYCLE_1)
	v_cmp_ge_f32_e64 s0, 0x41000000, |v1|
                                        ; implicit-def: $vgpr10
	s_wait_xcnt 0x0
	s_and_saveexec_b32 s11, s0
	s_xor_b32 s0, exec_lo, s11
	s_cbranch_execz .LBB18_1434
; %bb.1433:
	v_fma_f32 v3, |v1|, 0.5, -2.0
	s_mov_b32 s11, 0xa2a2e5b9
	v_mul_f32_e64 v9, 0x3fb8aa3b, |v1|
	v_cmp_ngt_f32_e64 vcc_lo, 0xc2ce8ed0, |v1|
	s_delay_alu instid0(VALU_DEP_3) | instskip(NEXT) | instid1(VALU_DEP_3)
	v_fmaak_f32 v5, s11, v3, 0x24199b15
	v_rndne_f32_e32 v10, v9
	v_fma_f32 v11, 0x3fb8aa3b, |v1|, -v9
	s_delay_alu instid0(VALU_DEP_3) | instskip(NEXT) | instid1(VALU_DEP_3)
	v_fmaak_f32 v7, v3, v5, 0x22a2e5b9
	v_sub_f32_e32 v9, v9, v10
	s_delay_alu instid0(VALU_DEP_3) | instskip(SKIP_1) | instid1(VALU_DEP_4)
	v_fma_f32 v11, 0x32a5705f, |v1|, v11
	v_cvt_i32_f32_e32 v10, v10
	v_add_f32_e32 v7, 0xa58c275c, v7
	s_delay_alu instid0(VALU_DEP_3) | instskip(NEXT) | instid1(VALU_DEP_2)
	v_add_f32_e32 v9, v9, v11
	v_fma_f32 v5, v3, v7, -v5
	s_delay_alu instid0(VALU_DEP_2) | instskip(NEXT) | instid1(VALU_DEP_1)
	v_exp_f32_e32 v9, v9
	v_add_f32_e32 v5, 0x26f736c5, v5
	s_delay_alu instid0(VALU_DEP_1) | instskip(NEXT) | instid1(VALU_DEP_1)
	v_fma_f32 v7, v3, v5, -v7
	v_add_f32_e32 v7, 0xa8528116, v7
	s_delay_alu instid0(VALU_DEP_1) | instskip(NEXT) | instid1(VALU_DEP_1)
	v_fma_f32 v5, v3, v7, -v5
	;; [unrolled: 3-line block ×25, first 2 shown]
	v_add_f32_e32 v7, 0xbe9bff5e, v7
	s_delay_alu instid0(VALU_DEP_1) | instskip(SKIP_1) | instid1(VALU_DEP_2)
	v_fma_f32 v3, v3, v7, -v5
	v_ldexp_f32 v7, v9, v10
	v_add_f32_e32 v3, 0x3f2d4275, v3
	s_delay_alu instid0(VALU_DEP_2) | instskip(SKIP_1) | instid1(VALU_DEP_3)
	v_cndmask_b32_e32 v7, 0, v7, vcc_lo
	v_cmp_nlt_f32_e64 vcc_lo, 0x42b17218, |v1|
	v_sub_f32_e32 v3, v3, v5
	s_delay_alu instid0(VALU_DEP_3) | instskip(NEXT) | instid1(VALU_DEP_2)
	v_cndmask_b32_e32 v1, 0x7f800000, v7, vcc_lo
	v_mul_f32_e32 v3, 0.5, v3
	s_delay_alu instid0(VALU_DEP_1)
	v_mul_f32_e32 v10, v1, v3
                                        ; implicit-def: $vgpr1
.LBB18_1434:
	s_and_not1_saveexec_b32 s11, s0
	s_cbranch_execz .LBB18_1436
; %bb.1435:
	v_and_b32_e32 v3, 0x7fffffff, v1
	s_mov_b32 s0, 0xa3056dbb
	s_delay_alu instid0(VALU_DEP_1) | instskip(SKIP_1) | instid1(VALU_DEP_2)
	v_div_scale_f32 v5, null, v3, v3, 0x42000000
	v_div_scale_f32 v3, vcc_lo, 0x42000000, v3, 0x42000000
	v_rcp_f32_e32 v7, v5
	v_nop
	s_delay_alu instid0(TRANS32_DEP_1) | instskip(NEXT) | instid1(VALU_DEP_1)
	v_fma_f32 v9, -v5, v7, 1.0
	v_fmac_f32_e32 v7, v9, v7
	s_delay_alu instid0(VALU_DEP_1) | instskip(NEXT) | instid1(VALU_DEP_1)
	v_mul_f32_e32 v9, v3, v7
	v_fma_f32 v10, -v5, v9, v3
	s_delay_alu instid0(VALU_DEP_1) | instskip(SKIP_1) | instid1(VALU_DEP_2)
	v_fmac_f32_e32 v9, v10, v7
	v_mul_f32_e64 v10, 0x3fb8aa3b, |v1|
	v_fma_f32 v3, -v5, v9, v3
	s_delay_alu instid0(VALU_DEP_2) | instskip(SKIP_1) | instid1(VALU_DEP_2)
	v_rndne_f32_e32 v11, v10
	v_fma_f32 v13, 0x3fb8aa3b, |v1|, -v10
	v_sub_f32_e32 v10, v10, v11
	s_delay_alu instid0(VALU_DEP_2) | instskip(SKIP_1) | instid1(VALU_DEP_2)
	v_fma_f32 v13, 0x32a5705f, |v1|, v13
	v_cvt_i32_f32_e32 v11, v11
	v_add_f32_e32 v10, v10, v13
	v_div_fmas_f32 v3, v3, v7, v9
	v_mul_f32_e64 v9, 0x4f800000, |v1|
	v_cmp_gt_f32_e64 vcc_lo, 0xf800000, |v1|
	s_delay_alu instid0(VALU_DEP_4) | instskip(NEXT) | instid1(VALU_DEP_3)
	v_exp_f32_e32 v10, v10
	v_div_fixup_f32 v3, v3, |v1|, 0x42000000
	s_delay_alu instid0(VALU_DEP_2) | instskip(NEXT) | instid1(VALU_DEP_1)
	v_cndmask_b32_e64 v9, |v1|, v9, vcc_lo
	v_sqrt_f32_e32 v15, v9
	v_nop
	s_delay_alu instid0(TRANS32_DEP_1) | instskip(SKIP_1) | instid1(VALU_DEP_2)
	v_dual_add_nc_u32 v16, -1, v15 :: v_dual_add_nc_u32 v13, 1, v15
	v_add_f32_e32 v3, -2.0, v3
	v_dual_fma_f32 v17, -v16, v15, v9 :: v_dual_fma_f32 v18, -v13, v15, v9
	s_delay_alu instid0(VALU_DEP_2) | instskip(NEXT) | instid1(VALU_DEP_2)
	v_fmaak_f32 v5, s0, v3, 0xa2b236d3
	v_cmp_ge_f32_e64 s0, 0, v17
	s_delay_alu instid0(VALU_DEP_1) | instskip(NEXT) | instid1(VALU_DEP_3)
	v_cndmask_b32_e64 v15, v15, v16, s0
	v_fmaak_f32 v7, v3, v5, 0x23056dbb
	v_cmp_lt_f32_e64 s0, 0, v18
	s_delay_alu instid0(VALU_DEP_2) | instskip(NEXT) | instid1(VALU_DEP_1)
	v_add_f32_e32 v7, 0x244df0c1, v7
	v_fma_f32 v5, v3, v7, -v5
	s_delay_alu instid0(VALU_DEP_1) | instskip(NEXT) | instid1(VALU_DEP_1)
	v_add_f32_e32 v5, 0x241f9ee8, v5
	v_fma_f32 v7, v3, v5, -v7
	s_delay_alu instid0(VALU_DEP_1) | instskip(NEXT) | instid1(VALU_DEP_1)
	;; [unrolled: 3-line block ×21, first 2 shown]
	v_add_f32_e32 v5, 0x3b5ccc65, v5
	v_fma_f32 v3, v3, v5, -v7
	v_ldexp_f32 v5, v10, v11
	v_cndmask_b32_e64 v10, v15, v13, s0
	v_cmp_ngt_f32_e64 s0, 0xc2ce8ed0, |v1|
	s_delay_alu instid0(VALU_DEP_4) | instskip(NEXT) | instid1(VALU_DEP_3)
	v_add_f32_e32 v3, 0x3f4df315, v3
	v_mul_f32_e32 v11, 0x37800000, v10
	s_delay_alu instid0(VALU_DEP_3) | instskip(SKIP_1) | instid1(VALU_DEP_4)
	v_cndmask_b32_e64 v5, 0, v5, s0
	v_cmp_nlt_f32_e64 s0, 0x42b17218, |v1|
	v_sub_f32_e32 v3, v3, v7
	s_delay_alu instid0(VALU_DEP_2) | instskip(SKIP_1) | instid1(VALU_DEP_3)
	v_cndmask_b32_e64 v1, 0x7f800000, v5, s0
	v_cndmask_b32_e32 v5, v10, v11, vcc_lo
	v_mul_f32_e32 v3, 0.5, v3
	v_cmp_class_f32_e64 vcc_lo, v9, 0x260
	s_delay_alu instid0(VALU_DEP_2) | instskip(NEXT) | instid1(VALU_DEP_4)
	v_mul_f32_e32 v1, v1, v3
	v_cndmask_b32_e32 v5, v5, v9, vcc_lo
	s_delay_alu instid0(VALU_DEP_1) | instskip(NEXT) | instid1(VALU_DEP_1)
	v_div_scale_f32 v3, null, v5, v5, v1
	v_rcp_f32_e32 v7, v3
	v_nop
	s_delay_alu instid0(TRANS32_DEP_1) | instskip(NEXT) | instid1(VALU_DEP_1)
	v_fma_f32 v9, -v3, v7, 1.0
	v_fmac_f32_e32 v7, v9, v7
	v_div_scale_f32 v9, vcc_lo, v1, v5, v1
	s_delay_alu instid0(VALU_DEP_1) | instskip(NEXT) | instid1(VALU_DEP_1)
	v_mul_f32_e32 v10, v9, v7
	v_fma_f32 v11, -v3, v10, v9
	s_delay_alu instid0(VALU_DEP_1) | instskip(NEXT) | instid1(VALU_DEP_1)
	v_fmac_f32_e32 v10, v11, v7
	v_fma_f32 v3, -v3, v10, v9
	s_delay_alu instid0(VALU_DEP_1) | instskip(NEXT) | instid1(VALU_DEP_1)
	v_div_fmas_f32 v3, v3, v7, v10
	v_div_fixup_f32 v10, v3, v5, v1
.LBB18_1436:
	s_or_b32 exec_lo, exec_lo, s11
	v_mov_b32_e32 v13, 0
	s_cmp_lt_i32 s10, 11
	s_delay_alu instid0(VALU_DEP_1)
	v_add_nc_u64_e32 v[12:13], s[6:7], v[12:13]
	s_cbranch_scc1 .LBB18_1443
; %bb.1437:
	s_cmp_gt_i32 s10, 25
	s_mov_b32 s11, 0
	s_cbranch_scc0 .LBB18_1445
; %bb.1438:
	s_cmp_gt_i32 s10, 28
	s_cbranch_scc0 .LBB18_1446
; %bb.1439:
	s_cmp_gt_i32 s10, 43
	;; [unrolled: 3-line block ×3, first 2 shown]
	s_cbranch_scc0 .LBB18_1449
; %bb.1441:
	s_cmp_eq_u32 s10, 46
	s_mov_b32 s13, 0
	s_cbranch_scc0 .LBB18_1450
; %bb.1442:
	global_load_b32 v1, v[12:13], off
	s_mov_b32 s0, 0
	s_mov_b32 s12, -1
	s_wait_loadcnt 0x0
	v_lshlrev_b32_e32 v1, 16, v1
	s_branch .LBB18_1452
.LBB18_1443:
	s_mov_b32 s12, 0
                                        ; implicit-def: $vgpr1
	s_cbranch_execnz .LBB18_1518
.LBB18_1444:
	s_and_not1_b32 vcc_lo, exec_lo, s12
	s_cbranch_vccnz .LBB18_1783
	s_branch .LBB18_1566
.LBB18_1445:
	s_mov_b32 s13, -1
	s_mov_b32 s12, 0
	s_mov_b32 s0, 0
                                        ; implicit-def: $vgpr1
	s_branch .LBB18_1481
.LBB18_1446:
	s_mov_b32 s13, -1
	s_mov_b32 s12, 0
	s_mov_b32 s0, 0
                                        ; implicit-def: $vgpr1
	s_branch .LBB18_1462
.LBB18_1447:
	s_mov_b32 s13, -1
	s_mov_b32 s12, 0
	s_mov_b32 s0, 0
                                        ; implicit-def: $vgpr1
	s_branch .LBB18_1457
.LBB18_1448:
	s_or_b32 s1, s1, exec_lo
	s_trap 2
	s_cbranch_execz .LBB18_1383
	s_branch .LBB18_1384
.LBB18_1449:
	s_mov_b32 s13, -1
	s_mov_b32 s12, 0
	s_mov_b32 s0, 0
	s_branch .LBB18_1451
.LBB18_1450:
	s_mov_b32 s0, -1
	s_mov_b32 s12, 0
.LBB18_1451:
                                        ; implicit-def: $vgpr1
.LBB18_1452:
	s_and_b32 vcc_lo, exec_lo, s13
	s_cbranch_vccz .LBB18_1456
; %bb.1453:
	s_cmp_eq_u32 s10, 44
	s_cbranch_scc0 .LBB18_1455
; %bb.1454:
	global_load_u8 v1, v[12:13], off
	s_mov_b32 s0, 0
	s_mov_b32 s12, -1
	s_wait_loadcnt 0x0
	v_lshlrev_b32_e32 v3, 23, v1
	v_cmp_ne_u32_e32 vcc_lo, 0xff, v1
	s_delay_alu instid0(VALU_DEP_2) | instskip(SKIP_1) | instid1(VALU_DEP_2)
	v_cndmask_b32_e32 v3, 0x7f800001, v3, vcc_lo
	v_cmp_ne_u32_e32 vcc_lo, 0, v1
	v_cndmask_b32_e32 v1, 0x400000, v3, vcc_lo
	s_branch .LBB18_1456
.LBB18_1455:
	s_mov_b32 s0, -1
                                        ; implicit-def: $vgpr1
.LBB18_1456:
	s_mov_b32 s13, 0
.LBB18_1457:
	s_delay_alu instid0(SALU_CYCLE_1)
	s_and_b32 vcc_lo, exec_lo, s13
	s_cbranch_vccz .LBB18_1461
; %bb.1458:
	s_cmp_eq_u32 s10, 29
	s_cbranch_scc0 .LBB18_1460
; %bb.1459:
	global_load_b64 v[16:17], v[12:13], off
	s_mov_b32 s0, 0
	s_mov_b32 s12, -1
	s_mov_b32 s13, 0
	s_wait_loadcnt 0x0
	v_clz_i32_u32_e32 v1, v17
	s_delay_alu instid0(VALU_DEP_1) | instskip(NEXT) | instid1(VALU_DEP_1)
	v_min_u32_e32 v1, 32, v1
	v_lshlrev_b64_e32 v[16:17], v1, v[16:17]
	v_sub_nc_u32_e32 v1, 32, v1
	s_delay_alu instid0(VALU_DEP_2) | instskip(NEXT) | instid1(VALU_DEP_1)
	v_min_u32_e32 v3, 1, v16
	v_or_b32_e32 v3, v17, v3
	s_delay_alu instid0(VALU_DEP_1) | instskip(NEXT) | instid1(VALU_DEP_1)
	v_cvt_f32_u32_e32 v3, v3
	v_ldexp_f32 v1, v3, v1
	s_branch .LBB18_1462
.LBB18_1460:
	s_mov_b32 s0, -1
                                        ; implicit-def: $vgpr1
.LBB18_1461:
	s_mov_b32 s13, 0
.LBB18_1462:
	s_delay_alu instid0(SALU_CYCLE_1)
	s_and_b32 vcc_lo, exec_lo, s13
	s_cbranch_vccz .LBB18_1480
; %bb.1463:
	s_cmp_lt_i32 s10, 27
	s_cbranch_scc1 .LBB18_1466
; %bb.1464:
	s_cmp_gt_i32 s10, 27
	s_cbranch_scc0 .LBB18_1467
; %bb.1465:
	global_load_b32 v1, v[12:13], off
	s_mov_b32 s12, 0
	s_wait_loadcnt 0x0
	v_cvt_f32_u32_e32 v1, v1
	s_branch .LBB18_1468
.LBB18_1466:
	s_mov_b32 s12, -1
                                        ; implicit-def: $vgpr1
	s_branch .LBB18_1471
.LBB18_1467:
	s_mov_b32 s12, -1
                                        ; implicit-def: $vgpr1
.LBB18_1468:
	s_delay_alu instid0(SALU_CYCLE_1)
	s_and_not1_b32 vcc_lo, exec_lo, s12
	s_cbranch_vccnz .LBB18_1470
; %bb.1469:
	global_load_u16 v1, v[12:13], off
	s_wait_loadcnt 0x0
	v_cvt_f32_u32_e32 v1, v1
.LBB18_1470:
	s_mov_b32 s12, 0
.LBB18_1471:
	s_delay_alu instid0(SALU_CYCLE_1)
	s_and_not1_b32 vcc_lo, exec_lo, s12
	s_cbranch_vccnz .LBB18_1479
; %bb.1472:
	global_load_u8 v3, v[12:13], off
	s_mov_b32 s12, 0
	s_mov_b32 s13, exec_lo
	s_wait_loadcnt 0x0
	v_cmpx_lt_i16_e32 0x7f, v3
	s_xor_b32 s13, exec_lo, s13
	s_cbranch_execz .LBB18_1493
; %bb.1473:
	s_mov_b32 s12, -1
	s_mov_b32 s14, exec_lo
	v_cmpx_eq_u16_e32 0x80, v3
; %bb.1474:
	s_xor_b32 s12, exec_lo, -1
; %bb.1475:
	s_or_b32 exec_lo, exec_lo, s14
	s_delay_alu instid0(SALU_CYCLE_1)
	s_and_b32 s12, s12, exec_lo
	s_or_saveexec_b32 s13, s13
	v_mov_b32_e32 v1, 0x7f800001
	s_xor_b32 exec_lo, exec_lo, s13
	s_cbranch_execnz .LBB18_1494
.LBB18_1476:
	s_or_b32 exec_lo, exec_lo, s13
	s_and_saveexec_b32 s13, s12
	s_cbranch_execz .LBB18_1478
.LBB18_1477:
	v_and_b32_e32 v1, 0xffff, v3
	s_delay_alu instid0(VALU_DEP_1) | instskip(SKIP_1) | instid1(VALU_DEP_2)
	v_and_b32_e32 v5, 7, v1
	v_bfe_u32 v11, v1, 3, 4
	v_clz_i32_u32_e32 v7, v5
	s_delay_alu instid0(VALU_DEP_2) | instskip(NEXT) | instid1(VALU_DEP_2)
	v_cmp_eq_u32_e32 vcc_lo, 0, v11
	v_min_u32_e32 v7, 32, v7
	s_delay_alu instid0(VALU_DEP_1) | instskip(NEXT) | instid1(VALU_DEP_1)
	v_subrev_nc_u32_e32 v9, 28, v7
	v_dual_lshlrev_b32 v1, v9, v1 :: v_dual_sub_nc_u32 v7, 29, v7
	s_delay_alu instid0(VALU_DEP_1) | instskip(NEXT) | instid1(VALU_DEP_1)
	v_dual_lshlrev_b32 v3, 24, v3 :: v_dual_bitop2_b32 v1, 7, v1 bitop3:0x40
	v_dual_cndmask_b32 v1, v5, v1, vcc_lo :: v_dual_cndmask_b32 v7, v11, v7, vcc_lo
	s_delay_alu instid0(VALU_DEP_2) | instskip(NEXT) | instid1(VALU_DEP_2)
	v_and_b32_e32 v3, 0x80000000, v3
	v_lshlrev_b32_e32 v1, 20, v1
	s_delay_alu instid0(VALU_DEP_3) | instskip(NEXT) | instid1(VALU_DEP_1)
	v_lshl_add_u32 v5, v7, 23, 0x3b800000
	v_or3_b32 v1, v3, v5, v1
.LBB18_1478:
	s_or_b32 exec_lo, exec_lo, s13
.LBB18_1479:
	s_mov_b32 s12, -1
.LBB18_1480:
	s_mov_b32 s13, 0
.LBB18_1481:
	s_delay_alu instid0(SALU_CYCLE_1)
	s_and_b32 vcc_lo, exec_lo, s13
	s_cbranch_vccz .LBB18_1514
; %bb.1482:
	s_cmp_gt_i32 s10, 22
	s_cbranch_scc0 .LBB18_1492
; %bb.1483:
	s_cmp_lt_i32 s10, 24
	s_cbranch_scc1 .LBB18_1495
; %bb.1484:
	s_cmp_gt_i32 s10, 24
	s_cbranch_scc0 .LBB18_1496
; %bb.1485:
	global_load_u8 v3, v[12:13], off
	s_mov_b32 s12, exec_lo
	s_wait_loadcnt 0x0
	v_cmpx_lt_i16_e32 0x7f, v3
	s_xor_b32 s12, exec_lo, s12
	s_cbranch_execz .LBB18_1508
; %bb.1486:
	s_mov_b32 s11, -1
	s_mov_b32 s13, exec_lo
	v_cmpx_eq_u16_e32 0x80, v3
; %bb.1487:
	s_xor_b32 s11, exec_lo, -1
; %bb.1488:
	s_or_b32 exec_lo, exec_lo, s13
	s_delay_alu instid0(SALU_CYCLE_1)
	s_and_b32 s11, s11, exec_lo
	s_or_saveexec_b32 s12, s12
	v_mov_b32_e32 v1, 0x7f800001
	s_xor_b32 exec_lo, exec_lo, s12
	s_cbranch_execnz .LBB18_1509
.LBB18_1489:
	s_or_b32 exec_lo, exec_lo, s12
	s_and_saveexec_b32 s12, s11
	s_cbranch_execz .LBB18_1491
.LBB18_1490:
	v_and_b32_e32 v1, 0xffff, v3
	s_delay_alu instid0(VALU_DEP_1) | instskip(SKIP_1) | instid1(VALU_DEP_2)
	v_and_b32_e32 v5, 3, v1
	v_bfe_u32 v11, v1, 2, 5
	v_clz_i32_u32_e32 v7, v5
	s_delay_alu instid0(VALU_DEP_2) | instskip(NEXT) | instid1(VALU_DEP_2)
	v_cmp_eq_u32_e32 vcc_lo, 0, v11
	v_min_u32_e32 v7, 32, v7
	s_delay_alu instid0(VALU_DEP_1) | instskip(NEXT) | instid1(VALU_DEP_1)
	v_subrev_nc_u32_e32 v9, 29, v7
	v_dual_lshlrev_b32 v1, v9, v1 :: v_dual_sub_nc_u32 v7, 30, v7
	s_delay_alu instid0(VALU_DEP_1) | instskip(NEXT) | instid1(VALU_DEP_1)
	v_dual_lshlrev_b32 v3, 24, v3 :: v_dual_bitop2_b32 v1, 3, v1 bitop3:0x40
	v_dual_cndmask_b32 v1, v5, v1, vcc_lo :: v_dual_cndmask_b32 v7, v11, v7, vcc_lo
	s_delay_alu instid0(VALU_DEP_2) | instskip(NEXT) | instid1(VALU_DEP_2)
	v_and_b32_e32 v3, 0x80000000, v3
	v_lshlrev_b32_e32 v1, 21, v1
	s_delay_alu instid0(VALU_DEP_3) | instskip(NEXT) | instid1(VALU_DEP_1)
	v_lshl_add_u32 v5, v7, 23, 0x37800000
	v_or3_b32 v1, v3, v5, v1
.LBB18_1491:
	s_or_b32 exec_lo, exec_lo, s12
	s_mov_b32 s11, 0
	s_branch .LBB18_1497
.LBB18_1492:
	s_mov_b32 s11, -1
                                        ; implicit-def: $vgpr1
	s_branch .LBB18_1503
.LBB18_1493:
	s_or_saveexec_b32 s13, s13
	v_mov_b32_e32 v1, 0x7f800001
	s_xor_b32 exec_lo, exec_lo, s13
	s_cbranch_execz .LBB18_1476
.LBB18_1494:
	v_cmp_ne_u16_e32 vcc_lo, 0, v3
	v_mov_b32_e32 v1, 0
	s_and_not1_b32 s12, s12, exec_lo
	s_and_b32 s14, vcc_lo, exec_lo
	s_delay_alu instid0(SALU_CYCLE_1)
	s_or_b32 s12, s12, s14
	s_or_b32 exec_lo, exec_lo, s13
	s_and_saveexec_b32 s13, s12
	s_cbranch_execnz .LBB18_1477
	s_branch .LBB18_1478
.LBB18_1495:
	s_mov_b32 s11, -1
                                        ; implicit-def: $vgpr1
	s_branch .LBB18_1500
.LBB18_1496:
	s_mov_b32 s11, -1
                                        ; implicit-def: $vgpr1
.LBB18_1497:
	s_delay_alu instid0(SALU_CYCLE_1)
	s_and_b32 vcc_lo, exec_lo, s11
	s_cbranch_vccz .LBB18_1499
; %bb.1498:
	global_load_u8 v1, v[12:13], off
	s_wait_loadcnt 0x0
	v_lshlrev_b32_e32 v1, 24, v1
	s_delay_alu instid0(VALU_DEP_1) | instskip(NEXT) | instid1(VALU_DEP_1)
	v_and_b32_e32 v3, 0x7f000000, v1
	v_clz_i32_u32_e32 v5, v3
	v_add_nc_u32_e32 v9, 0x1000000, v3
	v_cmp_ne_u32_e32 vcc_lo, 0, v3
	s_delay_alu instid0(VALU_DEP_3) | instskip(NEXT) | instid1(VALU_DEP_1)
	v_min_u32_e32 v5, 32, v5
	v_sub_nc_u32_e64 v5, v5, 4 clamp
	s_delay_alu instid0(VALU_DEP_1) | instskip(NEXT) | instid1(VALU_DEP_1)
	v_dual_lshlrev_b32 v7, v5, v3 :: v_dual_lshlrev_b32 v5, 23, v5
	v_lshrrev_b32_e32 v7, 4, v7
	s_delay_alu instid0(VALU_DEP_1) | instskip(SKIP_1) | instid1(VALU_DEP_2)
	v_sub_nc_u32_e32 v5, v7, v5
	v_ashrrev_i32_e32 v7, 8, v9
	v_add_nc_u32_e32 v5, 0x3c000000, v5
	s_delay_alu instid0(VALU_DEP_1) | instskip(NEXT) | instid1(VALU_DEP_1)
	v_and_or_b32 v5, 0x7f800000, v7, v5
	v_cndmask_b32_e32 v3, 0, v5, vcc_lo
	s_delay_alu instid0(VALU_DEP_1)
	v_and_or_b32 v1, 0x80000000, v1, v3
.LBB18_1499:
	s_mov_b32 s11, 0
.LBB18_1500:
	s_delay_alu instid0(SALU_CYCLE_1)
	s_and_not1_b32 vcc_lo, exec_lo, s11
	s_cbranch_vccnz .LBB18_1502
; %bb.1501:
	global_load_u8 v1, v[12:13], off
	s_wait_loadcnt 0x0
	v_lshlrev_b32_e32 v3, 25, v1
	v_lshlrev_b16 v1, 8, v1
	s_delay_alu instid0(VALU_DEP_1) | instskip(SKIP_1) | instid1(VALU_DEP_2)
	v_and_or_b32 v7, 0x7f00, v1, 0.5
	v_bfe_i32 v1, v1, 0, 16
	v_add_f32_e32 v7, -0.5, v7
	v_lshrrev_b32_e32 v5, 4, v3
	v_cmp_gt_u32_e32 vcc_lo, 0x8000000, v3
	s_delay_alu instid0(VALU_DEP_2) | instskip(NEXT) | instid1(VALU_DEP_1)
	v_or_b32_e32 v5, 0x70000000, v5
	v_mul_f32_e32 v5, 0x7800000, v5
	s_delay_alu instid0(VALU_DEP_1) | instskip(NEXT) | instid1(VALU_DEP_1)
	v_cndmask_b32_e32 v3, v5, v7, vcc_lo
	v_and_or_b32 v1, 0x80000000, v1, v3
.LBB18_1502:
	s_mov_b32 s11, 0
	s_mov_b32 s12, -1
.LBB18_1503:
	s_and_not1_b32 vcc_lo, exec_lo, s11
	s_mov_b32 s11, 0
	s_cbranch_vccnz .LBB18_1514
; %bb.1504:
	s_cmp_gt_i32 s10, 14
	s_cbranch_scc0 .LBB18_1507
; %bb.1505:
	s_cmp_eq_u32 s10, 15
	s_cbranch_scc0 .LBB18_1510
; %bb.1506:
	global_load_u16 v1, v[12:13], off
	s_mov_b32 s0, 0
	s_mov_b32 s12, -1
	s_wait_loadcnt 0x0
	v_lshlrev_b32_e32 v1, 16, v1
	s_branch .LBB18_1512
.LBB18_1507:
	s_mov_b32 s11, -1
	s_branch .LBB18_1511
.LBB18_1508:
	s_or_saveexec_b32 s12, s12
	v_mov_b32_e32 v1, 0x7f800001
	s_xor_b32 exec_lo, exec_lo, s12
	s_cbranch_execz .LBB18_1489
.LBB18_1509:
	v_cmp_ne_u16_e32 vcc_lo, 0, v3
	v_mov_b32_e32 v1, 0
	s_and_not1_b32 s11, s11, exec_lo
	s_and_b32 s13, vcc_lo, exec_lo
	s_delay_alu instid0(SALU_CYCLE_1)
	s_or_b32 s11, s11, s13
	s_or_b32 exec_lo, exec_lo, s12
	s_and_saveexec_b32 s12, s11
	s_cbranch_execnz .LBB18_1490
	s_branch .LBB18_1491
.LBB18_1510:
	s_mov_b32 s0, -1
.LBB18_1511:
                                        ; implicit-def: $vgpr1
.LBB18_1512:
	s_and_b32 vcc_lo, exec_lo, s11
	s_mov_b32 s11, 0
	s_cbranch_vccz .LBB18_1514
; %bb.1513:
	s_cmp_lg_u32 s10, 11
	s_mov_b32 s11, -1
	s_cselect_b32 s0, -1, 0
.LBB18_1514:
	s_delay_alu instid0(SALU_CYCLE_1)
	s_and_b32 vcc_lo, exec_lo, s0
	s_cbranch_vccnz .LBB18_1581
; %bb.1515:
	s_and_not1_b32 vcc_lo, exec_lo, s11
	s_cbranch_vccnz .LBB18_1517
.LBB18_1516:
	global_load_u8 v1, v[12:13], off
	s_mov_b32 s12, -1
	s_wait_loadcnt 0x0
	v_cmp_ne_u16_e32 vcc_lo, 0, v1
	v_cndmask_b32_e64 v1, 0, 1.0, vcc_lo
.LBB18_1517:
	s_branch .LBB18_1444
.LBB18_1518:
	s_cmp_lt_i32 s10, 5
	s_cbranch_scc1 .LBB18_1523
; %bb.1519:
	s_cmp_lt_i32 s10, 8
	s_cbranch_scc1 .LBB18_1524
; %bb.1520:
	;; [unrolled: 3-line block ×3, first 2 shown]
	s_cmp_gt_i32 s10, 9
	s_cbranch_scc0 .LBB18_1526
; %bb.1522:
	global_load_b64 v[16:17], v[12:13], off
	s_mov_b32 s0, 0
	s_wait_loadcnt 0x0
	v_cvt_f32_f64_e32 v1, v[16:17]
	s_branch .LBB18_1527
.LBB18_1523:
	s_mov_b32 s0, -1
                                        ; implicit-def: $vgpr1
	s_branch .LBB18_1545
.LBB18_1524:
	s_mov_b32 s0, -1
                                        ; implicit-def: $vgpr1
	s_branch .LBB18_1533
.LBB18_1525:
	s_mov_b32 s0, -1
                                        ; implicit-def: $vgpr1
	s_branch .LBB18_1530
.LBB18_1526:
	s_mov_b32 s0, -1
                                        ; implicit-def: $vgpr1
.LBB18_1527:
	s_delay_alu instid0(SALU_CYCLE_1)
	s_and_not1_b32 vcc_lo, exec_lo, s0
	s_cbranch_vccnz .LBB18_1529
; %bb.1528:
	global_load_b32 v1, v[12:13], off
.LBB18_1529:
	s_mov_b32 s0, 0
.LBB18_1530:
	s_delay_alu instid0(SALU_CYCLE_1)
	s_and_not1_b32 vcc_lo, exec_lo, s0
	s_cbranch_vccnz .LBB18_1532
; %bb.1531:
	s_wait_loadcnt 0x0
	global_load_b32 v1, v[12:13], off
	s_wait_loadcnt 0x0
	v_cvt_f32_f16_e32 v1, v1
.LBB18_1532:
	s_mov_b32 s0, 0
.LBB18_1533:
	s_delay_alu instid0(SALU_CYCLE_1)
	s_and_not1_b32 vcc_lo, exec_lo, s0
	s_cbranch_vccnz .LBB18_1544
; %bb.1534:
	s_cmp_lt_i32 s10, 6
	s_cbranch_scc1 .LBB18_1537
; %bb.1535:
	s_cmp_gt_i32 s10, 6
	s_cbranch_scc0 .LBB18_1538
; %bb.1536:
	global_load_b64 v[16:17], v[12:13], off
	s_mov_b32 s0, 0
	s_wait_loadcnt 0x0
	v_cvt_f32_f64_e32 v1, v[16:17]
	s_branch .LBB18_1539
.LBB18_1537:
	s_mov_b32 s0, -1
                                        ; implicit-def: $vgpr1
	s_branch .LBB18_1542
.LBB18_1538:
	s_mov_b32 s0, -1
                                        ; implicit-def: $vgpr1
.LBB18_1539:
	s_delay_alu instid0(SALU_CYCLE_1)
	s_and_not1_b32 vcc_lo, exec_lo, s0
	s_cbranch_vccnz .LBB18_1541
; %bb.1540:
	s_wait_loadcnt 0x0
	global_load_b32 v1, v[12:13], off
.LBB18_1541:
	s_mov_b32 s0, 0
.LBB18_1542:
	s_delay_alu instid0(SALU_CYCLE_1)
	s_and_not1_b32 vcc_lo, exec_lo, s0
	s_cbranch_vccnz .LBB18_1544
; %bb.1543:
	s_wait_loadcnt 0x0
	global_load_u16 v1, v[12:13], off
	s_wait_loadcnt 0x0
	v_cvt_f32_f16_e32 v1, v1
.LBB18_1544:
	s_mov_b32 s0, 0
.LBB18_1545:
	s_delay_alu instid0(SALU_CYCLE_1)
	s_and_not1_b32 vcc_lo, exec_lo, s0
	s_cbranch_vccnz .LBB18_1565
; %bb.1546:
	s_cmp_lt_i32 s10, 2
	s_cbranch_scc1 .LBB18_1550
; %bb.1547:
	s_cmp_lt_i32 s10, 3
	s_cbranch_scc1 .LBB18_1551
; %bb.1548:
	s_cmp_gt_i32 s10, 3
	s_cbranch_scc0 .LBB18_1552
; %bb.1549:
	global_load_b64 v[16:17], v[12:13], off
	s_mov_b32 s0, 0
	s_wait_loadcnt 0x0
	v_xor_b32_e32 v1, v16, v17
	v_cls_i32_e32 v3, v17
	s_delay_alu instid0(VALU_DEP_2) | instskip(NEXT) | instid1(VALU_DEP_1)
	v_ashrrev_i32_e32 v1, 31, v1
	v_add_nc_u32_e32 v1, 32, v1
	s_delay_alu instid0(VALU_DEP_1) | instskip(NEXT) | instid1(VALU_DEP_1)
	v_add_min_u32_e64 v1, v3, -1, v1
	v_lshlrev_b64_e32 v[16:17], v1, v[16:17]
	v_sub_nc_u32_e32 v1, 32, v1
	s_delay_alu instid0(VALU_DEP_2) | instskip(NEXT) | instid1(VALU_DEP_1)
	v_min_u32_e32 v3, 1, v16
	v_or_b32_e32 v3, v17, v3
	s_delay_alu instid0(VALU_DEP_1) | instskip(NEXT) | instid1(VALU_DEP_1)
	v_cvt_f32_i32_e32 v3, v3
	v_ldexp_f32 v1, v3, v1
	s_branch .LBB18_1553
.LBB18_1550:
	s_mov_b32 s0, -1
                                        ; implicit-def: $vgpr1
	s_branch .LBB18_1559
.LBB18_1551:
	s_mov_b32 s0, -1
                                        ; implicit-def: $vgpr1
	s_branch .LBB18_1556
.LBB18_1552:
	s_mov_b32 s0, -1
                                        ; implicit-def: $vgpr1
.LBB18_1553:
	s_delay_alu instid0(SALU_CYCLE_1)
	s_and_not1_b32 vcc_lo, exec_lo, s0
	s_cbranch_vccnz .LBB18_1555
; %bb.1554:
	s_wait_loadcnt 0x0
	global_load_b32 v1, v[12:13], off
	s_wait_loadcnt 0x0
	v_cvt_f32_i32_e32 v1, v1
.LBB18_1555:
	s_mov_b32 s0, 0
.LBB18_1556:
	s_delay_alu instid0(SALU_CYCLE_1)
	s_and_not1_b32 vcc_lo, exec_lo, s0
	s_cbranch_vccnz .LBB18_1558
; %bb.1557:
	s_wait_loadcnt 0x0
	global_load_i16 v1, v[12:13], off
	s_wait_loadcnt 0x0
	v_cvt_f32_i32_e32 v1, v1
.LBB18_1558:
	s_mov_b32 s0, 0
.LBB18_1559:
	s_delay_alu instid0(SALU_CYCLE_1)
	s_and_not1_b32 vcc_lo, exec_lo, s0
	s_cbranch_vccnz .LBB18_1565
; %bb.1560:
	s_cmp_gt_i32 s10, 0
	s_mov_b32 s0, 0
	s_cbranch_scc0 .LBB18_1562
; %bb.1561:
	s_wait_loadcnt 0x0
	global_load_i8 v1, v[12:13], off
	s_wait_loadcnt 0x0
	v_cvt_f32_i32_e32 v1, v1
	s_branch .LBB18_1563
.LBB18_1562:
	s_mov_b32 s0, -1
                                        ; implicit-def: $vgpr1
.LBB18_1563:
	s_delay_alu instid0(SALU_CYCLE_1)
	s_and_not1_b32 vcc_lo, exec_lo, s0
	s_cbranch_vccnz .LBB18_1565
; %bb.1564:
	s_wait_loadcnt 0x0
	global_load_u8 v1, v[12:13], off
	s_wait_loadcnt 0x0
	v_cvt_f32_ubyte0_e32 v1, v1
.LBB18_1565:
.LBB18_1566:
	s_wait_loadcnt 0x0
	s_delay_alu instid0(VALU_DEP_1) | instskip(SKIP_2) | instid1(SALU_CYCLE_1)
	v_cmp_ge_f32_e64 s0, 0x41000000, |v1|
                                        ; implicit-def: $vgpr12
	s_wait_xcnt 0x0
	s_and_saveexec_b32 s11, s0
	s_xor_b32 s0, exec_lo, s11
	s_cbranch_execz .LBB18_1568
; %bb.1567:
	v_fma_f32 v3, |v1|, 0.5, -2.0
	s_mov_b32 s11, 0xa2a2e5b9
	v_mul_f32_e64 v9, 0x3fb8aa3b, |v1|
	v_cmp_ngt_f32_e64 vcc_lo, 0xc2ce8ed0, |v1|
	s_delay_alu instid0(VALU_DEP_3) | instskip(NEXT) | instid1(VALU_DEP_3)
	v_fmaak_f32 v5, s11, v3, 0x24199b15
	v_rndne_f32_e32 v11, v9
	v_fma_f32 v12, 0x3fb8aa3b, |v1|, -v9
	s_delay_alu instid0(VALU_DEP_3) | instskip(NEXT) | instid1(VALU_DEP_3)
	v_fmaak_f32 v7, v3, v5, 0x22a2e5b9
	v_sub_f32_e32 v9, v9, v11
	s_delay_alu instid0(VALU_DEP_3) | instskip(SKIP_1) | instid1(VALU_DEP_4)
	v_fma_f32 v12, 0x32a5705f, |v1|, v12
	v_cvt_i32_f32_e32 v11, v11
	v_add_f32_e32 v7, 0xa58c275c, v7
	s_delay_alu instid0(VALU_DEP_1) | instskip(NEXT) | instid1(VALU_DEP_1)
	v_dual_add_f32 v9, v9, v12 :: v_dual_fma_f32 v5, v3, v7, -v5
	v_exp_f32_e32 v9, v9
	s_delay_alu instid0(VALU_DEP_1) | instskip(NEXT) | instid1(VALU_DEP_1)
	v_add_f32_e32 v5, 0x26f736c5, v5
	v_fma_f32 v7, v3, v5, -v7
	s_delay_alu instid0(VALU_DEP_1) | instskip(NEXT) | instid1(VALU_DEP_1)
	v_add_f32_e32 v7, 0xa8528116, v7
	v_fma_f32 v5, v3, v7, -v5
	;; [unrolled: 3-line block ×26, first 2 shown]
	v_ldexp_f32 v7, v9, v11
	s_delay_alu instid0(VALU_DEP_2) | instskip(NEXT) | instid1(VALU_DEP_2)
	v_add_f32_e32 v3, 0x3f2d4275, v3
	v_cndmask_b32_e32 v7, 0, v7, vcc_lo
	v_cmp_nlt_f32_e64 vcc_lo, 0x42b17218, |v1|
	s_delay_alu instid0(VALU_DEP_3) | instskip(NEXT) | instid1(VALU_DEP_3)
	v_sub_f32_e32 v3, v3, v5
	v_cndmask_b32_e32 v1, 0x7f800000, v7, vcc_lo
	s_delay_alu instid0(VALU_DEP_2) | instskip(NEXT) | instid1(VALU_DEP_1)
	v_mul_f32_e32 v3, 0.5, v3
	v_mul_f32_e32 v12, v1, v3
                                        ; implicit-def: $vgpr1
.LBB18_1568:
	s_and_not1_saveexec_b32 s11, s0
	s_cbranch_execz .LBB18_1570
; %bb.1569:
	v_and_b32_e32 v3, 0x7fffffff, v1
	s_mov_b32 s0, 0xa3056dbb
	s_delay_alu instid0(VALU_DEP_1) | instskip(SKIP_1) | instid1(VALU_DEP_2)
	v_div_scale_f32 v5, null, v3, v3, 0x42000000
	v_div_scale_f32 v3, vcc_lo, 0x42000000, v3, 0x42000000
	v_rcp_f32_e32 v7, v5
	v_nop
	s_delay_alu instid0(TRANS32_DEP_1) | instskip(NEXT) | instid1(VALU_DEP_1)
	v_fma_f32 v9, -v5, v7, 1.0
	v_fmac_f32_e32 v7, v9, v7
	s_delay_alu instid0(VALU_DEP_1) | instskip(NEXT) | instid1(VALU_DEP_1)
	v_mul_f32_e32 v9, v3, v7
	v_fma_f32 v11, -v5, v9, v3
	s_delay_alu instid0(VALU_DEP_1) | instskip(SKIP_1) | instid1(VALU_DEP_1)
	v_fmac_f32_e32 v9, v11, v7
	v_mul_f32_e64 v11, 0x3fb8aa3b, |v1|
	v_rndne_f32_e32 v12, v11
	v_fma_f32 v13, 0x3fb8aa3b, |v1|, -v11
	s_delay_alu instid0(VALU_DEP_2) | instskip(NEXT) | instid1(VALU_DEP_2)
	v_sub_f32_e32 v11, v11, v12
	v_fma_f32 v13, 0x32a5705f, |v1|, v13
	v_cvt_i32_f32_e32 v12, v12
	s_delay_alu instid0(VALU_DEP_2) | instskip(SKIP_1) | instid1(VALU_DEP_2)
	v_add_f32_e32 v11, v11, v13
	v_fma_f32 v3, -v5, v9, v3
	v_exp_f32_e32 v11, v11
	s_delay_alu instid0(VALU_DEP_1) | instskip(SKIP_2) | instid1(VALU_DEP_3)
	v_div_fmas_f32 v3, v3, v7, v9
	v_mul_f32_e64 v9, 0x4f800000, |v1|
	v_cmp_gt_f32_e64 vcc_lo, 0xf800000, |v1|
	v_div_fixup_f32 v3, v3, |v1|, 0x42000000
	s_delay_alu instid0(VALU_DEP_2) | instskip(NEXT) | instid1(VALU_DEP_1)
	v_cndmask_b32_e64 v9, |v1|, v9, vcc_lo
	v_sqrt_f32_e32 v15, v9
	v_nop
	s_delay_alu instid0(TRANS32_DEP_1) | instskip(SKIP_1) | instid1(VALU_DEP_2)
	v_dual_add_nc_u32 v16, -1, v15 :: v_dual_add_nc_u32 v13, 1, v15
	v_add_f32_e32 v3, -2.0, v3
	v_dual_fma_f32 v17, -v16, v15, v9 :: v_dual_fma_f32 v18, -v13, v15, v9
	s_delay_alu instid0(VALU_DEP_2) | instskip(NEXT) | instid1(VALU_DEP_2)
	v_fmaak_f32 v5, s0, v3, 0xa2b236d3
	v_cmp_ge_f32_e64 s0, 0, v17
	s_delay_alu instid0(VALU_DEP_1) | instskip(NEXT) | instid1(VALU_DEP_3)
	v_cndmask_b32_e64 v15, v15, v16, s0
	v_fmaak_f32 v7, v3, v5, 0x23056dbb
	v_cmp_lt_f32_e64 s0, 0, v18
	s_delay_alu instid0(VALU_DEP_2) | instskip(NEXT) | instid1(VALU_DEP_1)
	v_add_f32_e32 v7, 0x244df0c1, v7
	v_fma_f32 v5, v3, v7, -v5
	s_delay_alu instid0(VALU_DEP_1) | instskip(NEXT) | instid1(VALU_DEP_1)
	v_add_f32_e32 v5, 0x241f9ee8, v5
	v_fma_f32 v7, v3, v5, -v7
	s_delay_alu instid0(VALU_DEP_1) | instskip(NEXT) | instid1(VALU_DEP_1)
	;; [unrolled: 3-line block ×21, first 2 shown]
	v_add_f32_e32 v5, 0x3b5ccc65, v5
	v_fma_f32 v3, v3, v5, -v7
	v_ldexp_f32 v5, v11, v12
	v_cndmask_b32_e64 v11, v15, v13, s0
	v_cmp_ngt_f32_e64 s0, 0xc2ce8ed0, |v1|
	s_delay_alu instid0(VALU_DEP_4) | instskip(NEXT) | instid1(VALU_DEP_3)
	v_add_f32_e32 v3, 0x3f4df315, v3
	v_mul_f32_e32 v12, 0x37800000, v11
	s_delay_alu instid0(VALU_DEP_3) | instskip(SKIP_1) | instid1(VALU_DEP_4)
	v_cndmask_b32_e64 v5, 0, v5, s0
	v_cmp_nlt_f32_e64 s0, 0x42b17218, |v1|
	v_sub_f32_e32 v3, v3, v7
	s_delay_alu instid0(VALU_DEP_2) | instskip(NEXT) | instid1(VALU_DEP_2)
	v_cndmask_b32_e64 v1, 0x7f800000, v5, s0
	v_dual_cndmask_b32 v5, v11, v12, vcc_lo :: v_dual_mul_f32 v3, 0.5, v3
	v_cmp_class_f32_e64 vcc_lo, v9, 0x260
	s_delay_alu instid0(VALU_DEP_2) | instskip(NEXT) | instid1(VALU_DEP_3)
	v_mul_f32_e32 v1, v1, v3
	v_cndmask_b32_e32 v5, v5, v9, vcc_lo
	s_delay_alu instid0(VALU_DEP_1) | instskip(NEXT) | instid1(VALU_DEP_1)
	v_div_scale_f32 v3, null, v5, v5, v1
	v_rcp_f32_e32 v7, v3
	v_nop
	s_delay_alu instid0(TRANS32_DEP_1) | instskip(NEXT) | instid1(VALU_DEP_1)
	v_fma_f32 v9, -v3, v7, 1.0
	v_fmac_f32_e32 v7, v9, v7
	v_div_scale_f32 v9, vcc_lo, v1, v5, v1
	s_delay_alu instid0(VALU_DEP_1) | instskip(NEXT) | instid1(VALU_DEP_1)
	v_mul_f32_e32 v11, v9, v7
	v_fma_f32 v12, -v3, v11, v9
	s_delay_alu instid0(VALU_DEP_1) | instskip(NEXT) | instid1(VALU_DEP_1)
	v_fmac_f32_e32 v11, v12, v7
	v_fma_f32 v3, -v3, v11, v9
	s_delay_alu instid0(VALU_DEP_1) | instskip(NEXT) | instid1(VALU_DEP_1)
	v_div_fmas_f32 v3, v3, v7, v11
	v_div_fixup_f32 v12, v3, v5, v1
.LBB18_1570:
	s_or_b32 exec_lo, exec_lo, s11
	v_mov_b32_e32 v15, 0
	s_cmp_lt_i32 s10, 11
	s_delay_alu instid0(VALU_DEP_1)
	v_add_nc_u64_e32 v[14:15], s[6:7], v[14:15]
	s_cbranch_scc1 .LBB18_1577
; %bb.1571:
	s_cmp_gt_i32 s10, 25
	s_mov_b32 s6, 0
	s_cbranch_scc0 .LBB18_1578
; %bb.1572:
	s_cmp_gt_i32 s10, 28
	s_cbranch_scc0 .LBB18_1579
; %bb.1573:
	s_cmp_gt_i32 s10, 43
	;; [unrolled: 3-line block ×3, first 2 shown]
	s_cbranch_scc0 .LBB18_1582
; %bb.1575:
	s_cmp_eq_u32 s10, 46
	s_mov_b32 s11, 0
	s_cbranch_scc0 .LBB18_1583
; %bb.1576:
	global_load_b32 v1, v[14:15], off
	s_mov_b32 s0, 0
	s_mov_b32 s7, -1
	s_wait_loadcnt 0x0
	v_lshlrev_b32_e32 v1, 16, v1
	s_branch .LBB18_1585
.LBB18_1577:
	s_mov_b32 s0, -1
	s_mov_b32 s7, 0
                                        ; implicit-def: $vgpr1
	s_branch .LBB18_1651
.LBB18_1578:
	s_mov_b32 s11, -1
	s_mov_b32 s7, 0
	s_mov_b32 s0, 0
                                        ; implicit-def: $vgpr1
	s_branch .LBB18_1614
.LBB18_1579:
	s_mov_b32 s11, -1
	s_mov_b32 s7, 0
	s_mov_b32 s0, 0
                                        ; implicit-def: $vgpr1
	s_branch .LBB18_1595
.LBB18_1580:
	s_mov_b32 s11, -1
	s_mov_b32 s7, 0
	s_mov_b32 s0, 0
                                        ; implicit-def: $vgpr1
	s_branch .LBB18_1590
.LBB18_1581:
	s_or_b32 s1, s1, exec_lo
	s_trap 2
	s_cbranch_execz .LBB18_1516
	s_branch .LBB18_1517
.LBB18_1582:
	s_mov_b32 s11, -1
	s_mov_b32 s7, 0
	s_mov_b32 s0, 0
	s_branch .LBB18_1584
.LBB18_1583:
	s_mov_b32 s0, -1
	s_mov_b32 s7, 0
.LBB18_1584:
                                        ; implicit-def: $vgpr1
.LBB18_1585:
	s_and_b32 vcc_lo, exec_lo, s11
	s_cbranch_vccz .LBB18_1589
; %bb.1586:
	s_cmp_eq_u32 s10, 44
	s_cbranch_scc0 .LBB18_1588
; %bb.1587:
	global_load_u8 v1, v[14:15], off
	s_mov_b32 s0, 0
	s_mov_b32 s7, -1
	s_wait_loadcnt 0x0
	v_lshlrev_b32_e32 v3, 23, v1
	v_cmp_ne_u32_e32 vcc_lo, 0xff, v1
	s_delay_alu instid0(VALU_DEP_2) | instskip(SKIP_1) | instid1(VALU_DEP_2)
	v_cndmask_b32_e32 v3, 0x7f800001, v3, vcc_lo
	v_cmp_ne_u32_e32 vcc_lo, 0, v1
	v_cndmask_b32_e32 v1, 0x400000, v3, vcc_lo
	s_branch .LBB18_1589
.LBB18_1588:
	s_mov_b32 s0, -1
                                        ; implicit-def: $vgpr1
.LBB18_1589:
	s_mov_b32 s11, 0
.LBB18_1590:
	s_delay_alu instid0(SALU_CYCLE_1)
	s_and_b32 vcc_lo, exec_lo, s11
	s_cbranch_vccz .LBB18_1594
; %bb.1591:
	s_cmp_eq_u32 s10, 29
	s_cbranch_scc0 .LBB18_1593
; %bb.1592:
	global_load_b64 v[16:17], v[14:15], off
	s_mov_b32 s0, 0
	s_mov_b32 s7, -1
	s_mov_b32 s11, 0
	s_wait_loadcnt 0x0
	v_clz_i32_u32_e32 v1, v17
	s_delay_alu instid0(VALU_DEP_1) | instskip(NEXT) | instid1(VALU_DEP_1)
	v_min_u32_e32 v1, 32, v1
	v_lshlrev_b64_e32 v[16:17], v1, v[16:17]
	v_sub_nc_u32_e32 v1, 32, v1
	s_delay_alu instid0(VALU_DEP_2) | instskip(NEXT) | instid1(VALU_DEP_1)
	v_min_u32_e32 v3, 1, v16
	v_or_b32_e32 v3, v17, v3
	s_delay_alu instid0(VALU_DEP_1) | instskip(NEXT) | instid1(VALU_DEP_1)
	v_cvt_f32_u32_e32 v3, v3
	v_ldexp_f32 v1, v3, v1
	s_branch .LBB18_1595
.LBB18_1593:
	s_mov_b32 s0, -1
                                        ; implicit-def: $vgpr1
.LBB18_1594:
	s_mov_b32 s11, 0
.LBB18_1595:
	s_delay_alu instid0(SALU_CYCLE_1)
	s_and_b32 vcc_lo, exec_lo, s11
	s_cbranch_vccz .LBB18_1613
; %bb.1596:
	s_cmp_lt_i32 s10, 27
	s_cbranch_scc1 .LBB18_1599
; %bb.1597:
	s_cmp_gt_i32 s10, 27
	s_cbranch_scc0 .LBB18_1600
; %bb.1598:
	global_load_b32 v1, v[14:15], off
	s_mov_b32 s7, 0
	s_wait_loadcnt 0x0
	v_cvt_f32_u32_e32 v1, v1
	s_branch .LBB18_1601
.LBB18_1599:
	s_mov_b32 s7, -1
                                        ; implicit-def: $vgpr1
	s_branch .LBB18_1604
.LBB18_1600:
	s_mov_b32 s7, -1
                                        ; implicit-def: $vgpr1
.LBB18_1601:
	s_delay_alu instid0(SALU_CYCLE_1)
	s_and_not1_b32 vcc_lo, exec_lo, s7
	s_cbranch_vccnz .LBB18_1603
; %bb.1602:
	global_load_u16 v1, v[14:15], off
	s_wait_loadcnt 0x0
	v_cvt_f32_u32_e32 v1, v1
.LBB18_1603:
	s_mov_b32 s7, 0
.LBB18_1604:
	s_delay_alu instid0(SALU_CYCLE_1)
	s_and_not1_b32 vcc_lo, exec_lo, s7
	s_cbranch_vccnz .LBB18_1612
; %bb.1605:
	global_load_u8 v3, v[14:15], off
	s_mov_b32 s7, 0
	s_mov_b32 s11, exec_lo
	s_wait_loadcnt 0x0
	v_cmpx_lt_i16_e32 0x7f, v3
	s_xor_b32 s11, exec_lo, s11
	s_cbranch_execz .LBB18_1626
; %bb.1606:
	s_mov_b32 s7, -1
	s_mov_b32 s12, exec_lo
	v_cmpx_eq_u16_e32 0x80, v3
; %bb.1607:
	s_xor_b32 s7, exec_lo, -1
; %bb.1608:
	s_or_b32 exec_lo, exec_lo, s12
	s_delay_alu instid0(SALU_CYCLE_1)
	s_and_b32 s7, s7, exec_lo
	s_or_saveexec_b32 s11, s11
	v_mov_b32_e32 v1, 0x7f800001
	s_xor_b32 exec_lo, exec_lo, s11
	s_cbranch_execnz .LBB18_1627
.LBB18_1609:
	s_or_b32 exec_lo, exec_lo, s11
	s_and_saveexec_b32 s11, s7
	s_cbranch_execz .LBB18_1611
.LBB18_1610:
	v_and_b32_e32 v1, 0xffff, v3
	s_delay_alu instid0(VALU_DEP_1) | instskip(SKIP_1) | instid1(VALU_DEP_2)
	v_and_b32_e32 v5, 7, v1
	v_bfe_u32 v11, v1, 3, 4
	v_clz_i32_u32_e32 v7, v5
	s_delay_alu instid0(VALU_DEP_2) | instskip(NEXT) | instid1(VALU_DEP_2)
	v_cmp_eq_u32_e32 vcc_lo, 0, v11
	v_min_u32_e32 v7, 32, v7
	s_delay_alu instid0(VALU_DEP_1) | instskip(NEXT) | instid1(VALU_DEP_1)
	v_subrev_nc_u32_e32 v9, 28, v7
	v_dual_lshlrev_b32 v1, v9, v1 :: v_dual_sub_nc_u32 v7, 29, v7
	s_delay_alu instid0(VALU_DEP_1) | instskip(NEXT) | instid1(VALU_DEP_1)
	v_dual_lshlrev_b32 v3, 24, v3 :: v_dual_bitop2_b32 v1, 7, v1 bitop3:0x40
	v_dual_cndmask_b32 v1, v5, v1, vcc_lo :: v_dual_cndmask_b32 v7, v11, v7, vcc_lo
	s_delay_alu instid0(VALU_DEP_2) | instskip(NEXT) | instid1(VALU_DEP_2)
	v_and_b32_e32 v3, 0x80000000, v3
	v_lshlrev_b32_e32 v1, 20, v1
	s_delay_alu instid0(VALU_DEP_3) | instskip(NEXT) | instid1(VALU_DEP_1)
	v_lshl_add_u32 v5, v7, 23, 0x3b800000
	v_or3_b32 v1, v3, v5, v1
.LBB18_1611:
	s_or_b32 exec_lo, exec_lo, s11
.LBB18_1612:
	s_mov_b32 s7, -1
.LBB18_1613:
	s_mov_b32 s11, 0
.LBB18_1614:
	s_delay_alu instid0(SALU_CYCLE_1)
	s_and_b32 vcc_lo, exec_lo, s11
	s_cbranch_vccz .LBB18_1647
; %bb.1615:
	s_cmp_gt_i32 s10, 22
	s_cbranch_scc0 .LBB18_1625
; %bb.1616:
	s_cmp_lt_i32 s10, 24
	s_cbranch_scc1 .LBB18_1628
; %bb.1617:
	s_cmp_gt_i32 s10, 24
	s_cbranch_scc0 .LBB18_1629
; %bb.1618:
	global_load_u8 v3, v[14:15], off
	s_mov_b32 s7, exec_lo
	s_wait_loadcnt 0x0
	v_cmpx_lt_i16_e32 0x7f, v3
	s_xor_b32 s7, exec_lo, s7
	s_cbranch_execz .LBB18_1641
; %bb.1619:
	s_mov_b32 s6, -1
	s_mov_b32 s11, exec_lo
	v_cmpx_eq_u16_e32 0x80, v3
; %bb.1620:
	s_xor_b32 s6, exec_lo, -1
; %bb.1621:
	s_or_b32 exec_lo, exec_lo, s11
	s_delay_alu instid0(SALU_CYCLE_1)
	s_and_b32 s6, s6, exec_lo
	s_or_saveexec_b32 s7, s7
	v_mov_b32_e32 v1, 0x7f800001
	s_xor_b32 exec_lo, exec_lo, s7
	s_cbranch_execnz .LBB18_1642
.LBB18_1622:
	s_or_b32 exec_lo, exec_lo, s7
	s_and_saveexec_b32 s7, s6
	s_cbranch_execz .LBB18_1624
.LBB18_1623:
	v_and_b32_e32 v1, 0xffff, v3
	s_delay_alu instid0(VALU_DEP_1) | instskip(SKIP_1) | instid1(VALU_DEP_2)
	v_and_b32_e32 v5, 3, v1
	v_bfe_u32 v11, v1, 2, 5
	v_clz_i32_u32_e32 v7, v5
	s_delay_alu instid0(VALU_DEP_2) | instskip(NEXT) | instid1(VALU_DEP_2)
	v_cmp_eq_u32_e32 vcc_lo, 0, v11
	v_min_u32_e32 v7, 32, v7
	s_delay_alu instid0(VALU_DEP_1) | instskip(NEXT) | instid1(VALU_DEP_1)
	v_subrev_nc_u32_e32 v9, 29, v7
	v_dual_lshlrev_b32 v1, v9, v1 :: v_dual_sub_nc_u32 v7, 30, v7
	s_delay_alu instid0(VALU_DEP_1) | instskip(NEXT) | instid1(VALU_DEP_1)
	v_dual_lshlrev_b32 v3, 24, v3 :: v_dual_bitop2_b32 v1, 3, v1 bitop3:0x40
	v_dual_cndmask_b32 v1, v5, v1, vcc_lo :: v_dual_cndmask_b32 v7, v11, v7, vcc_lo
	s_delay_alu instid0(VALU_DEP_2) | instskip(NEXT) | instid1(VALU_DEP_2)
	v_and_b32_e32 v3, 0x80000000, v3
	v_lshlrev_b32_e32 v1, 21, v1
	s_delay_alu instid0(VALU_DEP_3) | instskip(NEXT) | instid1(VALU_DEP_1)
	v_lshl_add_u32 v5, v7, 23, 0x37800000
	v_or3_b32 v1, v3, v5, v1
.LBB18_1624:
	s_or_b32 exec_lo, exec_lo, s7
	s_mov_b32 s6, 0
	s_branch .LBB18_1630
.LBB18_1625:
	s_mov_b32 s6, -1
                                        ; implicit-def: $vgpr1
	s_branch .LBB18_1636
.LBB18_1626:
	s_or_saveexec_b32 s11, s11
	v_mov_b32_e32 v1, 0x7f800001
	s_xor_b32 exec_lo, exec_lo, s11
	s_cbranch_execz .LBB18_1609
.LBB18_1627:
	v_cmp_ne_u16_e32 vcc_lo, 0, v3
	v_mov_b32_e32 v1, 0
	s_and_not1_b32 s7, s7, exec_lo
	s_and_b32 s12, vcc_lo, exec_lo
	s_delay_alu instid0(SALU_CYCLE_1)
	s_or_b32 s7, s7, s12
	s_or_b32 exec_lo, exec_lo, s11
	s_and_saveexec_b32 s11, s7
	s_cbranch_execnz .LBB18_1610
	s_branch .LBB18_1611
.LBB18_1628:
	s_mov_b32 s6, -1
                                        ; implicit-def: $vgpr1
	s_branch .LBB18_1633
.LBB18_1629:
	s_mov_b32 s6, -1
                                        ; implicit-def: $vgpr1
.LBB18_1630:
	s_delay_alu instid0(SALU_CYCLE_1)
	s_and_b32 vcc_lo, exec_lo, s6
	s_cbranch_vccz .LBB18_1632
; %bb.1631:
	global_load_u8 v1, v[14:15], off
	s_wait_loadcnt 0x0
	v_lshlrev_b32_e32 v1, 24, v1
	s_delay_alu instid0(VALU_DEP_1) | instskip(NEXT) | instid1(VALU_DEP_1)
	v_and_b32_e32 v3, 0x7f000000, v1
	v_clz_i32_u32_e32 v5, v3
	v_add_nc_u32_e32 v9, 0x1000000, v3
	v_cmp_ne_u32_e32 vcc_lo, 0, v3
	s_delay_alu instid0(VALU_DEP_3) | instskip(NEXT) | instid1(VALU_DEP_1)
	v_min_u32_e32 v5, 32, v5
	v_sub_nc_u32_e64 v5, v5, 4 clamp
	s_delay_alu instid0(VALU_DEP_1) | instskip(NEXT) | instid1(VALU_DEP_1)
	v_dual_lshlrev_b32 v7, v5, v3 :: v_dual_lshlrev_b32 v5, 23, v5
	v_lshrrev_b32_e32 v7, 4, v7
	s_delay_alu instid0(VALU_DEP_1) | instskip(SKIP_1) | instid1(VALU_DEP_2)
	v_sub_nc_u32_e32 v5, v7, v5
	v_ashrrev_i32_e32 v7, 8, v9
	v_add_nc_u32_e32 v5, 0x3c000000, v5
	s_delay_alu instid0(VALU_DEP_1) | instskip(NEXT) | instid1(VALU_DEP_1)
	v_and_or_b32 v5, 0x7f800000, v7, v5
	v_cndmask_b32_e32 v3, 0, v5, vcc_lo
	s_delay_alu instid0(VALU_DEP_1)
	v_and_or_b32 v1, 0x80000000, v1, v3
.LBB18_1632:
	s_mov_b32 s6, 0
.LBB18_1633:
	s_delay_alu instid0(SALU_CYCLE_1)
	s_and_not1_b32 vcc_lo, exec_lo, s6
	s_cbranch_vccnz .LBB18_1635
; %bb.1634:
	global_load_u8 v1, v[14:15], off
	s_wait_loadcnt 0x0
	v_lshlrev_b32_e32 v3, 25, v1
	v_lshlrev_b16 v1, 8, v1
	s_delay_alu instid0(VALU_DEP_1) | instskip(SKIP_1) | instid1(VALU_DEP_2)
	v_and_or_b32 v7, 0x7f00, v1, 0.5
	v_bfe_i32 v1, v1, 0, 16
	v_add_f32_e32 v7, -0.5, v7
	v_lshrrev_b32_e32 v5, 4, v3
	v_cmp_gt_u32_e32 vcc_lo, 0x8000000, v3
	s_delay_alu instid0(VALU_DEP_2) | instskip(NEXT) | instid1(VALU_DEP_1)
	v_or_b32_e32 v5, 0x70000000, v5
	v_mul_f32_e32 v5, 0x7800000, v5
	s_delay_alu instid0(VALU_DEP_1) | instskip(NEXT) | instid1(VALU_DEP_1)
	v_cndmask_b32_e32 v3, v5, v7, vcc_lo
	v_and_or_b32 v1, 0x80000000, v1, v3
.LBB18_1635:
	s_mov_b32 s6, 0
	s_mov_b32 s7, -1
.LBB18_1636:
	s_and_not1_b32 vcc_lo, exec_lo, s6
	s_mov_b32 s6, 0
	s_cbranch_vccnz .LBB18_1647
; %bb.1637:
	s_cmp_gt_i32 s10, 14
	s_cbranch_scc0 .LBB18_1640
; %bb.1638:
	s_cmp_eq_u32 s10, 15
	s_cbranch_scc0 .LBB18_1643
; %bb.1639:
	global_load_u16 v1, v[14:15], off
	s_mov_b32 s0, 0
	s_mov_b32 s7, -1
	s_wait_loadcnt 0x0
	v_lshlrev_b32_e32 v1, 16, v1
	s_branch .LBB18_1645
.LBB18_1640:
	s_mov_b32 s6, -1
	s_branch .LBB18_1644
.LBB18_1641:
	s_or_saveexec_b32 s7, s7
	v_mov_b32_e32 v1, 0x7f800001
	s_xor_b32 exec_lo, exec_lo, s7
	s_cbranch_execz .LBB18_1622
.LBB18_1642:
	v_cmp_ne_u16_e32 vcc_lo, 0, v3
	v_mov_b32_e32 v1, 0
	s_and_not1_b32 s6, s6, exec_lo
	s_and_b32 s11, vcc_lo, exec_lo
	s_delay_alu instid0(SALU_CYCLE_1)
	s_or_b32 s6, s6, s11
	s_or_b32 exec_lo, exec_lo, s7
	s_and_saveexec_b32 s7, s6
	s_cbranch_execnz .LBB18_1623
	s_branch .LBB18_1624
.LBB18_1643:
	s_mov_b32 s0, -1
.LBB18_1644:
                                        ; implicit-def: $vgpr1
.LBB18_1645:
	s_and_b32 vcc_lo, exec_lo, s6
	s_mov_b32 s6, 0
	s_cbranch_vccz .LBB18_1647
; %bb.1646:
	s_cmp_lg_u32 s10, 11
	s_mov_b32 s6, -1
	s_cselect_b32 s0, -1, 0
.LBB18_1647:
	s_delay_alu instid0(SALU_CYCLE_1)
	s_and_b32 vcc_lo, exec_lo, s0
	s_cbranch_vccnz .LBB18_2185
; %bb.1648:
	s_and_not1_b32 vcc_lo, exec_lo, s6
	s_cbranch_vccnz .LBB18_1650
.LBB18_1649:
	global_load_u8 v1, v[14:15], off
	s_mov_b32 s7, -1
	s_wait_loadcnt 0x0
	v_cmp_ne_u16_e32 vcc_lo, 0, v1
	v_cndmask_b32_e64 v1, 0, 1.0, vcc_lo
.LBB18_1650:
	s_mov_b32 s0, 0
.LBB18_1651:
	s_delay_alu instid0(SALU_CYCLE_1)
	s_and_b32 vcc_lo, exec_lo, s0
	s_cbranch_vccz .LBB18_1700
; %bb.1652:
	s_cmp_lt_i32 s10, 5
	s_cbranch_scc1 .LBB18_1657
; %bb.1653:
	s_cmp_lt_i32 s10, 8
	s_cbranch_scc1 .LBB18_1658
	;; [unrolled: 3-line block ×3, first 2 shown]
; %bb.1655:
	s_cmp_gt_i32 s10, 9
	s_cbranch_scc0 .LBB18_1660
; %bb.1656:
	global_load_b64 v[16:17], v[14:15], off
	s_mov_b32 s0, 0
	s_wait_loadcnt 0x0
	v_cvt_f32_f64_e32 v1, v[16:17]
	s_branch .LBB18_1661
.LBB18_1657:
	s_mov_b32 s0, -1
                                        ; implicit-def: $vgpr1
	s_branch .LBB18_1679
.LBB18_1658:
	s_mov_b32 s0, -1
                                        ; implicit-def: $vgpr1
	s_branch .LBB18_1667
.LBB18_1659:
	s_mov_b32 s0, -1
                                        ; implicit-def: $vgpr1
	s_branch .LBB18_1664
.LBB18_1660:
	s_mov_b32 s0, -1
                                        ; implicit-def: $vgpr1
.LBB18_1661:
	s_delay_alu instid0(SALU_CYCLE_1)
	s_and_not1_b32 vcc_lo, exec_lo, s0
	s_cbranch_vccnz .LBB18_1663
; %bb.1662:
	global_load_b32 v1, v[14:15], off
.LBB18_1663:
	s_mov_b32 s0, 0
.LBB18_1664:
	s_delay_alu instid0(SALU_CYCLE_1)
	s_and_not1_b32 vcc_lo, exec_lo, s0
	s_cbranch_vccnz .LBB18_1666
; %bb.1665:
	s_wait_loadcnt 0x0
	global_load_b32 v1, v[14:15], off
	s_wait_loadcnt 0x0
	v_cvt_f32_f16_e32 v1, v1
.LBB18_1666:
	s_mov_b32 s0, 0
.LBB18_1667:
	s_delay_alu instid0(SALU_CYCLE_1)
	s_and_not1_b32 vcc_lo, exec_lo, s0
	s_cbranch_vccnz .LBB18_1678
; %bb.1668:
	s_cmp_lt_i32 s10, 6
	s_cbranch_scc1 .LBB18_1671
; %bb.1669:
	s_cmp_gt_i32 s10, 6
	s_cbranch_scc0 .LBB18_1672
; %bb.1670:
	global_load_b64 v[16:17], v[14:15], off
	s_mov_b32 s0, 0
	s_wait_loadcnt 0x0
	v_cvt_f32_f64_e32 v1, v[16:17]
	s_branch .LBB18_1673
.LBB18_1671:
	s_mov_b32 s0, -1
                                        ; implicit-def: $vgpr1
	s_branch .LBB18_1676
.LBB18_1672:
	s_mov_b32 s0, -1
                                        ; implicit-def: $vgpr1
.LBB18_1673:
	s_delay_alu instid0(SALU_CYCLE_1)
	s_and_not1_b32 vcc_lo, exec_lo, s0
	s_cbranch_vccnz .LBB18_1675
; %bb.1674:
	s_wait_loadcnt 0x0
	global_load_b32 v1, v[14:15], off
.LBB18_1675:
	s_mov_b32 s0, 0
.LBB18_1676:
	s_delay_alu instid0(SALU_CYCLE_1)
	s_and_not1_b32 vcc_lo, exec_lo, s0
	s_cbranch_vccnz .LBB18_1678
; %bb.1677:
	s_wait_loadcnt 0x0
	global_load_u16 v1, v[14:15], off
	s_wait_loadcnt 0x0
	v_cvt_f32_f16_e32 v1, v1
.LBB18_1678:
	s_mov_b32 s0, 0
.LBB18_1679:
	s_delay_alu instid0(SALU_CYCLE_1)
	s_and_not1_b32 vcc_lo, exec_lo, s0
	s_cbranch_vccnz .LBB18_1699
; %bb.1680:
	s_cmp_lt_i32 s10, 2
	s_cbranch_scc1 .LBB18_1684
; %bb.1681:
	s_cmp_lt_i32 s10, 3
	s_cbranch_scc1 .LBB18_1685
; %bb.1682:
	s_cmp_gt_i32 s10, 3
	s_cbranch_scc0 .LBB18_1686
; %bb.1683:
	global_load_b64 v[16:17], v[14:15], off
	s_mov_b32 s0, 0
	s_wait_loadcnt 0x0
	v_xor_b32_e32 v1, v16, v17
	v_cls_i32_e32 v3, v17
	s_delay_alu instid0(VALU_DEP_2) | instskip(NEXT) | instid1(VALU_DEP_1)
	v_ashrrev_i32_e32 v1, 31, v1
	v_add_nc_u32_e32 v1, 32, v1
	s_delay_alu instid0(VALU_DEP_1) | instskip(NEXT) | instid1(VALU_DEP_1)
	v_add_min_u32_e64 v1, v3, -1, v1
	v_lshlrev_b64_e32 v[16:17], v1, v[16:17]
	v_sub_nc_u32_e32 v1, 32, v1
	s_delay_alu instid0(VALU_DEP_2) | instskip(NEXT) | instid1(VALU_DEP_1)
	v_min_u32_e32 v3, 1, v16
	v_or_b32_e32 v3, v17, v3
	s_delay_alu instid0(VALU_DEP_1) | instskip(NEXT) | instid1(VALU_DEP_1)
	v_cvt_f32_i32_e32 v3, v3
	v_ldexp_f32 v1, v3, v1
	s_branch .LBB18_1687
.LBB18_1684:
	s_mov_b32 s0, -1
                                        ; implicit-def: $vgpr1
	s_branch .LBB18_1693
.LBB18_1685:
	s_mov_b32 s0, -1
                                        ; implicit-def: $vgpr1
	s_branch .LBB18_1690
.LBB18_1686:
	s_mov_b32 s0, -1
                                        ; implicit-def: $vgpr1
.LBB18_1687:
	s_delay_alu instid0(SALU_CYCLE_1)
	s_and_not1_b32 vcc_lo, exec_lo, s0
	s_cbranch_vccnz .LBB18_1689
; %bb.1688:
	s_wait_loadcnt 0x0
	global_load_b32 v1, v[14:15], off
	s_wait_loadcnt 0x0
	v_cvt_f32_i32_e32 v1, v1
.LBB18_1689:
	s_mov_b32 s0, 0
.LBB18_1690:
	s_delay_alu instid0(SALU_CYCLE_1)
	s_and_not1_b32 vcc_lo, exec_lo, s0
	s_cbranch_vccnz .LBB18_1692
; %bb.1691:
	s_wait_loadcnt 0x0
	global_load_i16 v1, v[14:15], off
	s_wait_loadcnt 0x0
	v_cvt_f32_i32_e32 v1, v1
.LBB18_1692:
	s_mov_b32 s0, 0
.LBB18_1693:
	s_delay_alu instid0(SALU_CYCLE_1)
	s_and_not1_b32 vcc_lo, exec_lo, s0
	s_cbranch_vccnz .LBB18_1699
; %bb.1694:
	s_cmp_gt_i32 s10, 0
	s_mov_b32 s0, 0
	s_cbranch_scc0 .LBB18_1696
; %bb.1695:
	s_wait_loadcnt 0x0
	global_load_i8 v1, v[14:15], off
	s_wait_loadcnt 0x0
	v_cvt_f32_i32_e32 v1, v1
	s_branch .LBB18_1697
.LBB18_1696:
	s_mov_b32 s0, -1
                                        ; implicit-def: $vgpr1
.LBB18_1697:
	s_delay_alu instid0(SALU_CYCLE_1)
	s_and_not1_b32 vcc_lo, exec_lo, s0
	s_cbranch_vccnz .LBB18_1699
; %bb.1698:
	s_wait_loadcnt 0x0
	global_load_u8 v1, v[14:15], off
	s_wait_loadcnt 0x0
	v_cvt_f32_ubyte0_e32 v1, v1
.LBB18_1699:
	s_mov_b32 s7, -1
.LBB18_1700:
	s_delay_alu instid0(SALU_CYCLE_1)
	s_and_not1_b32 vcc_lo, exec_lo, s7
	s_cbranch_vccnz .LBB18_1783
; %bb.1701:
	s_wait_loadcnt 0x0
	s_delay_alu instid0(VALU_DEP_1) | instskip(SKIP_2) | instid1(SALU_CYCLE_1)
	v_cmp_ge_f32_e64 s0, 0x41000000, |v1|
                                        ; implicit-def: $vgpr14
	s_wait_xcnt 0x0
	s_and_saveexec_b32 s6, s0
	s_xor_b32 s0, exec_lo, s6
	s_cbranch_execz .LBB18_1703
; %bb.1702:
	v_fma_f32 v3, |v1|, 0.5, -2.0
	s_mov_b32 s6, 0xa2a2e5b9
	v_mul_f32_e64 v9, 0x3fb8aa3b, |v1|
	v_cmp_ngt_f32_e64 vcc_lo, 0xc2ce8ed0, |v1|
	s_delay_alu instid0(VALU_DEP_3) | instskip(NEXT) | instid1(VALU_DEP_3)
	v_fmaak_f32 v5, s6, v3, 0x24199b15
	v_rndne_f32_e32 v11, v9
	v_fma_f32 v13, 0x3fb8aa3b, |v1|, -v9
	s_delay_alu instid0(VALU_DEP_3) | instskip(NEXT) | instid1(VALU_DEP_3)
	v_fmaak_f32 v7, v3, v5, 0x22a2e5b9
	v_sub_f32_e32 v9, v9, v11
	s_delay_alu instid0(VALU_DEP_3) | instskip(SKIP_1) | instid1(VALU_DEP_4)
	v_fma_f32 v13, 0x32a5705f, |v1|, v13
	v_cvt_i32_f32_e32 v11, v11
	v_add_f32_e32 v7, 0xa58c275c, v7
	s_delay_alu instid0(VALU_DEP_1) | instskip(NEXT) | instid1(VALU_DEP_1)
	v_dual_add_f32 v9, v9, v13 :: v_dual_fma_f32 v5, v3, v7, -v5
	v_exp_f32_e32 v9, v9
	s_delay_alu instid0(VALU_DEP_1) | instskip(NEXT) | instid1(VALU_DEP_1)
	v_add_f32_e32 v5, 0x26f736c5, v5
	v_fma_f32 v7, v3, v5, -v7
	s_delay_alu instid0(VALU_DEP_1) | instskip(NEXT) | instid1(VALU_DEP_1)
	v_add_f32_e32 v7, 0xa8528116, v7
	v_fma_f32 v5, v3, v7, -v5
	;; [unrolled: 3-line block ×26, first 2 shown]
	v_ldexp_f32 v7, v9, v11
	s_delay_alu instid0(VALU_DEP_2) | instskip(NEXT) | instid1(VALU_DEP_2)
	v_add_f32_e32 v3, 0x3f2d4275, v3
	v_cndmask_b32_e32 v7, 0, v7, vcc_lo
	v_cmp_nlt_f32_e64 vcc_lo, 0x42b17218, |v1|
	s_delay_alu instid0(VALU_DEP_3) | instskip(NEXT) | instid1(VALU_DEP_3)
	v_sub_f32_e32 v3, v3, v5
	v_cndmask_b32_e32 v1, 0x7f800000, v7, vcc_lo
	s_delay_alu instid0(VALU_DEP_2) | instskip(NEXT) | instid1(VALU_DEP_1)
	v_mul_f32_e32 v3, 0.5, v3
	v_mul_f32_e32 v14, v1, v3
                                        ; implicit-def: $vgpr1
.LBB18_1703:
	s_and_not1_saveexec_b32 s6, s0
	s_cbranch_execz .LBB18_1705
; %bb.1704:
	v_and_b32_e32 v3, 0x7fffffff, v1
	s_mov_b32 s0, 0xa3056dbb
	s_delay_alu instid0(VALU_DEP_1) | instskip(SKIP_1) | instid1(VALU_DEP_2)
	v_div_scale_f32 v5, null, v3, v3, 0x42000000
	v_div_scale_f32 v3, vcc_lo, 0x42000000, v3, 0x42000000
	v_rcp_f32_e32 v7, v5
	v_nop
	s_delay_alu instid0(TRANS32_DEP_1) | instskip(NEXT) | instid1(VALU_DEP_1)
	v_fma_f32 v9, -v5, v7, 1.0
	v_fmac_f32_e32 v7, v9, v7
	s_delay_alu instid0(VALU_DEP_1) | instskip(NEXT) | instid1(VALU_DEP_1)
	v_mul_f32_e32 v9, v3, v7
	v_fma_f32 v11, -v5, v9, v3
	s_delay_alu instid0(VALU_DEP_1) | instskip(SKIP_1) | instid1(VALU_DEP_1)
	v_fmac_f32_e32 v9, v11, v7
	v_mul_f32_e64 v11, 0x3fb8aa3b, |v1|
	v_rndne_f32_e32 v13, v11
	v_fma_f32 v14, 0x3fb8aa3b, |v1|, -v11
	s_delay_alu instid0(VALU_DEP_2) | instskip(NEXT) | instid1(VALU_DEP_2)
	v_sub_f32_e32 v11, v11, v13
	v_fma_f32 v14, 0x32a5705f, |v1|, v14
	v_cvt_i32_f32_e32 v13, v13
	s_delay_alu instid0(VALU_DEP_2) | instskip(NEXT) | instid1(VALU_DEP_1)
	v_dual_add_f32 v11, v11, v14 :: v_dual_fma_f32 v3, -v5, v9, v3
	v_exp_f32_e32 v11, v11
	s_delay_alu instid0(VALU_DEP_1) | instskip(SKIP_2) | instid1(VALU_DEP_3)
	v_div_fmas_f32 v3, v3, v7, v9
	v_mul_f32_e64 v9, 0x4f800000, |v1|
	v_cmp_gt_f32_e64 vcc_lo, 0xf800000, |v1|
	v_div_fixup_f32 v3, v3, |v1|, 0x42000000
	s_delay_alu instid0(VALU_DEP_2) | instskip(NEXT) | instid1(VALU_DEP_1)
	v_cndmask_b32_e64 v9, |v1|, v9, vcc_lo
	v_sqrt_f32_e32 v15, v9
	v_nop
	s_delay_alu instid0(TRANS32_DEP_1) | instskip(SKIP_1) | instid1(VALU_DEP_2)
	v_dual_add_nc_u32 v16, -1, v15 :: v_dual_add_nc_u32 v14, 1, v15
	v_add_f32_e32 v3, -2.0, v3
	v_dual_fma_f32 v17, -v16, v15, v9 :: v_dual_fma_f32 v18, -v14, v15, v9
	s_delay_alu instid0(VALU_DEP_2) | instskip(NEXT) | instid1(VALU_DEP_2)
	v_fmaak_f32 v5, s0, v3, 0xa2b236d3
	v_cmp_ge_f32_e64 s0, 0, v17
	s_delay_alu instid0(VALU_DEP_1) | instskip(NEXT) | instid1(VALU_DEP_3)
	v_cndmask_b32_e64 v15, v15, v16, s0
	v_fmaak_f32 v7, v3, v5, 0x23056dbb
	v_cmp_lt_f32_e64 s0, 0, v18
	s_delay_alu instid0(VALU_DEP_2) | instskip(NEXT) | instid1(VALU_DEP_1)
	v_add_f32_e32 v7, 0x244df0c1, v7
	v_fma_f32 v5, v3, v7, -v5
	s_delay_alu instid0(VALU_DEP_1) | instskip(NEXT) | instid1(VALU_DEP_1)
	v_add_f32_e32 v5, 0x241f9ee8, v5
	v_fma_f32 v7, v3, v5, -v7
	s_delay_alu instid0(VALU_DEP_1) | instskip(NEXT) | instid1(VALU_DEP_1)
	;; [unrolled: 3-line block ×21, first 2 shown]
	v_add_f32_e32 v5, 0x3b5ccc65, v5
	v_fma_f32 v3, v3, v5, -v7
	v_ldexp_f32 v5, v11, v13
	v_cndmask_b32_e64 v11, v15, v14, s0
	v_cmp_ngt_f32_e64 s0, 0xc2ce8ed0, |v1|
	s_delay_alu instid0(VALU_DEP_4) | instskip(NEXT) | instid1(VALU_DEP_3)
	v_add_f32_e32 v3, 0x3f4df315, v3
	v_mul_f32_e32 v13, 0x37800000, v11
	s_delay_alu instid0(VALU_DEP_3) | instskip(SKIP_1) | instid1(VALU_DEP_4)
	v_cndmask_b32_e64 v5, 0, v5, s0
	v_cmp_nlt_f32_e64 s0, 0x42b17218, |v1|
	v_sub_f32_e32 v3, v3, v7
	s_delay_alu instid0(VALU_DEP_2) | instskip(NEXT) | instid1(VALU_DEP_2)
	v_cndmask_b32_e64 v1, 0x7f800000, v5, s0
	v_dual_cndmask_b32 v5, v11, v13, vcc_lo :: v_dual_mul_f32 v3, 0.5, v3
	v_cmp_class_f32_e64 vcc_lo, v9, 0x260
	s_delay_alu instid0(VALU_DEP_2) | instskip(NEXT) | instid1(VALU_DEP_3)
	v_mul_f32_e32 v1, v1, v3
	v_cndmask_b32_e32 v5, v5, v9, vcc_lo
	s_delay_alu instid0(VALU_DEP_1) | instskip(NEXT) | instid1(VALU_DEP_1)
	v_div_scale_f32 v3, null, v5, v5, v1
	v_rcp_f32_e32 v7, v3
	v_nop
	s_delay_alu instid0(TRANS32_DEP_1) | instskip(NEXT) | instid1(VALU_DEP_1)
	v_fma_f32 v9, -v3, v7, 1.0
	v_fmac_f32_e32 v7, v9, v7
	v_div_scale_f32 v9, vcc_lo, v1, v5, v1
	s_delay_alu instid0(VALU_DEP_1) | instskip(NEXT) | instid1(VALU_DEP_1)
	v_mul_f32_e32 v11, v9, v7
	v_fma_f32 v13, -v3, v11, v9
	s_delay_alu instid0(VALU_DEP_1) | instskip(NEXT) | instid1(VALU_DEP_1)
	v_fmac_f32_e32 v11, v13, v7
	v_fma_f32 v3, -v3, v11, v9
	s_delay_alu instid0(VALU_DEP_1) | instskip(NEXT) | instid1(VALU_DEP_1)
	v_div_fmas_f32 v3, v3, v7, v11
	v_div_fixup_f32 v14, v3, v5, v1
.LBB18_1705:
	s_or_b32 exec_lo, exec_lo, s6
	v_mov_b32_e32 v7, 0
	global_load_u8 v1, v7, s[2:3] offset:345
	s_wait_xcnt 0x0
	v_add_nc_u64_e32 v[6:7], s[4:5], v[6:7]
	s_wait_loadcnt 0x0
	v_and_b32_e32 v3, 0xffff, v1
	v_readfirstlane_b32 s6, v1
	s_delay_alu instid0(VALU_DEP_2)
	v_cmp_gt_i32_e32 vcc_lo, 11, v3
	s_cbranch_vccnz .LBB18_1828
; %bb.1706:
	s_and_b32 s2, 0xffff, s6
	s_mov_b32 s10, -1
	s_mov_b32 s3, 0
	s_cmp_gt_i32 s2, 25
	s_mov_b32 s7, 0
	s_mov_b32 s0, 0
	s_cbranch_scc0 .LBB18_1739
; %bb.1707:
	s_cmp_gt_i32 s2, 28
	s_cbranch_scc0 .LBB18_1722
; %bb.1708:
	s_cmp_gt_i32 s2, 43
	;; [unrolled: 3-line block ×3, first 2 shown]
	s_cbranch_scc0 .LBB18_1712
; %bb.1710:
	s_mov_b32 s0, -1
	s_mov_b32 s10, 0
	s_cmp_eq_u32 s2, 46
	s_cbranch_scc0 .LBB18_1712
; %bb.1711:
	v_bfe_u32 v1, v8, 16, 1
	v_cmp_o_f32_e32 vcc_lo, v8, v8
	s_mov_b32 s0, 0
	s_mov_b32 s7, -1
	s_delay_alu instid0(VALU_DEP_2) | instskip(NEXT) | instid1(VALU_DEP_1)
	v_add3_u32 v1, v8, v1, 0x7fff
	v_lshrrev_b32_e32 v1, 16, v1
	s_delay_alu instid0(VALU_DEP_1)
	v_cndmask_b32_e32 v1, 0x7fc0, v1, vcc_lo
	global_store_b32 v[6:7], v1, off
.LBB18_1712:
	s_and_b32 vcc_lo, exec_lo, s10
	s_cbranch_vccz .LBB18_1717
; %bb.1713:
	s_cmp_eq_u32 s2, 44
	s_mov_b32 s0, -1
	s_cbranch_scc0 .LBB18_1717
; %bb.1714:
	v_bfe_u32 v3, v8, 23, 8
	s_wait_xcnt 0x0
	v_mov_b32_e32 v1, 0xff
	s_mov_b32 s7, exec_lo
	s_delay_alu instid0(VALU_DEP_2)
	v_cmpx_ne_u32_e32 0xff, v3
	s_cbranch_execz .LBB18_1716
; %bb.1715:
	v_and_b32_e32 v1, 0x400000, v8
	v_and_or_b32 v3, 0x3fffff, v8, v3
	s_delay_alu instid0(VALU_DEP_2) | instskip(NEXT) | instid1(VALU_DEP_2)
	v_cmp_ne_u32_e32 vcc_lo, 0, v1
	v_cmp_ne_u32_e64 s0, 0, v3
	v_lshrrev_b32_e32 v1, 23, v8
	s_and_b32 s0, vcc_lo, s0
	s_delay_alu instid0(SALU_CYCLE_1) | instskip(NEXT) | instid1(VALU_DEP_1)
	v_cndmask_b32_e64 v3, 0, 1, s0
	v_add_nc_u32_e32 v1, v1, v3
.LBB18_1716:
	s_or_b32 exec_lo, exec_lo, s7
	s_mov_b32 s0, 0
	s_mov_b32 s7, -1
	global_store_b8 v[6:7], v1, off
.LBB18_1717:
	s_mov_b32 s10, 0
.LBB18_1718:
	s_delay_alu instid0(SALU_CYCLE_1)
	s_and_b32 vcc_lo, exec_lo, s10
	s_cbranch_vccz .LBB18_1721
; %bb.1719:
	s_cmp_eq_u32 s2, 29
	s_mov_b32 s0, -1
	s_cbranch_scc0 .LBB18_1721
; %bb.1720:
	s_wait_xcnt 0x0
	v_trunc_f32_e32 v1, v8
	s_mov_b32 s0, 0
	s_mov_b32 s7, -1
	s_delay_alu instid0(VALU_DEP_1) | instskip(NEXT) | instid1(VALU_DEP_1)
	v_mul_f32_e32 v3, 0x2f800000, v1
	v_floor_f32_e32 v3, v3
	s_delay_alu instid0(VALU_DEP_1) | instskip(SKIP_1) | instid1(VALU_DEP_2)
	v_fmamk_f32 v1, v3, 0xcf800000, v1
	v_cvt_u32_f32_e32 v17, v3
	v_cvt_u32_f32_e32 v16, v1
	global_store_b64 v[6:7], v[16:17], off
.LBB18_1721:
	s_mov_b32 s10, 0
.LBB18_1722:
	s_delay_alu instid0(SALU_CYCLE_1)
	s_and_b32 vcc_lo, exec_lo, s10
	s_cbranch_vccz .LBB18_1738
; %bb.1723:
	s_cmp_lt_i32 s2, 27
	s_mov_b32 s7, -1
	s_cbranch_scc1 .LBB18_1729
; %bb.1724:
	s_wait_xcnt 0x0
	v_cvt_u32_f32_e32 v1, v8
	s_cmp_gt_i32 s2, 27
	s_cbranch_scc0 .LBB18_1726
; %bb.1725:
	s_mov_b32 s7, 0
	global_store_b32 v[6:7], v1, off
.LBB18_1726:
	s_and_not1_b32 vcc_lo, exec_lo, s7
	s_cbranch_vccnz .LBB18_1728
; %bb.1727:
	global_store_b16 v[6:7], v1, off
.LBB18_1728:
	s_mov_b32 s7, 0
.LBB18_1729:
	s_delay_alu instid0(SALU_CYCLE_1)
	s_and_not1_b32 vcc_lo, exec_lo, s7
	s_cbranch_vccnz .LBB18_1737
; %bb.1730:
	s_wait_xcnt 0x0
	v_and_b32_e32 v1, 0x7fffffff, v8
	v_mov_b32_e32 v3, 0x80
	s_mov_b32 s7, exec_lo
	s_delay_alu instid0(VALU_DEP_2)
	v_cmpx_gt_u32_e32 0x43800000, v1
	s_cbranch_execz .LBB18_1736
; %bb.1731:
	v_cmp_lt_u32_e32 vcc_lo, 0x3bffffff, v1
	s_mov_b32 s10, 0
                                        ; implicit-def: $vgpr1
	s_and_saveexec_b32 s11, vcc_lo
	s_delay_alu instid0(SALU_CYCLE_1)
	s_xor_b32 s11, exec_lo, s11
	s_cbranch_execz .LBB18_2186
; %bb.1732:
	v_bfe_u32 v1, v8, 20, 1
	s_mov_b32 s10, exec_lo
	s_delay_alu instid0(VALU_DEP_1) | instskip(NEXT) | instid1(VALU_DEP_1)
	v_add3_u32 v1, v8, v1, 0x487ffff
	v_lshrrev_b32_e32 v1, 20, v1
	s_and_not1_saveexec_b32 s11, s11
	s_cbranch_execnz .LBB18_2187
.LBB18_1733:
	s_or_b32 exec_lo, exec_lo, s11
	v_mov_b32_e32 v3, 0
	s_and_saveexec_b32 s11, s10
.LBB18_1734:
	v_lshrrev_b32_e32 v3, 24, v8
	s_delay_alu instid0(VALU_DEP_1)
	v_and_or_b32 v3, 0x80, v3, v1
.LBB18_1735:
	s_or_b32 exec_lo, exec_lo, s11
.LBB18_1736:
	s_delay_alu instid0(SALU_CYCLE_1)
	s_or_b32 exec_lo, exec_lo, s7
	global_store_b8 v[6:7], v3, off
.LBB18_1737:
	s_mov_b32 s7, -1
.LBB18_1738:
	s_mov_b32 s10, 0
.LBB18_1739:
	s_delay_alu instid0(SALU_CYCLE_1)
	s_and_b32 vcc_lo, exec_lo, s10
	s_cbranch_vccz .LBB18_1779
; %bb.1740:
	s_cmp_gt_i32 s2, 22
	s_mov_b32 s3, -1
	s_cbranch_scc0 .LBB18_1772
; %bb.1741:
	s_cmp_lt_i32 s2, 24
	s_cbranch_scc1 .LBB18_1761
; %bb.1742:
	s_cmp_gt_i32 s2, 24
	s_cbranch_scc0 .LBB18_1750
; %bb.1743:
	s_wait_xcnt 0x0
	v_and_b32_e32 v1, 0x7fffffff, v8
	v_mov_b32_e32 v3, 0x80
	s_mov_b32 s3, exec_lo
	s_delay_alu instid0(VALU_DEP_2)
	v_cmpx_gt_u32_e32 0x47800000, v1
	s_cbranch_execz .LBB18_1749
; %bb.1744:
	v_cmp_lt_u32_e32 vcc_lo, 0x37ffffff, v1
	s_mov_b32 s7, 0
                                        ; implicit-def: $vgpr1
	s_and_saveexec_b32 s10, vcc_lo
	s_delay_alu instid0(SALU_CYCLE_1)
	s_xor_b32 s10, exec_lo, s10
	s_cbranch_execz .LBB18_2189
; %bb.1745:
	v_bfe_u32 v1, v8, 21, 1
	s_mov_b32 s7, exec_lo
	s_delay_alu instid0(VALU_DEP_1) | instskip(NEXT) | instid1(VALU_DEP_1)
	v_add3_u32 v1, v8, v1, 0x88fffff
	v_lshrrev_b32_e32 v1, 21, v1
	s_and_not1_saveexec_b32 s10, s10
	s_cbranch_execnz .LBB18_2190
.LBB18_1746:
	s_or_b32 exec_lo, exec_lo, s10
	v_mov_b32_e32 v3, 0
	s_and_saveexec_b32 s10, s7
.LBB18_1747:
	v_lshrrev_b32_e32 v3, 24, v8
	s_delay_alu instid0(VALU_DEP_1)
	v_and_or_b32 v3, 0x80, v3, v1
.LBB18_1748:
	s_or_b32 exec_lo, exec_lo, s10
.LBB18_1749:
	s_delay_alu instid0(SALU_CYCLE_1)
	s_or_b32 exec_lo, exec_lo, s3
	s_mov_b32 s3, 0
	global_store_b8 v[6:7], v3, off
.LBB18_1750:
	s_and_b32 vcc_lo, exec_lo, s3
	s_cbranch_vccz .LBB18_1760
; %bb.1751:
	s_wait_xcnt 0x0
	v_and_b32_e32 v3, 0x7fffffff, v8
	s_mov_b32 s3, exec_lo
                                        ; implicit-def: $vgpr1
	s_delay_alu instid0(VALU_DEP_1)
	v_cmpx_gt_u32_e32 0x43f00000, v3
	s_xor_b32 s3, exec_lo, s3
	s_cbranch_execz .LBB18_1757
; %bb.1752:
	s_mov_b32 s7, exec_lo
                                        ; implicit-def: $vgpr1
	v_cmpx_lt_u32_e32 0x3c7fffff, v3
	s_xor_b32 s7, exec_lo, s7
; %bb.1753:
	v_bfe_u32 v1, v8, 20, 1
	s_delay_alu instid0(VALU_DEP_1) | instskip(NEXT) | instid1(VALU_DEP_1)
	v_add3_u32 v1, v8, v1, 0x407ffff
	v_and_b32_e32 v3, 0xff00000, v1
	v_lshrrev_b32_e32 v1, 20, v1
	s_delay_alu instid0(VALU_DEP_2) | instskip(NEXT) | instid1(VALU_DEP_2)
	v_cmp_ne_u32_e32 vcc_lo, 0x7f00000, v3
	v_cndmask_b32_e32 v1, 0x7e, v1, vcc_lo
; %bb.1754:
	s_and_not1_saveexec_b32 s7, s7
; %bb.1755:
	v_add_f32_e64 v1, 0x46800000, |v8|
; %bb.1756:
	s_or_b32 exec_lo, exec_lo, s7
                                        ; implicit-def: $vgpr3
.LBB18_1757:
	s_and_not1_saveexec_b32 s3, s3
; %bb.1758:
	v_mov_b32_e32 v1, 0x7f
	v_cmp_lt_u32_e32 vcc_lo, 0x7f800000, v3
	s_delay_alu instid0(VALU_DEP_2)
	v_cndmask_b32_e32 v1, 0x7e, v1, vcc_lo
; %bb.1759:
	s_or_b32 exec_lo, exec_lo, s3
	v_lshrrev_b32_e32 v3, 24, v8
	s_delay_alu instid0(VALU_DEP_1)
	v_and_or_b32 v1, 0x80, v3, v1
	global_store_b8 v[6:7], v1, off
.LBB18_1760:
	s_mov_b32 s3, 0
.LBB18_1761:
	s_delay_alu instid0(SALU_CYCLE_1)
	s_and_not1_b32 vcc_lo, exec_lo, s3
	s_cbranch_vccnz .LBB18_1771
; %bb.1762:
	s_wait_xcnt 0x0
	v_and_b32_e32 v3, 0x7fffffff, v8
	s_mov_b32 s3, exec_lo
                                        ; implicit-def: $vgpr1
	s_delay_alu instid0(VALU_DEP_1)
	v_cmpx_gt_u32_e32 0x47800000, v3
	s_xor_b32 s3, exec_lo, s3
	s_cbranch_execz .LBB18_1768
; %bb.1763:
	s_mov_b32 s7, exec_lo
                                        ; implicit-def: $vgpr1
	v_cmpx_lt_u32_e32 0x387fffff, v3
	s_xor_b32 s7, exec_lo, s7
; %bb.1764:
	v_bfe_u32 v1, v8, 21, 1
	s_delay_alu instid0(VALU_DEP_1) | instskip(NEXT) | instid1(VALU_DEP_1)
	v_add3_u32 v1, v8, v1, 0x80fffff
	v_lshrrev_b32_e32 v1, 21, v1
; %bb.1765:
	s_and_not1_saveexec_b32 s7, s7
; %bb.1766:
	v_add_f32_e64 v1, 0x43000000, |v8|
; %bb.1767:
	s_or_b32 exec_lo, exec_lo, s7
                                        ; implicit-def: $vgpr3
.LBB18_1768:
	s_and_not1_saveexec_b32 s3, s3
; %bb.1769:
	v_mov_b32_e32 v1, 0x7f
	v_cmp_lt_u32_e32 vcc_lo, 0x7f800000, v3
	s_delay_alu instid0(VALU_DEP_2)
	v_cndmask_b32_e32 v1, 0x7c, v1, vcc_lo
; %bb.1770:
	s_or_b32 exec_lo, exec_lo, s3
	v_lshrrev_b32_e32 v3, 24, v8
	s_delay_alu instid0(VALU_DEP_1)
	v_and_or_b32 v1, 0x80, v3, v1
	global_store_b8 v[6:7], v1, off
.LBB18_1771:
	s_mov_b32 s3, 0
	s_mov_b32 s7, -1
.LBB18_1772:
	s_and_not1_b32 vcc_lo, exec_lo, s3
	s_mov_b32 s3, 0
	s_cbranch_vccnz .LBB18_1779
; %bb.1773:
	s_cmp_gt_i32 s2, 14
	s_mov_b32 s3, -1
	s_cbranch_scc0 .LBB18_1777
; %bb.1774:
	s_cmp_eq_u32 s2, 15
	s_mov_b32 s0, -1
	s_cbranch_scc0 .LBB18_1776
; %bb.1775:
	s_wait_xcnt 0x0
	v_bfe_u32 v1, v8, 16, 1
	v_cmp_o_f32_e32 vcc_lo, v8, v8
	s_mov_b32 s0, 0
	s_mov_b32 s7, -1
	s_delay_alu instid0(VALU_DEP_2) | instskip(NEXT) | instid1(VALU_DEP_1)
	v_add3_u32 v1, v8, v1, 0x7fff
	v_lshrrev_b32_e32 v1, 16, v1
	s_delay_alu instid0(VALU_DEP_1)
	v_cndmask_b32_e32 v1, 0x7fc0, v1, vcc_lo
	global_store_b16 v[6:7], v1, off
.LBB18_1776:
	s_mov_b32 s3, 0
.LBB18_1777:
	s_delay_alu instid0(SALU_CYCLE_1)
	s_and_b32 vcc_lo, exec_lo, s3
	s_mov_b32 s3, 0
	s_cbranch_vccz .LBB18_1779
; %bb.1778:
	s_cmp_lg_u32 s2, 11
	s_mov_b32 s3, -1
	s_cselect_b32 s0, -1, 0
.LBB18_1779:
	s_delay_alu instid0(SALU_CYCLE_1)
	s_and_b32 vcc_lo, exec_lo, s0
	s_cbranch_vccnz .LBB18_2188
; %bb.1780:
	s_and_not1_b32 vcc_lo, exec_lo, s3
	s_cbranch_vccnz .LBB18_1782
.LBB18_1781:
	v_cmp_neq_f32_e32 vcc_lo, 0, v8
	s_mov_b32 s7, -1
	s_wait_xcnt 0x0
	v_cndmask_b32_e64 v1, 0, 1, vcc_lo
	global_store_b8 v[6:7], v1, off
.LBB18_1782:
	s_mov_b32 s0, 0
	s_branch .LBB18_1829
.LBB18_1783:
	s_mov_b32 s0, 0
	s_mov_b32 s3, 0
                                        ; implicit-def: $vgpr2_vgpr3
                                        ; implicit-def: $sgpr6
                                        ; implicit-def: $vgpr14
.LBB18_1784:
	s_and_not1_b32 s2, s8, exec_lo
	s_and_b32 s1, s1, exec_lo
	s_and_b32 s0, s0, exec_lo
	;; [unrolled: 1-line block ×3, first 2 shown]
	s_or_b32 s8, s2, s1
.LBB18_1785:
	s_wait_xcnt 0x0
	s_or_b32 exec_lo, exec_lo, s9
	s_and_saveexec_b32 s1, s8
	s_cbranch_execz .LBB18_1788
; %bb.1786:
	; divergent unreachable
	s_or_b32 exec_lo, exec_lo, s1
	s_and_saveexec_b32 s1, s30
	s_delay_alu instid0(SALU_CYCLE_1)
	s_xor_b32 s1, exec_lo, s1
	s_cbranch_execnz .LBB18_1789
.LBB18_1787:
	s_or_b32 exec_lo, exec_lo, s1
	s_and_saveexec_b32 s1, s0
	s_cbranch_execnz .LBB18_1790
	s_branch .LBB18_1827
.LBB18_1788:
	s_or_b32 exec_lo, exec_lo, s1
	s_and_saveexec_b32 s1, s30
	s_delay_alu instid0(SALU_CYCLE_1)
	s_xor_b32 s1, exec_lo, s1
	s_cbranch_execz .LBB18_1787
.LBB18_1789:
	v_cmp_neq_f32_e32 vcc_lo, 0, v14
	v_cndmask_b32_e64 v0, 0, 1, vcc_lo
	global_store_b8 v[2:3], v0, off
	s_wait_xcnt 0x0
	s_or_b32 exec_lo, exec_lo, s1
	s_and_saveexec_b32 s1, s0
	s_cbranch_execz .LBB18_1827
.LBB18_1790:
	s_sext_i32_i16 s1, s6
	s_mov_b32 s0, -1
	s_cmp_lt_i32 s1, 5
	s_cbranch_scc1 .LBB18_1811
; %bb.1791:
	s_cmp_lt_i32 s1, 8
	s_cbranch_scc1 .LBB18_1801
; %bb.1792:
	;; [unrolled: 3-line block ×3, first 2 shown]
	s_cmp_gt_i32 s1, 9
	s_cbranch_scc0 .LBB18_1795
; %bb.1794:
	v_cvt_f64_f32_e32 v[4:5], v14
	v_mov_b32_e32 v6, 0
	s_mov_b32 s0, 0
	s_delay_alu instid0(VALU_DEP_1)
	v_mov_b32_e32 v7, v6
	global_store_b128 v[2:3], v[4:7], off
.LBB18_1795:
	s_and_not1_b32 vcc_lo, exec_lo, s0
	s_cbranch_vccnz .LBB18_1797
; %bb.1796:
	v_mov_b32_e32 v15, 0
	global_store_b64 v[2:3], v[14:15], off
.LBB18_1797:
	s_mov_b32 s0, 0
.LBB18_1798:
	s_delay_alu instid0(SALU_CYCLE_1)
	s_and_not1_b32 vcc_lo, exec_lo, s0
	s_cbranch_vccnz .LBB18_1800
; %bb.1799:
	v_cvt_f16_f32_e32 v0, v14
	s_delay_alu instid0(VALU_DEP_1)
	v_and_b32_e32 v0, 0xffff, v0
	global_store_b32 v[2:3], v0, off
.LBB18_1800:
	s_mov_b32 s0, 0
.LBB18_1801:
	s_delay_alu instid0(SALU_CYCLE_1)
	s_and_not1_b32 vcc_lo, exec_lo, s0
	s_cbranch_vccnz .LBB18_1810
; %bb.1802:
	s_sext_i32_i16 s1, s6
	s_mov_b32 s0, -1
	s_cmp_lt_i32 s1, 6
	s_cbranch_scc1 .LBB18_1808
; %bb.1803:
	s_cmp_gt_i32 s1, 6
	s_cbranch_scc0 .LBB18_1805
; %bb.1804:
	s_wait_loadcnt 0x0
	v_cvt_f64_f32_e32 v[0:1], v14
	s_mov_b32 s0, 0
	global_store_b64 v[2:3], v[0:1], off
.LBB18_1805:
	s_and_not1_b32 vcc_lo, exec_lo, s0
	s_cbranch_vccnz .LBB18_1807
; %bb.1806:
	global_store_b32 v[2:3], v14, off
.LBB18_1807:
	s_mov_b32 s0, 0
.LBB18_1808:
	s_delay_alu instid0(SALU_CYCLE_1)
	s_and_not1_b32 vcc_lo, exec_lo, s0
	s_cbranch_vccnz .LBB18_1810
; %bb.1809:
	s_wait_xcnt 0x0
	v_cvt_f16_f32_e32 v0, v14
	global_store_b16 v[2:3], v0, off
.LBB18_1810:
	s_mov_b32 s0, 0
.LBB18_1811:
	s_delay_alu instid0(SALU_CYCLE_1)
	s_and_not1_b32 vcc_lo, exec_lo, s0
	s_cbranch_vccnz .LBB18_1827
; %bb.1812:
	s_sext_i32_i16 s1, s6
	s_mov_b32 s0, -1
	s_cmp_lt_i32 s1, 2
	s_cbranch_scc1 .LBB18_1822
; %bb.1813:
	s_cmp_lt_i32 s1, 3
	s_cbranch_scc1 .LBB18_1819
; %bb.1814:
	s_cmp_gt_i32 s1, 3
	s_cbranch_scc0 .LBB18_1816
; %bb.1815:
	s_wait_xcnt 0x0
	v_trunc_f32_e32 v0, v14
	s_mov_b32 s0, 0
	s_wait_loadcnt 0x0
	s_delay_alu instid0(VALU_DEP_1) | instskip(NEXT) | instid1(VALU_DEP_1)
	v_mul_f32_e64 v1, 0x2f800000, |v0|
	v_floor_f32_e32 v1, v1
	s_delay_alu instid0(VALU_DEP_1) | instskip(SKIP_2) | instid1(VALU_DEP_3)
	v_fma_f32 v4, 0xcf800000, v1, |v0|
	v_ashrrev_i32_e32 v0, 31, v0
	v_cvt_u32_f32_e32 v5, v1
	v_cvt_u32_f32_e32 v4, v4
	s_delay_alu instid0(VALU_DEP_2) | instskip(NEXT) | instid1(VALU_DEP_2)
	v_dual_mov_b32 v1, v0 :: v_dual_bitop2_b32 v5, v5, v0 bitop3:0x14
	v_xor_b32_e32 v4, v4, v0
	s_delay_alu instid0(VALU_DEP_1)
	v_sub_nc_u64_e32 v[0:1], v[4:5], v[0:1]
	global_store_b64 v[2:3], v[0:1], off
.LBB18_1816:
	s_and_not1_b32 vcc_lo, exec_lo, s0
	s_cbranch_vccnz .LBB18_1818
; %bb.1817:
	s_wait_xcnt 0x0
	v_cvt_i32_f32_e32 v0, v14
	global_store_b32 v[2:3], v0, off
.LBB18_1818:
	s_mov_b32 s0, 0
.LBB18_1819:
	s_delay_alu instid0(SALU_CYCLE_1)
	s_and_not1_b32 vcc_lo, exec_lo, s0
	s_cbranch_vccnz .LBB18_1821
; %bb.1820:
	s_wait_xcnt 0x0
	v_cvt_i32_f32_e32 v0, v14
	global_store_b16 v[2:3], v0, off
.LBB18_1821:
	s_mov_b32 s0, 0
.LBB18_1822:
	s_delay_alu instid0(SALU_CYCLE_1)
	s_and_not1_b32 vcc_lo, exec_lo, s0
	s_cbranch_vccnz .LBB18_1827
; %bb.1823:
	s_sext_i32_i16 s0, s6
	s_delay_alu instid0(SALU_CYCLE_1)
	s_cmp_gt_i32 s0, 0
	s_mov_b32 s0, -1
	s_cbranch_scc0 .LBB18_1825
; %bb.1824:
	s_wait_xcnt 0x0
	v_cvt_i32_f32_e32 v0, v14
	s_mov_b32 s0, 0
	global_store_b8 v[2:3], v0, off
.LBB18_1825:
	s_and_not1_b32 vcc_lo, exec_lo, s0
	s_cbranch_vccnz .LBB18_1827
; %bb.1826:
	s_wait_xcnt 0x0
	v_trunc_f32_e32 v0, v14
	s_wait_loadcnt 0x0
	s_delay_alu instid0(VALU_DEP_1) | instskip(NEXT) | instid1(VALU_DEP_1)
	v_mul_f32_e64 v1, 0x2f800000, |v0|
	v_floor_f32_e32 v1, v1
	s_delay_alu instid0(VALU_DEP_1) | instskip(SKIP_1) | instid1(VALU_DEP_2)
	v_fma_f32 v1, 0xcf800000, v1, |v0|
	v_ashrrev_i32_e32 v0, 31, v0
	v_cvt_u32_f32_e32 v1, v1
	s_delay_alu instid0(VALU_DEP_1) | instskip(NEXT) | instid1(VALU_DEP_1)
	v_xor_b32_e32 v1, v1, v0
	v_sub_nc_u32_e32 v0, v1, v0
	global_store_b8 v[2:3], v0, off
	s_endpgm
.LBB18_1827:
	s_endpgm
.LBB18_1828:
	s_mov_b32 s0, -1
	s_mov_b32 s7, 0
.LBB18_1829:
	s_and_b32 vcc_lo, exec_lo, s0
	s_cbranch_vccz .LBB18_1868
; %bb.1830:
	s_and_b32 s0, 0xffff, s6
	s_mov_b32 s2, -1
	s_cmp_lt_i32 s0, 5
	s_cbranch_scc1 .LBB18_1851
; %bb.1831:
	s_cmp_lt_i32 s0, 8
	s_cbranch_scc1 .LBB18_1841
; %bb.1832:
	;; [unrolled: 3-line block ×3, first 2 shown]
	s_cmp_gt_i32 s0, 9
	s_cbranch_scc0 .LBB18_1835
; %bb.1834:
	s_wait_xcnt 0x0
	v_cvt_f64_f32_e32 v[16:17], v8
	v_mov_b32_e32 v18, 0
	s_mov_b32 s2, 0
	s_delay_alu instid0(VALU_DEP_1)
	v_mov_b32_e32 v19, v18
	global_store_b128 v[6:7], v[16:19], off
.LBB18_1835:
	s_and_not1_b32 vcc_lo, exec_lo, s2
	s_cbranch_vccnz .LBB18_1837
; %bb.1836:
	v_mov_b32_e32 v9, 0
	global_store_b64 v[6:7], v[8:9], off
.LBB18_1837:
	s_mov_b32 s2, 0
.LBB18_1838:
	s_delay_alu instid0(SALU_CYCLE_1)
	s_and_not1_b32 vcc_lo, exec_lo, s2
	s_cbranch_vccnz .LBB18_1840
; %bb.1839:
	s_wait_xcnt 0x0
	v_cvt_f16_f32_e32 v1, v8
	s_delay_alu instid0(VALU_DEP_1)
	v_and_b32_e32 v1, 0xffff, v1
	global_store_b32 v[6:7], v1, off
.LBB18_1840:
	s_mov_b32 s2, 0
.LBB18_1841:
	s_delay_alu instid0(SALU_CYCLE_1)
	s_and_not1_b32 vcc_lo, exec_lo, s2
	s_cbranch_vccnz .LBB18_1850
; %bb.1842:
	s_cmp_lt_i32 s0, 6
	s_mov_b32 s2, -1
	s_cbranch_scc1 .LBB18_1848
; %bb.1843:
	s_cmp_gt_i32 s0, 6
	s_cbranch_scc0 .LBB18_1845
; %bb.1844:
	s_wait_xcnt 0x0
	v_cvt_f64_f32_e32 v[16:17], v8
	s_mov_b32 s2, 0
	global_store_b64 v[6:7], v[16:17], off
.LBB18_1845:
	s_and_not1_b32 vcc_lo, exec_lo, s2
	s_cbranch_vccnz .LBB18_1847
; %bb.1846:
	global_store_b32 v[6:7], v8, off
.LBB18_1847:
	s_mov_b32 s2, 0
.LBB18_1848:
	s_delay_alu instid0(SALU_CYCLE_1)
	s_and_not1_b32 vcc_lo, exec_lo, s2
	s_cbranch_vccnz .LBB18_1850
; %bb.1849:
	s_wait_xcnt 0x0
	v_cvt_f16_f32_e32 v1, v8
	global_store_b16 v[6:7], v1, off
.LBB18_1850:
	s_mov_b32 s2, 0
.LBB18_1851:
	s_delay_alu instid0(SALU_CYCLE_1)
	s_and_not1_b32 vcc_lo, exec_lo, s2
	s_cbranch_vccnz .LBB18_1867
; %bb.1852:
	s_cmp_lt_i32 s0, 2
	s_mov_b32 s2, -1
	s_cbranch_scc1 .LBB18_1862
; %bb.1853:
	s_cmp_lt_i32 s0, 3
	s_cbranch_scc1 .LBB18_1859
; %bb.1854:
	s_cmp_gt_i32 s0, 3
	s_cbranch_scc0 .LBB18_1856
; %bb.1855:
	s_wait_xcnt 0x0
	v_trunc_f32_e32 v1, v8
	s_mov_b32 s2, 0
	s_delay_alu instid0(VALU_DEP_1) | instskip(SKIP_1) | instid1(VALU_DEP_2)
	v_mul_f32_e64 v3, 0x2f800000, |v1|
	v_ashrrev_i32_e32 v16, 31, v1
	v_floor_f32_e32 v3, v3
	s_delay_alu instid0(VALU_DEP_1) | instskip(SKIP_1) | instid1(VALU_DEP_4)
	v_fma_f32 v5, 0xcf800000, v3, |v1|
	v_cvt_u32_f32_e32 v1, v3
	v_mov_b32_e32 v17, v16
	s_delay_alu instid0(VALU_DEP_3) | instskip(NEXT) | instid1(VALU_DEP_3)
	v_cvt_u32_f32_e32 v3, v5
	v_xor_b32_e32 v19, v1, v16
	s_delay_alu instid0(VALU_DEP_2) | instskip(NEXT) | instid1(VALU_DEP_1)
	v_xor_b32_e32 v18, v3, v16
	v_sub_nc_u64_e32 v[16:17], v[18:19], v[16:17]
	global_store_b64 v[6:7], v[16:17], off
.LBB18_1856:
	s_and_not1_b32 vcc_lo, exec_lo, s2
	s_cbranch_vccnz .LBB18_1858
; %bb.1857:
	s_wait_xcnt 0x0
	v_cvt_i32_f32_e32 v1, v8
	global_store_b32 v[6:7], v1, off
.LBB18_1858:
	s_mov_b32 s2, 0
.LBB18_1859:
	s_delay_alu instid0(SALU_CYCLE_1)
	s_and_not1_b32 vcc_lo, exec_lo, s2
	s_cbranch_vccnz .LBB18_1861
; %bb.1860:
	s_wait_xcnt 0x0
	v_cvt_i32_f32_e32 v1, v8
	global_store_b16 v[6:7], v1, off
.LBB18_1861:
	s_mov_b32 s2, 0
.LBB18_1862:
	s_delay_alu instid0(SALU_CYCLE_1)
	s_and_not1_b32 vcc_lo, exec_lo, s2
	s_cbranch_vccnz .LBB18_1867
; %bb.1863:
	s_cmp_gt_i32 s0, 0
	s_mov_b32 s0, -1
	s_cbranch_scc0 .LBB18_1865
; %bb.1864:
	s_wait_xcnt 0x0
	v_cvt_i32_f32_e32 v1, v8
	s_mov_b32 s0, 0
	global_store_b8 v[6:7], v1, off
.LBB18_1865:
	s_and_not1_b32 vcc_lo, exec_lo, s0
	s_cbranch_vccnz .LBB18_1867
; %bb.1866:
	s_wait_xcnt 0x0
	v_trunc_f32_e32 v1, v8
	s_delay_alu instid0(VALU_DEP_1) | instskip(NEXT) | instid1(VALU_DEP_1)
	v_mul_f32_e64 v3, 0x2f800000, |v1|
	v_floor_f32_e32 v3, v3
	s_delay_alu instid0(VALU_DEP_1) | instskip(SKIP_1) | instid1(VALU_DEP_2)
	v_fma_f32 v3, 0xcf800000, v3, |v1|
	v_ashrrev_i32_e32 v1, 31, v1
	v_cvt_u32_f32_e32 v3, v3
	s_delay_alu instid0(VALU_DEP_1) | instskip(NEXT) | instid1(VALU_DEP_1)
	v_xor_b32_e32 v3, v3, v1
	v_sub_nc_u32_e32 v1, v3, v1
	global_store_b8 v[6:7], v1, off
.LBB18_1867:
	s_mov_b32 s7, -1
.LBB18_1868:
	s_delay_alu instid0(SALU_CYCLE_1)
	s_and_not1_b32 vcc_lo, exec_lo, s7
	s_cbranch_vccnz .LBB18_2183
; %bb.1869:
	v_mov_b32_e32 v5, 0
	s_and_b32 s2, 0xffff, s6
	s_delay_alu instid0(SALU_CYCLE_1) | instskip(NEXT) | instid1(VALU_DEP_1)
	s_cmp_lt_i32 s2, 11
	v_add_nc_u64_e32 v[4:5], s[4:5], v[4:5]
	s_cbranch_scc1 .LBB18_1947
; %bb.1870:
	s_mov_b32 s10, -1
	s_mov_b32 s3, 0
	s_cmp_gt_i32 s2, 25
	s_mov_b32 s7, 0
	s_mov_b32 s0, 0
	s_cbranch_scc0 .LBB18_1903
; %bb.1871:
	s_cmp_gt_i32 s2, 28
	s_cbranch_scc0 .LBB18_1886
; %bb.1872:
	s_cmp_gt_i32 s2, 43
	;; [unrolled: 3-line block ×3, first 2 shown]
	s_cbranch_scc0 .LBB18_1876
; %bb.1874:
	s_mov_b32 s0, -1
	s_mov_b32 s10, 0
	s_cmp_eq_u32 s2, 46
	s_cbranch_scc0 .LBB18_1876
; %bb.1875:
	s_wait_xcnt 0x0
	v_bfe_u32 v1, v10, 16, 1
	v_cmp_o_f32_e32 vcc_lo, v10, v10
	s_mov_b32 s0, 0
	s_mov_b32 s7, -1
	s_delay_alu instid0(VALU_DEP_2) | instskip(NEXT) | instid1(VALU_DEP_1)
	v_add3_u32 v1, v10, v1, 0x7fff
	v_lshrrev_b32_e32 v1, 16, v1
	s_delay_alu instid0(VALU_DEP_1)
	v_cndmask_b32_e32 v1, 0x7fc0, v1, vcc_lo
	global_store_b32 v[4:5], v1, off
.LBB18_1876:
	s_and_b32 vcc_lo, exec_lo, s10
	s_cbranch_vccz .LBB18_1881
; %bb.1877:
	s_cmp_eq_u32 s2, 44
	s_mov_b32 s0, -1
	s_cbranch_scc0 .LBB18_1881
; %bb.1878:
	s_wait_xcnt 0x0
	v_bfe_u32 v3, v10, 23, 8
	v_mov_b32_e32 v1, 0xff
	s_mov_b32 s7, exec_lo
	s_delay_alu instid0(VALU_DEP_2)
	v_cmpx_ne_u32_e32 0xff, v3
	s_cbranch_execz .LBB18_1880
; %bb.1879:
	v_and_b32_e32 v1, 0x400000, v10
	v_and_or_b32 v3, 0x3fffff, v10, v3
	s_delay_alu instid0(VALU_DEP_2) | instskip(NEXT) | instid1(VALU_DEP_2)
	v_cmp_ne_u32_e32 vcc_lo, 0, v1
	v_cmp_ne_u32_e64 s0, 0, v3
	v_lshrrev_b32_e32 v1, 23, v10
	s_and_b32 s0, vcc_lo, s0
	s_delay_alu instid0(SALU_CYCLE_1) | instskip(NEXT) | instid1(VALU_DEP_1)
	v_cndmask_b32_e64 v3, 0, 1, s0
	v_add_nc_u32_e32 v1, v1, v3
.LBB18_1880:
	s_or_b32 exec_lo, exec_lo, s7
	s_mov_b32 s0, 0
	s_mov_b32 s7, -1
	global_store_b8 v[4:5], v1, off
.LBB18_1881:
	s_mov_b32 s10, 0
.LBB18_1882:
	s_delay_alu instid0(SALU_CYCLE_1)
	s_and_b32 vcc_lo, exec_lo, s10
	s_cbranch_vccz .LBB18_1885
; %bb.1883:
	s_cmp_eq_u32 s2, 29
	s_mov_b32 s0, -1
	s_cbranch_scc0 .LBB18_1885
; %bb.1884:
	s_wait_xcnt 0x0
	v_trunc_f32_e32 v1, v10
	s_mov_b32 s0, 0
	s_mov_b32 s7, -1
	s_delay_alu instid0(VALU_DEP_1) | instskip(NEXT) | instid1(VALU_DEP_1)
	v_mul_f32_e32 v3, 0x2f800000, v1
	v_floor_f32_e32 v3, v3
	s_delay_alu instid0(VALU_DEP_1) | instskip(SKIP_1) | instid1(VALU_DEP_2)
	v_fmamk_f32 v1, v3, 0xcf800000, v1
	v_cvt_u32_f32_e32 v7, v3
	v_cvt_u32_f32_e32 v6, v1
	global_store_b64 v[4:5], v[6:7], off
.LBB18_1885:
	s_mov_b32 s10, 0
.LBB18_1886:
	s_delay_alu instid0(SALU_CYCLE_1)
	s_and_b32 vcc_lo, exec_lo, s10
	s_cbranch_vccz .LBB18_1902
; %bb.1887:
	s_cmp_lt_i32 s2, 27
	s_mov_b32 s7, -1
	s_cbranch_scc1 .LBB18_1893
; %bb.1888:
	s_cmp_gt_i32 s2, 27
	s_cbranch_scc0 .LBB18_1890
; %bb.1889:
	s_wait_xcnt 0x0
	v_cvt_u32_f32_e32 v1, v10
	s_mov_b32 s7, 0
	global_store_b32 v[4:5], v1, off
.LBB18_1890:
	s_and_not1_b32 vcc_lo, exec_lo, s7
	s_cbranch_vccnz .LBB18_1892
; %bb.1891:
	s_wait_xcnt 0x0
	v_cvt_u32_f32_e32 v1, v10
	global_store_b16 v[4:5], v1, off
.LBB18_1892:
	s_mov_b32 s7, 0
.LBB18_1893:
	s_delay_alu instid0(SALU_CYCLE_1)
	s_and_not1_b32 vcc_lo, exec_lo, s7
	s_cbranch_vccnz .LBB18_1901
; %bb.1894:
	s_wait_xcnt 0x0
	v_and_b32_e32 v1, 0x7fffffff, v10
	v_mov_b32_e32 v3, 0x80
	s_mov_b32 s7, exec_lo
	s_delay_alu instid0(VALU_DEP_2)
	v_cmpx_gt_u32_e32 0x43800000, v1
	s_cbranch_execz .LBB18_1900
; %bb.1895:
	v_cmp_lt_u32_e32 vcc_lo, 0x3bffffff, v1
	s_mov_b32 s10, 0
                                        ; implicit-def: $vgpr1
	s_and_saveexec_b32 s11, vcc_lo
	s_delay_alu instid0(SALU_CYCLE_1)
	s_xor_b32 s11, exec_lo, s11
	s_cbranch_execz .LBB18_2191
; %bb.1896:
	v_bfe_u32 v1, v10, 20, 1
	s_mov_b32 s10, exec_lo
	s_delay_alu instid0(VALU_DEP_1) | instskip(NEXT) | instid1(VALU_DEP_1)
	v_add3_u32 v1, v10, v1, 0x487ffff
	v_lshrrev_b32_e32 v1, 20, v1
	s_and_not1_saveexec_b32 s11, s11
	s_cbranch_execnz .LBB18_2192
.LBB18_1897:
	s_or_b32 exec_lo, exec_lo, s11
	v_mov_b32_e32 v3, 0
	s_and_saveexec_b32 s11, s10
.LBB18_1898:
	v_lshrrev_b32_e32 v3, 24, v10
	s_delay_alu instid0(VALU_DEP_1)
	v_and_or_b32 v3, 0x80, v3, v1
.LBB18_1899:
	s_or_b32 exec_lo, exec_lo, s11
.LBB18_1900:
	s_delay_alu instid0(SALU_CYCLE_1)
	s_or_b32 exec_lo, exec_lo, s7
	global_store_b8 v[4:5], v3, off
.LBB18_1901:
	s_mov_b32 s7, -1
.LBB18_1902:
	s_mov_b32 s10, 0
.LBB18_1903:
	s_delay_alu instid0(SALU_CYCLE_1)
	s_and_b32 vcc_lo, exec_lo, s10
	s_cbranch_vccz .LBB18_1943
; %bb.1904:
	s_cmp_gt_i32 s2, 22
	s_mov_b32 s3, -1
	s_cbranch_scc0 .LBB18_1936
; %bb.1905:
	s_cmp_lt_i32 s2, 24
	s_cbranch_scc1 .LBB18_1925
; %bb.1906:
	s_cmp_gt_i32 s2, 24
	s_cbranch_scc0 .LBB18_1914
; %bb.1907:
	s_wait_xcnt 0x0
	v_and_b32_e32 v1, 0x7fffffff, v10
	v_mov_b32_e32 v3, 0x80
	s_mov_b32 s3, exec_lo
	s_delay_alu instid0(VALU_DEP_2)
	v_cmpx_gt_u32_e32 0x47800000, v1
	s_cbranch_execz .LBB18_1913
; %bb.1908:
	v_cmp_lt_u32_e32 vcc_lo, 0x37ffffff, v1
	s_mov_b32 s7, 0
                                        ; implicit-def: $vgpr1
	s_and_saveexec_b32 s10, vcc_lo
	s_delay_alu instid0(SALU_CYCLE_1)
	s_xor_b32 s10, exec_lo, s10
	s_cbranch_execz .LBB18_2194
; %bb.1909:
	v_bfe_u32 v1, v10, 21, 1
	s_mov_b32 s7, exec_lo
	s_delay_alu instid0(VALU_DEP_1) | instskip(NEXT) | instid1(VALU_DEP_1)
	v_add3_u32 v1, v10, v1, 0x88fffff
	v_lshrrev_b32_e32 v1, 21, v1
	s_and_not1_saveexec_b32 s10, s10
	s_cbranch_execnz .LBB18_2195
.LBB18_1910:
	s_or_b32 exec_lo, exec_lo, s10
	v_mov_b32_e32 v3, 0
	s_and_saveexec_b32 s10, s7
.LBB18_1911:
	v_lshrrev_b32_e32 v3, 24, v10
	s_delay_alu instid0(VALU_DEP_1)
	v_and_or_b32 v3, 0x80, v3, v1
.LBB18_1912:
	s_or_b32 exec_lo, exec_lo, s10
.LBB18_1913:
	s_delay_alu instid0(SALU_CYCLE_1)
	s_or_b32 exec_lo, exec_lo, s3
	s_mov_b32 s3, 0
	global_store_b8 v[4:5], v3, off
.LBB18_1914:
	s_and_b32 vcc_lo, exec_lo, s3
	s_cbranch_vccz .LBB18_1924
; %bb.1915:
	s_wait_xcnt 0x0
	v_and_b32_e32 v3, 0x7fffffff, v10
	s_mov_b32 s3, exec_lo
                                        ; implicit-def: $vgpr1
	s_delay_alu instid0(VALU_DEP_1)
	v_cmpx_gt_u32_e32 0x43f00000, v3
	s_xor_b32 s3, exec_lo, s3
	s_cbranch_execz .LBB18_1921
; %bb.1916:
	s_mov_b32 s7, exec_lo
                                        ; implicit-def: $vgpr1
	v_cmpx_lt_u32_e32 0x3c7fffff, v3
	s_xor_b32 s7, exec_lo, s7
; %bb.1917:
	v_bfe_u32 v1, v10, 20, 1
	s_delay_alu instid0(VALU_DEP_1) | instskip(NEXT) | instid1(VALU_DEP_1)
	v_add3_u32 v1, v10, v1, 0x407ffff
	v_and_b32_e32 v3, 0xff00000, v1
	v_lshrrev_b32_e32 v1, 20, v1
	s_delay_alu instid0(VALU_DEP_2) | instskip(NEXT) | instid1(VALU_DEP_2)
	v_cmp_ne_u32_e32 vcc_lo, 0x7f00000, v3
	v_cndmask_b32_e32 v1, 0x7e, v1, vcc_lo
; %bb.1918:
	s_and_not1_saveexec_b32 s7, s7
; %bb.1919:
	v_add_f32_e64 v1, 0x46800000, |v10|
; %bb.1920:
	s_or_b32 exec_lo, exec_lo, s7
                                        ; implicit-def: $vgpr3
.LBB18_1921:
	s_and_not1_saveexec_b32 s3, s3
; %bb.1922:
	v_mov_b32_e32 v1, 0x7f
	v_cmp_lt_u32_e32 vcc_lo, 0x7f800000, v3
	s_delay_alu instid0(VALU_DEP_2)
	v_cndmask_b32_e32 v1, 0x7e, v1, vcc_lo
; %bb.1923:
	s_or_b32 exec_lo, exec_lo, s3
	v_lshrrev_b32_e32 v3, 24, v10
	s_delay_alu instid0(VALU_DEP_1)
	v_and_or_b32 v1, 0x80, v3, v1
	global_store_b8 v[4:5], v1, off
.LBB18_1924:
	s_mov_b32 s3, 0
.LBB18_1925:
	s_delay_alu instid0(SALU_CYCLE_1)
	s_and_not1_b32 vcc_lo, exec_lo, s3
	s_cbranch_vccnz .LBB18_1935
; %bb.1926:
	s_wait_xcnt 0x0
	v_and_b32_e32 v3, 0x7fffffff, v10
	s_mov_b32 s3, exec_lo
                                        ; implicit-def: $vgpr1
	s_delay_alu instid0(VALU_DEP_1)
	v_cmpx_gt_u32_e32 0x47800000, v3
	s_xor_b32 s3, exec_lo, s3
	s_cbranch_execz .LBB18_1932
; %bb.1927:
	s_mov_b32 s7, exec_lo
                                        ; implicit-def: $vgpr1
	v_cmpx_lt_u32_e32 0x387fffff, v3
	s_xor_b32 s7, exec_lo, s7
; %bb.1928:
	v_bfe_u32 v1, v10, 21, 1
	s_delay_alu instid0(VALU_DEP_1) | instskip(NEXT) | instid1(VALU_DEP_1)
	v_add3_u32 v1, v10, v1, 0x80fffff
	v_lshrrev_b32_e32 v1, 21, v1
; %bb.1929:
	s_and_not1_saveexec_b32 s7, s7
; %bb.1930:
	v_add_f32_e64 v1, 0x43000000, |v10|
; %bb.1931:
	s_or_b32 exec_lo, exec_lo, s7
                                        ; implicit-def: $vgpr3
.LBB18_1932:
	s_and_not1_saveexec_b32 s3, s3
; %bb.1933:
	v_mov_b32_e32 v1, 0x7f
	v_cmp_lt_u32_e32 vcc_lo, 0x7f800000, v3
	s_delay_alu instid0(VALU_DEP_2)
	v_cndmask_b32_e32 v1, 0x7c, v1, vcc_lo
; %bb.1934:
	s_or_b32 exec_lo, exec_lo, s3
	v_lshrrev_b32_e32 v3, 24, v10
	s_delay_alu instid0(VALU_DEP_1)
	v_and_or_b32 v1, 0x80, v3, v1
	global_store_b8 v[4:5], v1, off
.LBB18_1935:
	s_mov_b32 s3, 0
	s_mov_b32 s7, -1
.LBB18_1936:
	s_and_not1_b32 vcc_lo, exec_lo, s3
	s_mov_b32 s3, 0
	s_cbranch_vccnz .LBB18_1943
; %bb.1937:
	s_cmp_gt_i32 s2, 14
	s_mov_b32 s3, -1
	s_cbranch_scc0 .LBB18_1941
; %bb.1938:
	s_cmp_eq_u32 s2, 15
	s_mov_b32 s0, -1
	s_cbranch_scc0 .LBB18_1940
; %bb.1939:
	s_wait_xcnt 0x0
	v_bfe_u32 v1, v10, 16, 1
	v_cmp_o_f32_e32 vcc_lo, v10, v10
	s_mov_b32 s0, 0
	s_mov_b32 s7, -1
	s_delay_alu instid0(VALU_DEP_2) | instskip(NEXT) | instid1(VALU_DEP_1)
	v_add3_u32 v1, v10, v1, 0x7fff
	v_lshrrev_b32_e32 v1, 16, v1
	s_delay_alu instid0(VALU_DEP_1)
	v_cndmask_b32_e32 v1, 0x7fc0, v1, vcc_lo
	global_store_b16 v[4:5], v1, off
.LBB18_1940:
	s_mov_b32 s3, 0
.LBB18_1941:
	s_delay_alu instid0(SALU_CYCLE_1)
	s_and_b32 vcc_lo, exec_lo, s3
	s_mov_b32 s3, 0
	s_cbranch_vccz .LBB18_1943
; %bb.1942:
	s_cmp_lg_u32 s2, 11
	s_mov_b32 s3, -1
	s_cselect_b32 s0, -1, 0
.LBB18_1943:
	s_delay_alu instid0(SALU_CYCLE_1)
	s_and_b32 vcc_lo, exec_lo, s0
	s_cbranch_vccnz .LBB18_2193
; %bb.1944:
	s_and_not1_b32 vcc_lo, exec_lo, s3
	s_cbranch_vccnz .LBB18_1946
.LBB18_1945:
	v_cmp_neq_f32_e32 vcc_lo, 0, v10
	s_mov_b32 s7, -1
	s_wait_xcnt 0x0
	v_cndmask_b32_e64 v1, 0, 1, vcc_lo
	global_store_b8 v[4:5], v1, off
.LBB18_1946:
	s_mov_b32 s0, 0
	s_branch .LBB18_1948
.LBB18_1947:
	s_mov_b32 s0, -1
	s_mov_b32 s7, 0
.LBB18_1948:
	s_and_b32 vcc_lo, exec_lo, s0
	s_cbranch_vccz .LBB18_1987
; %bb.1949:
	s_cmp_lt_i32 s2, 5
	s_mov_b32 s0, -1
	s_cbranch_scc1 .LBB18_1970
; %bb.1950:
	s_cmp_lt_i32 s2, 8
	s_cbranch_scc1 .LBB18_1960
; %bb.1951:
	s_cmp_lt_i32 s2, 9
	s_cbranch_scc1 .LBB18_1957
; %bb.1952:
	s_cmp_gt_i32 s2, 9
	s_cbranch_scc0 .LBB18_1954
; %bb.1953:
	s_wait_xcnt 0x0
	v_cvt_f64_f32_e32 v[6:7], v10
	v_mov_b32_e32 v8, 0
	s_mov_b32 s0, 0
	s_delay_alu instid0(VALU_DEP_1)
	v_mov_b32_e32 v9, v8
	global_store_b128 v[4:5], v[6:9], off
.LBB18_1954:
	s_and_not1_b32 vcc_lo, exec_lo, s0
	s_cbranch_vccnz .LBB18_1956
; %bb.1955:
	v_mov_b32_e32 v11, 0
	global_store_b64 v[4:5], v[10:11], off
.LBB18_1956:
	s_mov_b32 s0, 0
.LBB18_1957:
	s_delay_alu instid0(SALU_CYCLE_1)
	s_and_not1_b32 vcc_lo, exec_lo, s0
	s_cbranch_vccnz .LBB18_1959
; %bb.1958:
	s_wait_xcnt 0x0
	v_cvt_f16_f32_e32 v1, v10
	s_delay_alu instid0(VALU_DEP_1)
	v_and_b32_e32 v1, 0xffff, v1
	global_store_b32 v[4:5], v1, off
.LBB18_1959:
	s_mov_b32 s0, 0
.LBB18_1960:
	s_delay_alu instid0(SALU_CYCLE_1)
	s_and_not1_b32 vcc_lo, exec_lo, s0
	s_cbranch_vccnz .LBB18_1969
; %bb.1961:
	s_cmp_lt_i32 s2, 6
	s_mov_b32 s0, -1
	s_cbranch_scc1 .LBB18_1967
; %bb.1962:
	s_cmp_gt_i32 s2, 6
	s_cbranch_scc0 .LBB18_1964
; %bb.1963:
	s_wait_xcnt 0x0
	v_cvt_f64_f32_e32 v[6:7], v10
	s_mov_b32 s0, 0
	global_store_b64 v[4:5], v[6:7], off
.LBB18_1964:
	s_and_not1_b32 vcc_lo, exec_lo, s0
	s_cbranch_vccnz .LBB18_1966
; %bb.1965:
	global_store_b32 v[4:5], v10, off
.LBB18_1966:
	s_mov_b32 s0, 0
.LBB18_1967:
	s_delay_alu instid0(SALU_CYCLE_1)
	s_and_not1_b32 vcc_lo, exec_lo, s0
	s_cbranch_vccnz .LBB18_1969
; %bb.1968:
	s_wait_xcnt 0x0
	v_cvt_f16_f32_e32 v1, v10
	global_store_b16 v[4:5], v1, off
.LBB18_1969:
	s_mov_b32 s0, 0
.LBB18_1970:
	s_delay_alu instid0(SALU_CYCLE_1)
	s_and_not1_b32 vcc_lo, exec_lo, s0
	s_cbranch_vccnz .LBB18_1986
; %bb.1971:
	s_cmp_lt_i32 s2, 2
	s_mov_b32 s0, -1
	s_cbranch_scc1 .LBB18_1981
; %bb.1972:
	s_cmp_lt_i32 s2, 3
	s_cbranch_scc1 .LBB18_1978
; %bb.1973:
	s_cmp_gt_i32 s2, 3
	s_cbranch_scc0 .LBB18_1975
; %bb.1974:
	s_wait_xcnt 0x0
	v_trunc_f32_e32 v1, v10
	s_mov_b32 s0, 0
	s_delay_alu instid0(VALU_DEP_1) | instskip(SKIP_1) | instid1(VALU_DEP_2)
	v_mul_f32_e64 v3, 0x2f800000, |v1|
	v_ashrrev_i32_e32 v6, 31, v1
	v_floor_f32_e32 v3, v3
	s_delay_alu instid0(VALU_DEP_1) | instskip(SKIP_1) | instid1(VALU_DEP_2)
	v_fma_f32 v7, 0xcf800000, v3, |v1|
	v_cvt_u32_f32_e32 v1, v3
	v_cvt_u32_f32_e32 v3, v7
	s_delay_alu instid0(VALU_DEP_2) | instskip(NEXT) | instid1(VALU_DEP_2)
	v_dual_mov_b32 v7, v6 :: v_dual_bitop2_b32 v9, v1, v6 bitop3:0x14
	v_xor_b32_e32 v8, v3, v6
	s_delay_alu instid0(VALU_DEP_1)
	v_sub_nc_u64_e32 v[6:7], v[8:9], v[6:7]
	global_store_b64 v[4:5], v[6:7], off
.LBB18_1975:
	s_and_not1_b32 vcc_lo, exec_lo, s0
	s_cbranch_vccnz .LBB18_1977
; %bb.1976:
	s_wait_xcnt 0x0
	v_cvt_i32_f32_e32 v1, v10
	global_store_b32 v[4:5], v1, off
.LBB18_1977:
	s_mov_b32 s0, 0
.LBB18_1978:
	s_delay_alu instid0(SALU_CYCLE_1)
	s_and_not1_b32 vcc_lo, exec_lo, s0
	s_cbranch_vccnz .LBB18_1980
; %bb.1979:
	s_wait_xcnt 0x0
	v_cvt_i32_f32_e32 v1, v10
	global_store_b16 v[4:5], v1, off
.LBB18_1980:
	s_mov_b32 s0, 0
.LBB18_1981:
	s_delay_alu instid0(SALU_CYCLE_1)
	s_and_not1_b32 vcc_lo, exec_lo, s0
	s_cbranch_vccnz .LBB18_1986
; %bb.1982:
	s_cmp_gt_i32 s2, 0
	s_mov_b32 s0, -1
	s_cbranch_scc0 .LBB18_1984
; %bb.1983:
	s_wait_xcnt 0x0
	v_cvt_i32_f32_e32 v1, v10
	s_mov_b32 s0, 0
	global_store_b8 v[4:5], v1, off
.LBB18_1984:
	s_and_not1_b32 vcc_lo, exec_lo, s0
	s_cbranch_vccnz .LBB18_1986
; %bb.1985:
	s_wait_xcnt 0x0
	v_trunc_f32_e32 v1, v10
	s_delay_alu instid0(VALU_DEP_1) | instskip(NEXT) | instid1(VALU_DEP_1)
	v_mul_f32_e64 v3, 0x2f800000, |v1|
	v_floor_f32_e32 v3, v3
	s_delay_alu instid0(VALU_DEP_1) | instskip(SKIP_1) | instid1(VALU_DEP_2)
	v_fma_f32 v3, 0xcf800000, v3, |v1|
	v_ashrrev_i32_e32 v1, 31, v1
	v_cvt_u32_f32_e32 v3, v3
	s_delay_alu instid0(VALU_DEP_1) | instskip(NEXT) | instid1(VALU_DEP_1)
	v_xor_b32_e32 v3, v3, v1
	v_sub_nc_u32_e32 v1, v3, v1
	global_store_b8 v[4:5], v1, off
.LBB18_1986:
	s_mov_b32 s7, -1
.LBB18_1987:
	s_delay_alu instid0(SALU_CYCLE_1)
	s_and_not1_b32 vcc_lo, exec_lo, s7
	s_cbranch_vccnz .LBB18_2183
; %bb.1988:
	s_wait_xcnt 0x0
	v_mov_b32_e32 v3, 0
	s_cmp_lt_i32 s2, 11
	s_delay_alu instid0(VALU_DEP_1)
	v_add_nc_u64_e32 v[2:3], s[4:5], v[2:3]
	s_cbranch_scc1 .LBB18_2066
; %bb.1989:
	s_mov_b32 s10, -1
	s_mov_b32 s3, 0
	s_cmp_gt_i32 s2, 25
	s_mov_b32 s7, 0
	s_mov_b32 s0, 0
	s_cbranch_scc0 .LBB18_2022
; %bb.1990:
	s_cmp_gt_i32 s2, 28
	s_cbranch_scc0 .LBB18_2005
; %bb.1991:
	s_cmp_gt_i32 s2, 43
	;; [unrolled: 3-line block ×3, first 2 shown]
	s_cbranch_scc0 .LBB18_1995
; %bb.1993:
	s_mov_b32 s0, -1
	s_mov_b32 s10, 0
	s_cmp_eq_u32 s2, 46
	s_cbranch_scc0 .LBB18_1995
; %bb.1994:
	v_bfe_u32 v1, v12, 16, 1
	v_cmp_o_f32_e32 vcc_lo, v12, v12
	s_mov_b32 s0, 0
	s_mov_b32 s7, -1
	s_delay_alu instid0(VALU_DEP_2) | instskip(NEXT) | instid1(VALU_DEP_1)
	v_add3_u32 v1, v12, v1, 0x7fff
	v_lshrrev_b32_e32 v1, 16, v1
	s_delay_alu instid0(VALU_DEP_1)
	v_cndmask_b32_e32 v1, 0x7fc0, v1, vcc_lo
	global_store_b32 v[2:3], v1, off
.LBB18_1995:
	s_and_b32 vcc_lo, exec_lo, s10
	s_cbranch_vccz .LBB18_2000
; %bb.1996:
	s_cmp_eq_u32 s2, 44
	s_mov_b32 s0, -1
	s_cbranch_scc0 .LBB18_2000
; %bb.1997:
	v_bfe_u32 v4, v12, 23, 8
	s_wait_xcnt 0x0
	v_mov_b32_e32 v1, 0xff
	s_mov_b32 s7, exec_lo
	s_delay_alu instid0(VALU_DEP_2)
	v_cmpx_ne_u32_e32 0xff, v4
	s_cbranch_execz .LBB18_1999
; %bb.1998:
	v_and_b32_e32 v1, 0x400000, v12
	v_and_or_b32 v4, 0x3fffff, v12, v4
	s_delay_alu instid0(VALU_DEP_2) | instskip(NEXT) | instid1(VALU_DEP_2)
	v_cmp_ne_u32_e32 vcc_lo, 0, v1
	v_cmp_ne_u32_e64 s0, 0, v4
	v_lshrrev_b32_e32 v1, 23, v12
	s_and_b32 s0, vcc_lo, s0
	s_delay_alu instid0(SALU_CYCLE_1) | instskip(NEXT) | instid1(VALU_DEP_1)
	v_cndmask_b32_e64 v4, 0, 1, s0
	v_add_nc_u32_e32 v1, v1, v4
.LBB18_1999:
	s_or_b32 exec_lo, exec_lo, s7
	s_mov_b32 s0, 0
	s_mov_b32 s7, -1
	global_store_b8 v[2:3], v1, off
.LBB18_2000:
	s_mov_b32 s10, 0
.LBB18_2001:
	s_delay_alu instid0(SALU_CYCLE_1)
	s_and_b32 vcc_lo, exec_lo, s10
	s_cbranch_vccz .LBB18_2004
; %bb.2002:
	s_cmp_eq_u32 s2, 29
	s_mov_b32 s0, -1
	s_cbranch_scc0 .LBB18_2004
; %bb.2003:
	s_wait_xcnt 0x0
	v_trunc_f32_e32 v1, v12
	s_mov_b32 s0, 0
	s_mov_b32 s7, -1
	s_delay_alu instid0(VALU_DEP_1) | instskip(NEXT) | instid1(VALU_DEP_1)
	v_mul_f32_e32 v4, 0x2f800000, v1
	v_floor_f32_e32 v4, v4
	s_delay_alu instid0(VALU_DEP_1) | instskip(SKIP_1) | instid1(VALU_DEP_2)
	v_fmamk_f32 v1, v4, 0xcf800000, v1
	v_cvt_u32_f32_e32 v5, v4
	v_cvt_u32_f32_e32 v4, v1
	global_store_b64 v[2:3], v[4:5], off
.LBB18_2004:
	s_mov_b32 s10, 0
.LBB18_2005:
	s_delay_alu instid0(SALU_CYCLE_1)
	s_and_b32 vcc_lo, exec_lo, s10
	s_cbranch_vccz .LBB18_2021
; %bb.2006:
	s_cmp_lt_i32 s2, 27
	s_mov_b32 s7, -1
	s_cbranch_scc1 .LBB18_2012
; %bb.2007:
	s_wait_xcnt 0x0
	v_cvt_u32_f32_e32 v1, v12
	s_cmp_gt_i32 s2, 27
	s_cbranch_scc0 .LBB18_2009
; %bb.2008:
	s_mov_b32 s7, 0
	global_store_b32 v[2:3], v1, off
.LBB18_2009:
	s_and_not1_b32 vcc_lo, exec_lo, s7
	s_cbranch_vccnz .LBB18_2011
; %bb.2010:
	global_store_b16 v[2:3], v1, off
.LBB18_2011:
	s_mov_b32 s7, 0
.LBB18_2012:
	s_delay_alu instid0(SALU_CYCLE_1)
	s_and_not1_b32 vcc_lo, exec_lo, s7
	s_cbranch_vccnz .LBB18_2020
; %bb.2013:
	s_wait_xcnt 0x0
	v_and_b32_e32 v1, 0x7fffffff, v12
	v_mov_b32_e32 v4, 0x80
	s_mov_b32 s7, exec_lo
	s_delay_alu instid0(VALU_DEP_2)
	v_cmpx_gt_u32_e32 0x43800000, v1
	s_cbranch_execz .LBB18_2019
; %bb.2014:
	v_cmp_lt_u32_e32 vcc_lo, 0x3bffffff, v1
	s_mov_b32 s10, 0
                                        ; implicit-def: $vgpr1
	s_and_saveexec_b32 s11, vcc_lo
	s_delay_alu instid0(SALU_CYCLE_1)
	s_xor_b32 s11, exec_lo, s11
	s_cbranch_execz .LBB18_2196
; %bb.2015:
	v_bfe_u32 v1, v12, 20, 1
	s_mov_b32 s10, exec_lo
	s_delay_alu instid0(VALU_DEP_1) | instskip(NEXT) | instid1(VALU_DEP_1)
	v_add3_u32 v1, v12, v1, 0x487ffff
	v_lshrrev_b32_e32 v1, 20, v1
	s_and_not1_saveexec_b32 s11, s11
	s_cbranch_execnz .LBB18_2197
.LBB18_2016:
	s_or_b32 exec_lo, exec_lo, s11
	v_mov_b32_e32 v4, 0
	s_and_saveexec_b32 s11, s10
.LBB18_2017:
	v_lshrrev_b32_e32 v4, 24, v12
	s_delay_alu instid0(VALU_DEP_1)
	v_and_or_b32 v4, 0x80, v4, v1
.LBB18_2018:
	s_or_b32 exec_lo, exec_lo, s11
.LBB18_2019:
	s_delay_alu instid0(SALU_CYCLE_1)
	s_or_b32 exec_lo, exec_lo, s7
	global_store_b8 v[2:3], v4, off
.LBB18_2020:
	s_mov_b32 s7, -1
.LBB18_2021:
	s_mov_b32 s10, 0
.LBB18_2022:
	s_delay_alu instid0(SALU_CYCLE_1)
	s_and_b32 vcc_lo, exec_lo, s10
	s_cbranch_vccz .LBB18_2062
; %bb.2023:
	s_cmp_gt_i32 s2, 22
	s_mov_b32 s3, -1
	s_cbranch_scc0 .LBB18_2055
; %bb.2024:
	s_cmp_lt_i32 s2, 24
	s_cbranch_scc1 .LBB18_2044
; %bb.2025:
	s_cmp_gt_i32 s2, 24
	s_cbranch_scc0 .LBB18_2033
; %bb.2026:
	s_wait_xcnt 0x0
	v_and_b32_e32 v1, 0x7fffffff, v12
	v_mov_b32_e32 v4, 0x80
	s_mov_b32 s3, exec_lo
	s_delay_alu instid0(VALU_DEP_2)
	v_cmpx_gt_u32_e32 0x47800000, v1
	s_cbranch_execz .LBB18_2032
; %bb.2027:
	v_cmp_lt_u32_e32 vcc_lo, 0x37ffffff, v1
	s_mov_b32 s7, 0
                                        ; implicit-def: $vgpr1
	s_and_saveexec_b32 s10, vcc_lo
	s_delay_alu instid0(SALU_CYCLE_1)
	s_xor_b32 s10, exec_lo, s10
	s_cbranch_execz .LBB18_2199
; %bb.2028:
	v_bfe_u32 v1, v12, 21, 1
	s_mov_b32 s7, exec_lo
	s_delay_alu instid0(VALU_DEP_1) | instskip(NEXT) | instid1(VALU_DEP_1)
	v_add3_u32 v1, v12, v1, 0x88fffff
	v_lshrrev_b32_e32 v1, 21, v1
	s_and_not1_saveexec_b32 s10, s10
	s_cbranch_execnz .LBB18_2200
.LBB18_2029:
	s_or_b32 exec_lo, exec_lo, s10
	v_mov_b32_e32 v4, 0
	s_and_saveexec_b32 s10, s7
.LBB18_2030:
	v_lshrrev_b32_e32 v4, 24, v12
	s_delay_alu instid0(VALU_DEP_1)
	v_and_or_b32 v4, 0x80, v4, v1
.LBB18_2031:
	s_or_b32 exec_lo, exec_lo, s10
.LBB18_2032:
	s_delay_alu instid0(SALU_CYCLE_1)
	s_or_b32 exec_lo, exec_lo, s3
	s_mov_b32 s3, 0
	global_store_b8 v[2:3], v4, off
.LBB18_2033:
	s_and_b32 vcc_lo, exec_lo, s3
	s_cbranch_vccz .LBB18_2043
; %bb.2034:
	s_wait_xcnt 0x0
	v_and_b32_e32 v4, 0x7fffffff, v12
	s_mov_b32 s3, exec_lo
                                        ; implicit-def: $vgpr1
	s_delay_alu instid0(VALU_DEP_1)
	v_cmpx_gt_u32_e32 0x43f00000, v4
	s_xor_b32 s3, exec_lo, s3
	s_cbranch_execz .LBB18_2040
; %bb.2035:
	s_mov_b32 s7, exec_lo
                                        ; implicit-def: $vgpr1
	v_cmpx_lt_u32_e32 0x3c7fffff, v4
	s_xor_b32 s7, exec_lo, s7
; %bb.2036:
	v_bfe_u32 v1, v12, 20, 1
	s_delay_alu instid0(VALU_DEP_1) | instskip(NEXT) | instid1(VALU_DEP_1)
	v_add3_u32 v1, v12, v1, 0x407ffff
	v_and_b32_e32 v4, 0xff00000, v1
	v_lshrrev_b32_e32 v1, 20, v1
	s_delay_alu instid0(VALU_DEP_2) | instskip(NEXT) | instid1(VALU_DEP_2)
	v_cmp_ne_u32_e32 vcc_lo, 0x7f00000, v4
	v_cndmask_b32_e32 v1, 0x7e, v1, vcc_lo
; %bb.2037:
	s_and_not1_saveexec_b32 s7, s7
; %bb.2038:
	v_add_f32_e64 v1, 0x46800000, |v12|
; %bb.2039:
	s_or_b32 exec_lo, exec_lo, s7
                                        ; implicit-def: $vgpr4
.LBB18_2040:
	s_and_not1_saveexec_b32 s3, s3
; %bb.2041:
	v_mov_b32_e32 v1, 0x7f
	v_cmp_lt_u32_e32 vcc_lo, 0x7f800000, v4
	s_delay_alu instid0(VALU_DEP_2)
	v_cndmask_b32_e32 v1, 0x7e, v1, vcc_lo
; %bb.2042:
	s_or_b32 exec_lo, exec_lo, s3
	v_lshrrev_b32_e32 v4, 24, v12
	s_delay_alu instid0(VALU_DEP_1)
	v_and_or_b32 v1, 0x80, v4, v1
	global_store_b8 v[2:3], v1, off
.LBB18_2043:
	s_mov_b32 s3, 0
.LBB18_2044:
	s_delay_alu instid0(SALU_CYCLE_1)
	s_and_not1_b32 vcc_lo, exec_lo, s3
	s_cbranch_vccnz .LBB18_2054
; %bb.2045:
	s_wait_xcnt 0x0
	v_and_b32_e32 v4, 0x7fffffff, v12
	s_mov_b32 s3, exec_lo
                                        ; implicit-def: $vgpr1
	s_delay_alu instid0(VALU_DEP_1)
	v_cmpx_gt_u32_e32 0x47800000, v4
	s_xor_b32 s3, exec_lo, s3
	s_cbranch_execz .LBB18_2051
; %bb.2046:
	s_mov_b32 s7, exec_lo
                                        ; implicit-def: $vgpr1
	v_cmpx_lt_u32_e32 0x387fffff, v4
	s_xor_b32 s7, exec_lo, s7
; %bb.2047:
	v_bfe_u32 v1, v12, 21, 1
	s_delay_alu instid0(VALU_DEP_1) | instskip(NEXT) | instid1(VALU_DEP_1)
	v_add3_u32 v1, v12, v1, 0x80fffff
	v_lshrrev_b32_e32 v1, 21, v1
; %bb.2048:
	s_and_not1_saveexec_b32 s7, s7
; %bb.2049:
	v_add_f32_e64 v1, 0x43000000, |v12|
; %bb.2050:
	s_or_b32 exec_lo, exec_lo, s7
                                        ; implicit-def: $vgpr4
.LBB18_2051:
	s_and_not1_saveexec_b32 s3, s3
; %bb.2052:
	v_mov_b32_e32 v1, 0x7f
	v_cmp_lt_u32_e32 vcc_lo, 0x7f800000, v4
	s_delay_alu instid0(VALU_DEP_2)
	v_cndmask_b32_e32 v1, 0x7c, v1, vcc_lo
; %bb.2053:
	s_or_b32 exec_lo, exec_lo, s3
	v_lshrrev_b32_e32 v4, 24, v12
	s_delay_alu instid0(VALU_DEP_1)
	v_and_or_b32 v1, 0x80, v4, v1
	global_store_b8 v[2:3], v1, off
.LBB18_2054:
	s_mov_b32 s3, 0
	s_mov_b32 s7, -1
.LBB18_2055:
	s_and_not1_b32 vcc_lo, exec_lo, s3
	s_mov_b32 s3, 0
	s_cbranch_vccnz .LBB18_2062
; %bb.2056:
	s_cmp_gt_i32 s2, 14
	s_mov_b32 s3, -1
	s_cbranch_scc0 .LBB18_2060
; %bb.2057:
	s_cmp_eq_u32 s2, 15
	s_mov_b32 s0, -1
	s_cbranch_scc0 .LBB18_2059
; %bb.2058:
	s_wait_xcnt 0x0
	v_bfe_u32 v1, v12, 16, 1
	v_cmp_o_f32_e32 vcc_lo, v12, v12
	s_mov_b32 s0, 0
	s_mov_b32 s7, -1
	s_delay_alu instid0(VALU_DEP_2) | instskip(NEXT) | instid1(VALU_DEP_1)
	v_add3_u32 v1, v12, v1, 0x7fff
	v_lshrrev_b32_e32 v1, 16, v1
	s_delay_alu instid0(VALU_DEP_1)
	v_cndmask_b32_e32 v1, 0x7fc0, v1, vcc_lo
	global_store_b16 v[2:3], v1, off
.LBB18_2059:
	s_mov_b32 s3, 0
.LBB18_2060:
	s_delay_alu instid0(SALU_CYCLE_1)
	s_and_b32 vcc_lo, exec_lo, s3
	s_mov_b32 s3, 0
	s_cbranch_vccz .LBB18_2062
; %bb.2061:
	s_cmp_lg_u32 s2, 11
	s_mov_b32 s3, -1
	s_cselect_b32 s0, -1, 0
.LBB18_2062:
	s_delay_alu instid0(SALU_CYCLE_1)
	s_and_b32 vcc_lo, exec_lo, s0
	s_cbranch_vccnz .LBB18_2198
; %bb.2063:
	s_and_not1_b32 vcc_lo, exec_lo, s3
	s_cbranch_vccnz .LBB18_2065
.LBB18_2064:
	v_cmp_neq_f32_e32 vcc_lo, 0, v12
	s_mov_b32 s7, -1
	s_wait_xcnt 0x0
	v_cndmask_b32_e64 v1, 0, 1, vcc_lo
	global_store_b8 v[2:3], v1, off
.LBB18_2065:
	s_mov_b32 s0, 0
	s_branch .LBB18_2067
.LBB18_2066:
	s_mov_b32 s0, -1
	s_mov_b32 s7, 0
.LBB18_2067:
	s_and_b32 vcc_lo, exec_lo, s0
	s_cbranch_vccz .LBB18_2106
; %bb.2068:
	s_cmp_lt_i32 s2, 5
	s_mov_b32 s0, -1
	s_cbranch_scc1 .LBB18_2089
; %bb.2069:
	s_cmp_lt_i32 s2, 8
	s_cbranch_scc1 .LBB18_2079
; %bb.2070:
	s_cmp_lt_i32 s2, 9
	s_cbranch_scc1 .LBB18_2076
; %bb.2071:
	s_cmp_gt_i32 s2, 9
	s_cbranch_scc0 .LBB18_2073
; %bb.2072:
	s_wait_xcnt 0x0
	v_cvt_f64_f32_e32 v[4:5], v12
	v_mov_b32_e32 v6, 0
	s_mov_b32 s0, 0
	s_delay_alu instid0(VALU_DEP_1)
	v_mov_b32_e32 v7, v6
	global_store_b128 v[2:3], v[4:7], off
.LBB18_2073:
	s_and_not1_b32 vcc_lo, exec_lo, s0
	s_cbranch_vccnz .LBB18_2075
; %bb.2074:
	v_mov_b32_e32 v13, 0
	global_store_b64 v[2:3], v[12:13], off
.LBB18_2075:
	s_mov_b32 s0, 0
.LBB18_2076:
	s_delay_alu instid0(SALU_CYCLE_1)
	s_and_not1_b32 vcc_lo, exec_lo, s0
	s_cbranch_vccnz .LBB18_2078
; %bb.2077:
	s_wait_xcnt 0x0
	v_cvt_f16_f32_e32 v1, v12
	s_delay_alu instid0(VALU_DEP_1)
	v_and_b32_e32 v1, 0xffff, v1
	global_store_b32 v[2:3], v1, off
.LBB18_2078:
	s_mov_b32 s0, 0
.LBB18_2079:
	s_delay_alu instid0(SALU_CYCLE_1)
	s_and_not1_b32 vcc_lo, exec_lo, s0
	s_cbranch_vccnz .LBB18_2088
; %bb.2080:
	s_cmp_lt_i32 s2, 6
	s_mov_b32 s0, -1
	s_cbranch_scc1 .LBB18_2086
; %bb.2081:
	s_cmp_gt_i32 s2, 6
	s_cbranch_scc0 .LBB18_2083
; %bb.2082:
	s_wait_xcnt 0x0
	v_cvt_f64_f32_e32 v[4:5], v12
	s_mov_b32 s0, 0
	global_store_b64 v[2:3], v[4:5], off
.LBB18_2083:
	s_and_not1_b32 vcc_lo, exec_lo, s0
	s_cbranch_vccnz .LBB18_2085
; %bb.2084:
	global_store_b32 v[2:3], v12, off
.LBB18_2085:
	s_mov_b32 s0, 0
.LBB18_2086:
	s_delay_alu instid0(SALU_CYCLE_1)
	s_and_not1_b32 vcc_lo, exec_lo, s0
	s_cbranch_vccnz .LBB18_2088
; %bb.2087:
	s_wait_xcnt 0x0
	v_cvt_f16_f32_e32 v1, v12
	global_store_b16 v[2:3], v1, off
.LBB18_2088:
	s_mov_b32 s0, 0
.LBB18_2089:
	s_delay_alu instid0(SALU_CYCLE_1)
	s_and_not1_b32 vcc_lo, exec_lo, s0
	s_cbranch_vccnz .LBB18_2105
; %bb.2090:
	s_cmp_lt_i32 s2, 2
	s_mov_b32 s0, -1
	s_cbranch_scc1 .LBB18_2100
; %bb.2091:
	s_cmp_lt_i32 s2, 3
	s_cbranch_scc1 .LBB18_2097
; %bb.2092:
	s_cmp_gt_i32 s2, 3
	s_cbranch_scc0 .LBB18_2094
; %bb.2093:
	s_wait_xcnt 0x0
	v_trunc_f32_e32 v1, v12
	s_mov_b32 s0, 0
	s_delay_alu instid0(VALU_DEP_1) | instskip(NEXT) | instid1(VALU_DEP_1)
	v_mul_f32_e64 v4, 0x2f800000, |v1|
	v_floor_f32_e32 v5, v4
	v_ashrrev_i32_e32 v4, 31, v1
	s_delay_alu instid0(VALU_DEP_2) | instskip(SKIP_1) | instid1(VALU_DEP_3)
	v_fma_f32 v6, 0xcf800000, v5, |v1|
	v_cvt_u32_f32_e32 v1, v5
	v_mov_b32_e32 v5, v4
	s_delay_alu instid0(VALU_DEP_3) | instskip(NEXT) | instid1(VALU_DEP_3)
	v_cvt_u32_f32_e32 v6, v6
	v_xor_b32_e32 v7, v1, v4
	s_delay_alu instid0(VALU_DEP_2) | instskip(NEXT) | instid1(VALU_DEP_1)
	v_xor_b32_e32 v6, v6, v4
	v_sub_nc_u64_e32 v[4:5], v[6:7], v[4:5]
	global_store_b64 v[2:3], v[4:5], off
.LBB18_2094:
	s_and_not1_b32 vcc_lo, exec_lo, s0
	s_cbranch_vccnz .LBB18_2096
; %bb.2095:
	s_wait_xcnt 0x0
	v_cvt_i32_f32_e32 v1, v12
	global_store_b32 v[2:3], v1, off
.LBB18_2096:
	s_mov_b32 s0, 0
.LBB18_2097:
	s_delay_alu instid0(SALU_CYCLE_1)
	s_and_not1_b32 vcc_lo, exec_lo, s0
	s_cbranch_vccnz .LBB18_2099
; %bb.2098:
	s_wait_xcnt 0x0
	v_cvt_i32_f32_e32 v1, v12
	global_store_b16 v[2:3], v1, off
.LBB18_2099:
	s_mov_b32 s0, 0
.LBB18_2100:
	s_delay_alu instid0(SALU_CYCLE_1)
	s_and_not1_b32 vcc_lo, exec_lo, s0
	s_cbranch_vccnz .LBB18_2105
; %bb.2101:
	s_cmp_gt_i32 s2, 0
	s_mov_b32 s0, -1
	s_cbranch_scc0 .LBB18_2103
; %bb.2102:
	s_wait_xcnt 0x0
	v_cvt_i32_f32_e32 v1, v12
	s_mov_b32 s0, 0
	global_store_b8 v[2:3], v1, off
.LBB18_2103:
	s_and_not1_b32 vcc_lo, exec_lo, s0
	s_cbranch_vccnz .LBB18_2105
; %bb.2104:
	s_wait_xcnt 0x0
	v_trunc_f32_e32 v1, v12
	s_delay_alu instid0(VALU_DEP_1) | instskip(NEXT) | instid1(VALU_DEP_1)
	v_mul_f32_e64 v4, 0x2f800000, |v1|
	v_floor_f32_e32 v4, v4
	s_delay_alu instid0(VALU_DEP_1) | instskip(SKIP_1) | instid1(VALU_DEP_2)
	v_fma_f32 v4, 0xcf800000, v4, |v1|
	v_ashrrev_i32_e32 v1, 31, v1
	v_cvt_u32_f32_e32 v4, v4
	s_delay_alu instid0(VALU_DEP_1) | instskip(NEXT) | instid1(VALU_DEP_1)
	v_xor_b32_e32 v4, v4, v1
	v_sub_nc_u32_e32 v1, v4, v1
	global_store_b8 v[2:3], v1, off
.LBB18_2105:
	s_mov_b32 s7, -1
.LBB18_2106:
	s_delay_alu instid0(SALU_CYCLE_1)
	s_and_not1_b32 vcc_lo, exec_lo, s7
	s_cbranch_vccnz .LBB18_2183
; %bb.2107:
	s_wait_xcnt 0x0
	v_mov_b32_e32 v1, 0
	s_cmp_lt_i32 s2, 11
	s_delay_alu instid0(VALU_DEP_1)
	v_add_nc_u64_e32 v[2:3], s[4:5], v[0:1]
	s_cbranch_scc1 .LBB18_2184
; %bb.2108:
	s_mov_b32 s4, -1
	s_mov_b32 s3, 0
	s_cmp_gt_i32 s2, 25
	s_mov_b32 s0, 0
	s_cbranch_scc0 .LBB18_2141
; %bb.2109:
	s_cmp_gt_i32 s2, 28
	s_cbranch_scc0 .LBB18_2125
; %bb.2110:
	s_cmp_gt_i32 s2, 43
	;; [unrolled: 3-line block ×3, first 2 shown]
	s_cbranch_scc0 .LBB18_2115
; %bb.2112:
	s_cmp_eq_u32 s2, 46
	s_mov_b32 s0, -1
	s_cbranch_scc0 .LBB18_2114
; %bb.2113:
	v_bfe_u32 v0, v14, 16, 1
	v_cmp_o_f32_e32 vcc_lo, v14, v14
	s_mov_b32 s0, 0
	s_delay_alu instid0(VALU_DEP_2) | instskip(NEXT) | instid1(VALU_DEP_1)
	v_add3_u32 v0, v14, v0, 0x7fff
	v_lshrrev_b32_e32 v0, 16, v0
	s_delay_alu instid0(VALU_DEP_1)
	v_cndmask_b32_e32 v0, 0x7fc0, v0, vcc_lo
	global_store_b32 v[2:3], v0, off
.LBB18_2114:
	s_mov_b32 s4, 0
.LBB18_2115:
	s_delay_alu instid0(SALU_CYCLE_1)
	s_and_b32 vcc_lo, exec_lo, s4
	s_cbranch_vccz .LBB18_2120
; %bb.2116:
	s_cmp_eq_u32 s2, 44
	s_mov_b32 s0, -1
	s_cbranch_scc0 .LBB18_2120
; %bb.2117:
	v_bfe_u32 v1, v14, 23, 8
	s_wait_xcnt 0x0
	v_mov_b32_e32 v0, 0xff
	s_mov_b32 s4, exec_lo
	s_delay_alu instid0(VALU_DEP_2)
	v_cmpx_ne_u32_e32 0xff, v1
	s_cbranch_execz .LBB18_2119
; %bb.2118:
	v_and_b32_e32 v0, 0x400000, v14
	v_and_or_b32 v1, 0x3fffff, v14, v1
	s_delay_alu instid0(VALU_DEP_2) | instskip(NEXT) | instid1(VALU_DEP_2)
	v_cmp_ne_u32_e32 vcc_lo, 0, v0
	v_cmp_ne_u32_e64 s0, 0, v1
	v_lshrrev_b32_e32 v0, 23, v14
	s_and_b32 s0, vcc_lo, s0
	s_delay_alu instid0(SALU_CYCLE_1) | instskip(NEXT) | instid1(VALU_DEP_1)
	v_cndmask_b32_e64 v1, 0, 1, s0
	v_add_nc_u32_e32 v0, v0, v1
.LBB18_2119:
	s_or_b32 exec_lo, exec_lo, s4
	s_mov_b32 s0, 0
	global_store_b8 v[2:3], v0, off
.LBB18_2120:
	s_mov_b32 s4, 0
.LBB18_2121:
	s_delay_alu instid0(SALU_CYCLE_1)
	s_and_b32 vcc_lo, exec_lo, s4
	s_cbranch_vccz .LBB18_2124
; %bb.2122:
	s_cmp_eq_u32 s2, 29
	s_mov_b32 s0, -1
	s_cbranch_scc0 .LBB18_2124
; %bb.2123:
	s_wait_xcnt 0x0
	v_trunc_f32_e32 v0, v14
	s_mov_b32 s0, 0
	s_delay_alu instid0(VALU_DEP_1) | instskip(NEXT) | instid1(VALU_DEP_1)
	v_mul_f32_e32 v1, 0x2f800000, v0
	v_floor_f32_e32 v1, v1
	s_delay_alu instid0(VALU_DEP_1) | instskip(SKIP_1) | instid1(VALU_DEP_2)
	v_fmamk_f32 v0, v1, 0xcf800000, v0
	v_cvt_u32_f32_e32 v1, v1
	v_cvt_u32_f32_e32 v0, v0
	global_store_b64 v[2:3], v[0:1], off
.LBB18_2124:
	s_mov_b32 s4, 0
.LBB18_2125:
	s_delay_alu instid0(SALU_CYCLE_1)
	s_and_b32 vcc_lo, exec_lo, s4
	s_cbranch_vccz .LBB18_2140
; %bb.2126:
	s_cmp_lt_i32 s2, 27
	s_mov_b32 s4, -1
	s_cbranch_scc1 .LBB18_2132
; %bb.2127:
	s_cmp_gt_i32 s2, 27
	s_cbranch_scc0 .LBB18_2129
; %bb.2128:
	s_wait_xcnt 0x0
	v_cvt_u32_f32_e32 v0, v14
	s_mov_b32 s4, 0
	global_store_b32 v[2:3], v0, off
.LBB18_2129:
	s_and_not1_b32 vcc_lo, exec_lo, s4
	s_cbranch_vccnz .LBB18_2131
; %bb.2130:
	s_wait_xcnt 0x0
	v_cvt_u32_f32_e32 v0, v14
	global_store_b16 v[2:3], v0, off
.LBB18_2131:
	s_mov_b32 s4, 0
.LBB18_2132:
	s_delay_alu instid0(SALU_CYCLE_1)
	s_and_not1_b32 vcc_lo, exec_lo, s4
	s_cbranch_vccnz .LBB18_2140
; %bb.2133:
	s_wait_xcnt 0x0
	v_and_b32_e32 v0, 0x7fffffff, v14
	v_mov_b32_e32 v1, 0x80
	s_mov_b32 s4, exec_lo
	s_delay_alu instid0(VALU_DEP_2)
	v_cmpx_gt_u32_e32 0x43800000, v0
	s_cbranch_execz .LBB18_2139
; %bb.2134:
	v_cmp_lt_u32_e32 vcc_lo, 0x3bffffff, v0
	s_mov_b32 s5, 0
                                        ; implicit-def: $vgpr0
	s_and_saveexec_b32 s7, vcc_lo
	s_delay_alu instid0(SALU_CYCLE_1)
	s_xor_b32 s7, exec_lo, s7
	s_cbranch_execz .LBB18_2201
; %bb.2135:
	v_bfe_u32 v0, v14, 20, 1
	s_mov_b32 s5, exec_lo
	s_delay_alu instid0(VALU_DEP_1) | instskip(NEXT) | instid1(VALU_DEP_1)
	v_add3_u32 v0, v14, v0, 0x487ffff
	v_lshrrev_b32_e32 v0, 20, v0
	s_and_not1_saveexec_b32 s7, s7
	s_cbranch_execnz .LBB18_2202
.LBB18_2136:
	s_or_b32 exec_lo, exec_lo, s7
	v_mov_b32_e32 v1, 0
	s_and_saveexec_b32 s7, s5
.LBB18_2137:
	v_lshrrev_b32_e32 v1, 24, v14
	s_delay_alu instid0(VALU_DEP_1)
	v_and_or_b32 v1, 0x80, v1, v0
.LBB18_2138:
	s_or_b32 exec_lo, exec_lo, s7
.LBB18_2139:
	s_delay_alu instid0(SALU_CYCLE_1)
	s_or_b32 exec_lo, exec_lo, s4
	global_store_b8 v[2:3], v1, off
.LBB18_2140:
	s_mov_b32 s4, 0
.LBB18_2141:
	s_delay_alu instid0(SALU_CYCLE_1)
	s_and_b32 vcc_lo, exec_lo, s4
	s_cbranch_vccz .LBB18_2181
; %bb.2142:
	s_cmp_gt_i32 s2, 22
	s_mov_b32 s3, -1
	s_cbranch_scc0 .LBB18_2174
; %bb.2143:
	s_cmp_lt_i32 s2, 24
	s_cbranch_scc1 .LBB18_2163
; %bb.2144:
	s_cmp_gt_i32 s2, 24
	s_cbranch_scc0 .LBB18_2152
; %bb.2145:
	s_wait_xcnt 0x0
	v_and_b32_e32 v0, 0x7fffffff, v14
	v_mov_b32_e32 v1, 0x80
	s_mov_b32 s3, exec_lo
	s_delay_alu instid0(VALU_DEP_2)
	v_cmpx_gt_u32_e32 0x47800000, v0
	s_cbranch_execz .LBB18_2151
; %bb.2146:
	v_cmp_lt_u32_e32 vcc_lo, 0x37ffffff, v0
	s_mov_b32 s4, 0
                                        ; implicit-def: $vgpr0
	s_and_saveexec_b32 s5, vcc_lo
	s_delay_alu instid0(SALU_CYCLE_1)
	s_xor_b32 s5, exec_lo, s5
	s_cbranch_execz .LBB18_2204
; %bb.2147:
	v_bfe_u32 v0, v14, 21, 1
	s_mov_b32 s4, exec_lo
	s_delay_alu instid0(VALU_DEP_1) | instskip(NEXT) | instid1(VALU_DEP_1)
	v_add3_u32 v0, v14, v0, 0x88fffff
	v_lshrrev_b32_e32 v0, 21, v0
	s_and_not1_saveexec_b32 s5, s5
	s_cbranch_execnz .LBB18_2205
.LBB18_2148:
	s_or_b32 exec_lo, exec_lo, s5
	v_mov_b32_e32 v1, 0
	s_and_saveexec_b32 s5, s4
.LBB18_2149:
	v_lshrrev_b32_e32 v1, 24, v14
	s_delay_alu instid0(VALU_DEP_1)
	v_and_or_b32 v1, 0x80, v1, v0
.LBB18_2150:
	s_or_b32 exec_lo, exec_lo, s5
.LBB18_2151:
	s_delay_alu instid0(SALU_CYCLE_1)
	s_or_b32 exec_lo, exec_lo, s3
	s_mov_b32 s3, 0
	global_store_b8 v[2:3], v1, off
.LBB18_2152:
	s_and_b32 vcc_lo, exec_lo, s3
	s_cbranch_vccz .LBB18_2162
; %bb.2153:
	s_wait_xcnt 0x0
	v_and_b32_e32 v1, 0x7fffffff, v14
	s_mov_b32 s3, exec_lo
                                        ; implicit-def: $vgpr0
	s_delay_alu instid0(VALU_DEP_1)
	v_cmpx_gt_u32_e32 0x43f00000, v1
	s_xor_b32 s3, exec_lo, s3
	s_cbranch_execz .LBB18_2159
; %bb.2154:
	s_mov_b32 s4, exec_lo
                                        ; implicit-def: $vgpr0
	v_cmpx_lt_u32_e32 0x3c7fffff, v1
	s_xor_b32 s4, exec_lo, s4
; %bb.2155:
	v_bfe_u32 v0, v14, 20, 1
	s_delay_alu instid0(VALU_DEP_1) | instskip(NEXT) | instid1(VALU_DEP_1)
	v_add3_u32 v0, v14, v0, 0x407ffff
	v_and_b32_e32 v1, 0xff00000, v0
	v_lshrrev_b32_e32 v0, 20, v0
	s_delay_alu instid0(VALU_DEP_2) | instskip(NEXT) | instid1(VALU_DEP_2)
	v_cmp_ne_u32_e32 vcc_lo, 0x7f00000, v1
	v_cndmask_b32_e32 v0, 0x7e, v0, vcc_lo
; %bb.2156:
	s_and_not1_saveexec_b32 s4, s4
; %bb.2157:
	v_add_f32_e64 v0, 0x46800000, |v14|
; %bb.2158:
	s_or_b32 exec_lo, exec_lo, s4
                                        ; implicit-def: $vgpr1
.LBB18_2159:
	s_and_not1_saveexec_b32 s3, s3
; %bb.2160:
	v_mov_b32_e32 v0, 0x7f
	v_cmp_lt_u32_e32 vcc_lo, 0x7f800000, v1
	s_delay_alu instid0(VALU_DEP_2)
	v_cndmask_b32_e32 v0, 0x7e, v0, vcc_lo
; %bb.2161:
	s_or_b32 exec_lo, exec_lo, s3
	v_lshrrev_b32_e32 v1, 24, v14
	s_delay_alu instid0(VALU_DEP_1)
	v_and_or_b32 v0, 0x80, v1, v0
	global_store_b8 v[2:3], v0, off
.LBB18_2162:
	s_mov_b32 s3, 0
.LBB18_2163:
	s_delay_alu instid0(SALU_CYCLE_1)
	s_and_not1_b32 vcc_lo, exec_lo, s3
	s_cbranch_vccnz .LBB18_2173
; %bb.2164:
	s_wait_xcnt 0x0
	v_and_b32_e32 v1, 0x7fffffff, v14
	s_mov_b32 s3, exec_lo
                                        ; implicit-def: $vgpr0
	s_delay_alu instid0(VALU_DEP_1)
	v_cmpx_gt_u32_e32 0x47800000, v1
	s_xor_b32 s3, exec_lo, s3
	s_cbranch_execz .LBB18_2170
; %bb.2165:
	s_mov_b32 s4, exec_lo
                                        ; implicit-def: $vgpr0
	v_cmpx_lt_u32_e32 0x387fffff, v1
	s_xor_b32 s4, exec_lo, s4
; %bb.2166:
	v_bfe_u32 v0, v14, 21, 1
	s_delay_alu instid0(VALU_DEP_1) | instskip(NEXT) | instid1(VALU_DEP_1)
	v_add3_u32 v0, v14, v0, 0x80fffff
	v_lshrrev_b32_e32 v0, 21, v0
; %bb.2167:
	s_and_not1_saveexec_b32 s4, s4
; %bb.2168:
	v_add_f32_e64 v0, 0x43000000, |v14|
; %bb.2169:
	s_or_b32 exec_lo, exec_lo, s4
                                        ; implicit-def: $vgpr1
.LBB18_2170:
	s_and_not1_saveexec_b32 s3, s3
; %bb.2171:
	v_mov_b32_e32 v0, 0x7f
	v_cmp_lt_u32_e32 vcc_lo, 0x7f800000, v1
	s_delay_alu instid0(VALU_DEP_2)
	v_cndmask_b32_e32 v0, 0x7c, v0, vcc_lo
; %bb.2172:
	s_or_b32 exec_lo, exec_lo, s3
	v_lshrrev_b32_e32 v1, 24, v14
	s_delay_alu instid0(VALU_DEP_1)
	v_and_or_b32 v0, 0x80, v1, v0
	global_store_b8 v[2:3], v0, off
.LBB18_2173:
	s_mov_b32 s3, 0
.LBB18_2174:
	s_delay_alu instid0(SALU_CYCLE_1)
	s_and_not1_b32 vcc_lo, exec_lo, s3
	s_mov_b32 s3, 0
	s_cbranch_vccnz .LBB18_2181
; %bb.2175:
	s_cmp_gt_i32 s2, 14
	s_mov_b32 s3, -1
	s_cbranch_scc0 .LBB18_2179
; %bb.2176:
	s_cmp_eq_u32 s2, 15
	s_mov_b32 s0, -1
	s_cbranch_scc0 .LBB18_2178
; %bb.2177:
	s_wait_xcnt 0x0
	v_bfe_u32 v0, v14, 16, 1
	v_cmp_o_f32_e32 vcc_lo, v14, v14
	s_mov_b32 s0, 0
	s_delay_alu instid0(VALU_DEP_2) | instskip(NEXT) | instid1(VALU_DEP_1)
	v_add3_u32 v0, v14, v0, 0x7fff
	v_lshrrev_b32_e32 v0, 16, v0
	s_delay_alu instid0(VALU_DEP_1)
	v_cndmask_b32_e32 v0, 0x7fc0, v0, vcc_lo
	global_store_b16 v[2:3], v0, off
.LBB18_2178:
	s_mov_b32 s3, 0
.LBB18_2179:
	s_delay_alu instid0(SALU_CYCLE_1)
	s_and_b32 vcc_lo, exec_lo, s3
	s_mov_b32 s3, 0
	s_cbranch_vccz .LBB18_2181
; %bb.2180:
	s_cmp_lg_u32 s2, 11
	s_mov_b32 s3, -1
	s_cselect_b32 s0, -1, 0
.LBB18_2181:
	s_delay_alu instid0(SALU_CYCLE_1)
	s_and_b32 vcc_lo, exec_lo, s0
	s_cbranch_vccnz .LBB18_2203
.LBB18_2182:
	s_mov_b32 s0, 0
	s_branch .LBB18_1784
.LBB18_2183:
	s_mov_b32 s0, 0
	s_mov_b32 s3, 0
                                        ; implicit-def: $vgpr2_vgpr3
                                        ; implicit-def: $sgpr6
	s_branch .LBB18_1784
.LBB18_2184:
	s_mov_b32 s3, 0
	s_mov_b32 s0, -1
	s_branch .LBB18_1784
.LBB18_2185:
	s_or_b32 s1, s1, exec_lo
	s_trap 2
	s_cbranch_execz .LBB18_1649
	s_branch .LBB18_1650
.LBB18_2186:
	s_and_not1_saveexec_b32 s11, s11
	s_cbranch_execz .LBB18_1733
.LBB18_2187:
	v_add_f32_e64 v1, 0x46000000, |v8|
	s_and_not1_b32 s10, s10, exec_lo
	s_delay_alu instid0(VALU_DEP_1) | instskip(NEXT) | instid1(VALU_DEP_1)
	v_and_b32_e32 v1, 0xff, v1
	v_cmp_ne_u32_e32 vcc_lo, 0, v1
	s_and_b32 s12, vcc_lo, exec_lo
	s_delay_alu instid0(SALU_CYCLE_1)
	s_or_b32 s10, s10, s12
	s_or_b32 exec_lo, exec_lo, s11
	v_mov_b32_e32 v3, 0
	s_and_saveexec_b32 s11, s10
	s_cbranch_execnz .LBB18_1734
	s_branch .LBB18_1735
.LBB18_2188:
	s_or_b32 s1, s1, exec_lo
	s_trap 2
	s_cbranch_execz .LBB18_1781
	s_branch .LBB18_1782
.LBB18_2189:
	s_and_not1_saveexec_b32 s10, s10
	s_cbranch_execz .LBB18_1746
.LBB18_2190:
	v_add_f32_e64 v1, 0x42800000, |v8|
	s_and_not1_b32 s7, s7, exec_lo
	s_delay_alu instid0(VALU_DEP_1) | instskip(NEXT) | instid1(VALU_DEP_1)
	v_and_b32_e32 v1, 0xff, v1
	v_cmp_ne_u32_e32 vcc_lo, 0, v1
	s_and_b32 s11, vcc_lo, exec_lo
	s_delay_alu instid0(SALU_CYCLE_1)
	s_or_b32 s7, s7, s11
	s_or_b32 exec_lo, exec_lo, s10
	v_mov_b32_e32 v3, 0
	s_and_saveexec_b32 s10, s7
	s_cbranch_execnz .LBB18_1747
	s_branch .LBB18_1748
.LBB18_2191:
	s_and_not1_saveexec_b32 s11, s11
	s_cbranch_execz .LBB18_1897
.LBB18_2192:
	v_add_f32_e64 v1, 0x46000000, |v10|
	s_and_not1_b32 s10, s10, exec_lo
	s_delay_alu instid0(VALU_DEP_1) | instskip(NEXT) | instid1(VALU_DEP_1)
	v_and_b32_e32 v1, 0xff, v1
	v_cmp_ne_u32_e32 vcc_lo, 0, v1
	s_and_b32 s12, vcc_lo, exec_lo
	s_delay_alu instid0(SALU_CYCLE_1)
	s_or_b32 s10, s10, s12
	s_or_b32 exec_lo, exec_lo, s11
	v_mov_b32_e32 v3, 0
	s_and_saveexec_b32 s11, s10
	s_cbranch_execnz .LBB18_1898
	s_branch .LBB18_1899
.LBB18_2193:
	s_or_b32 s1, s1, exec_lo
	s_trap 2
	s_cbranch_execz .LBB18_1945
	s_branch .LBB18_1946
.LBB18_2194:
	s_and_not1_saveexec_b32 s10, s10
	s_cbranch_execz .LBB18_1910
.LBB18_2195:
	v_add_f32_e64 v1, 0x42800000, |v10|
	s_and_not1_b32 s7, s7, exec_lo
	s_delay_alu instid0(VALU_DEP_1) | instskip(NEXT) | instid1(VALU_DEP_1)
	v_and_b32_e32 v1, 0xff, v1
	v_cmp_ne_u32_e32 vcc_lo, 0, v1
	s_and_b32 s11, vcc_lo, exec_lo
	s_delay_alu instid0(SALU_CYCLE_1)
	s_or_b32 s7, s7, s11
	s_or_b32 exec_lo, exec_lo, s10
	v_mov_b32_e32 v3, 0
	s_and_saveexec_b32 s10, s7
	s_cbranch_execnz .LBB18_1911
	s_branch .LBB18_1912
.LBB18_2196:
	s_and_not1_saveexec_b32 s11, s11
	s_cbranch_execz .LBB18_2016
.LBB18_2197:
	v_add_f32_e64 v1, 0x46000000, |v12|
	s_and_not1_b32 s10, s10, exec_lo
	s_delay_alu instid0(VALU_DEP_1) | instskip(NEXT) | instid1(VALU_DEP_1)
	v_and_b32_e32 v1, 0xff, v1
	v_cmp_ne_u32_e32 vcc_lo, 0, v1
	s_and_b32 s12, vcc_lo, exec_lo
	s_delay_alu instid0(SALU_CYCLE_1)
	s_or_b32 s10, s10, s12
	s_or_b32 exec_lo, exec_lo, s11
	v_mov_b32_e32 v4, 0
	s_and_saveexec_b32 s11, s10
	s_cbranch_execnz .LBB18_2017
	s_branch .LBB18_2018
.LBB18_2198:
	s_or_b32 s1, s1, exec_lo
	s_trap 2
	s_cbranch_execz .LBB18_2064
	s_branch .LBB18_2065
.LBB18_2199:
	s_and_not1_saveexec_b32 s10, s10
	s_cbranch_execz .LBB18_2029
.LBB18_2200:
	v_add_f32_e64 v1, 0x42800000, |v12|
	s_and_not1_b32 s7, s7, exec_lo
	s_delay_alu instid0(VALU_DEP_1) | instskip(NEXT) | instid1(VALU_DEP_1)
	v_and_b32_e32 v1, 0xff, v1
	v_cmp_ne_u32_e32 vcc_lo, 0, v1
	s_and_b32 s11, vcc_lo, exec_lo
	s_delay_alu instid0(SALU_CYCLE_1)
	s_or_b32 s7, s7, s11
	s_or_b32 exec_lo, exec_lo, s10
	v_mov_b32_e32 v4, 0
	s_and_saveexec_b32 s10, s7
	s_cbranch_execnz .LBB18_2030
	s_branch .LBB18_2031
.LBB18_2201:
	s_and_not1_saveexec_b32 s7, s7
	s_cbranch_execz .LBB18_2136
.LBB18_2202:
	v_add_f32_e64 v0, 0x46000000, |v14|
	s_and_not1_b32 s5, s5, exec_lo
	s_delay_alu instid0(VALU_DEP_1) | instskip(NEXT) | instid1(VALU_DEP_1)
	v_and_b32_e32 v0, 0xff, v0
	v_cmp_ne_u32_e32 vcc_lo, 0, v0
	s_and_b32 s10, vcc_lo, exec_lo
	s_delay_alu instid0(SALU_CYCLE_1)
	s_or_b32 s5, s5, s10
	s_or_b32 exec_lo, exec_lo, s7
	v_mov_b32_e32 v1, 0
	s_and_saveexec_b32 s7, s5
	s_cbranch_execnz .LBB18_2137
	s_branch .LBB18_2138
.LBB18_2203:
	s_mov_b32 s3, 0
	s_or_b32 s1, s1, exec_lo
	s_trap 2
	s_branch .LBB18_2182
.LBB18_2204:
	s_and_not1_saveexec_b32 s5, s5
	s_cbranch_execz .LBB18_2148
.LBB18_2205:
	v_add_f32_e64 v0, 0x42800000, |v14|
	s_and_not1_b32 s4, s4, exec_lo
	s_delay_alu instid0(VALU_DEP_1) | instskip(NEXT) | instid1(VALU_DEP_1)
	v_and_b32_e32 v0, 0xff, v0
	v_cmp_ne_u32_e32 vcc_lo, 0, v0
	s_and_b32 s7, vcc_lo, exec_lo
	s_delay_alu instid0(SALU_CYCLE_1)
	s_or_b32 s4, s4, s7
	s_or_b32 exec_lo, exec_lo, s5
	v_mov_b32_e32 v1, 0
	s_and_saveexec_b32 s5, s4
	s_cbranch_execnz .LBB18_2149
	s_branch .LBB18_2150
	.section	.rodata,"a",@progbits
	.p2align	6, 0x0
	.amdhsa_kernel _ZN2at6native32elementwise_kernel_manual_unrollILi128ELi4EZNS0_15gpu_kernel_implIZZZNS0_12_GLOBAL__N_130modified_bessel_i0_kernel_cudaERNS_18TensorIteratorBaseEENKUlvE_clEvENKUlvE0_clEvEUlfE_EEvS5_RKT_EUlibE0_EEviT1_
		.amdhsa_group_segment_fixed_size 0
		.amdhsa_private_segment_fixed_size 0
		.amdhsa_kernarg_size 360
		.amdhsa_user_sgpr_count 2
		.amdhsa_user_sgpr_dispatch_ptr 0
		.amdhsa_user_sgpr_queue_ptr 0
		.amdhsa_user_sgpr_kernarg_segment_ptr 1
		.amdhsa_user_sgpr_dispatch_id 0
		.amdhsa_user_sgpr_kernarg_preload_length 0
		.amdhsa_user_sgpr_kernarg_preload_offset 0
		.amdhsa_user_sgpr_private_segment_size 0
		.amdhsa_wavefront_size32 1
		.amdhsa_uses_dynamic_stack 0
		.amdhsa_enable_private_segment 0
		.amdhsa_system_sgpr_workgroup_id_x 1
		.amdhsa_system_sgpr_workgroup_id_y 0
		.amdhsa_system_sgpr_workgroup_id_z 0
		.amdhsa_system_sgpr_workgroup_info 0
		.amdhsa_system_vgpr_workitem_id 0
		.amdhsa_next_free_vgpr 20
		.amdhsa_next_free_sgpr 68
		.amdhsa_named_barrier_count 0
		.amdhsa_reserve_vcc 1
		.amdhsa_float_round_mode_32 0
		.amdhsa_float_round_mode_16_64 0
		.amdhsa_float_denorm_mode_32 3
		.amdhsa_float_denorm_mode_16_64 3
		.amdhsa_fp16_overflow 0
		.amdhsa_memory_ordered 1
		.amdhsa_forward_progress 1
		.amdhsa_inst_pref_size 255
		.amdhsa_round_robin_scheduling 0
		.amdhsa_exception_fp_ieee_invalid_op 0
		.amdhsa_exception_fp_denorm_src 0
		.amdhsa_exception_fp_ieee_div_zero 0
		.amdhsa_exception_fp_ieee_overflow 0
		.amdhsa_exception_fp_ieee_underflow 0
		.amdhsa_exception_fp_ieee_inexact 0
		.amdhsa_exception_int_div_zero 0
	.end_amdhsa_kernel
	.section	.text._ZN2at6native32elementwise_kernel_manual_unrollILi128ELi4EZNS0_15gpu_kernel_implIZZZNS0_12_GLOBAL__N_130modified_bessel_i0_kernel_cudaERNS_18TensorIteratorBaseEENKUlvE_clEvENKUlvE0_clEvEUlfE_EEvS5_RKT_EUlibE0_EEviT1_,"axG",@progbits,_ZN2at6native32elementwise_kernel_manual_unrollILi128ELi4EZNS0_15gpu_kernel_implIZZZNS0_12_GLOBAL__N_130modified_bessel_i0_kernel_cudaERNS_18TensorIteratorBaseEENKUlvE_clEvENKUlvE0_clEvEUlfE_EEvS5_RKT_EUlibE0_EEviT1_,comdat
.Lfunc_end18:
	.size	_ZN2at6native32elementwise_kernel_manual_unrollILi128ELi4EZNS0_15gpu_kernel_implIZZZNS0_12_GLOBAL__N_130modified_bessel_i0_kernel_cudaERNS_18TensorIteratorBaseEENKUlvE_clEvENKUlvE0_clEvEUlfE_EEvS5_RKT_EUlibE0_EEviT1_, .Lfunc_end18-_ZN2at6native32elementwise_kernel_manual_unrollILi128ELi4EZNS0_15gpu_kernel_implIZZZNS0_12_GLOBAL__N_130modified_bessel_i0_kernel_cudaERNS_18TensorIteratorBaseEENKUlvE_clEvENKUlvE0_clEvEUlfE_EEvS5_RKT_EUlibE0_EEviT1_
                                        ; -- End function
	.set _ZN2at6native32elementwise_kernel_manual_unrollILi128ELi4EZNS0_15gpu_kernel_implIZZZNS0_12_GLOBAL__N_130modified_bessel_i0_kernel_cudaERNS_18TensorIteratorBaseEENKUlvE_clEvENKUlvE0_clEvEUlfE_EEvS5_RKT_EUlibE0_EEviT1_.num_vgpr, 20
	.set _ZN2at6native32elementwise_kernel_manual_unrollILi128ELi4EZNS0_15gpu_kernel_implIZZZNS0_12_GLOBAL__N_130modified_bessel_i0_kernel_cudaERNS_18TensorIteratorBaseEENKUlvE_clEvENKUlvE0_clEvEUlfE_EEvS5_RKT_EUlibE0_EEviT1_.num_agpr, 0
	.set _ZN2at6native32elementwise_kernel_manual_unrollILi128ELi4EZNS0_15gpu_kernel_implIZZZNS0_12_GLOBAL__N_130modified_bessel_i0_kernel_cudaERNS_18TensorIteratorBaseEENKUlvE_clEvENKUlvE0_clEvEUlfE_EEvS5_RKT_EUlibE0_EEviT1_.numbered_sgpr, 68
	.set _ZN2at6native32elementwise_kernel_manual_unrollILi128ELi4EZNS0_15gpu_kernel_implIZZZNS0_12_GLOBAL__N_130modified_bessel_i0_kernel_cudaERNS_18TensorIteratorBaseEENKUlvE_clEvENKUlvE0_clEvEUlfE_EEvS5_RKT_EUlibE0_EEviT1_.num_named_barrier, 0
	.set _ZN2at6native32elementwise_kernel_manual_unrollILi128ELi4EZNS0_15gpu_kernel_implIZZZNS0_12_GLOBAL__N_130modified_bessel_i0_kernel_cudaERNS_18TensorIteratorBaseEENKUlvE_clEvENKUlvE0_clEvEUlfE_EEvS5_RKT_EUlibE0_EEviT1_.private_seg_size, 0
	.set _ZN2at6native32elementwise_kernel_manual_unrollILi128ELi4EZNS0_15gpu_kernel_implIZZZNS0_12_GLOBAL__N_130modified_bessel_i0_kernel_cudaERNS_18TensorIteratorBaseEENKUlvE_clEvENKUlvE0_clEvEUlfE_EEvS5_RKT_EUlibE0_EEviT1_.uses_vcc, 1
	.set _ZN2at6native32elementwise_kernel_manual_unrollILi128ELi4EZNS0_15gpu_kernel_implIZZZNS0_12_GLOBAL__N_130modified_bessel_i0_kernel_cudaERNS_18TensorIteratorBaseEENKUlvE_clEvENKUlvE0_clEvEUlfE_EEvS5_RKT_EUlibE0_EEviT1_.uses_flat_scratch, 0
	.set _ZN2at6native32elementwise_kernel_manual_unrollILi128ELi4EZNS0_15gpu_kernel_implIZZZNS0_12_GLOBAL__N_130modified_bessel_i0_kernel_cudaERNS_18TensorIteratorBaseEENKUlvE_clEvENKUlvE0_clEvEUlfE_EEvS5_RKT_EUlibE0_EEviT1_.has_dyn_sized_stack, 0
	.set _ZN2at6native32elementwise_kernel_manual_unrollILi128ELi4EZNS0_15gpu_kernel_implIZZZNS0_12_GLOBAL__N_130modified_bessel_i0_kernel_cudaERNS_18TensorIteratorBaseEENKUlvE_clEvENKUlvE0_clEvEUlfE_EEvS5_RKT_EUlibE0_EEviT1_.has_recursion, 0
	.set _ZN2at6native32elementwise_kernel_manual_unrollILi128ELi4EZNS0_15gpu_kernel_implIZZZNS0_12_GLOBAL__N_130modified_bessel_i0_kernel_cudaERNS_18TensorIteratorBaseEENKUlvE_clEvENKUlvE0_clEvEUlfE_EEvS5_RKT_EUlibE0_EEviT1_.has_indirect_call, 0
	.section	.AMDGPU.csdata,"",@progbits
; Kernel info:
; codeLenInByte = 56884
; TotalNumSgprs: 70
; NumVgprs: 20
; ScratchSize: 0
; MemoryBound: 1
; FloatMode: 240
; IeeeMode: 1
; LDSByteSize: 0 bytes/workgroup (compile time only)
; SGPRBlocks: 0
; VGPRBlocks: 1
; NumSGPRsForWavesPerEU: 70
; NumVGPRsForWavesPerEU: 20
; NamedBarCnt: 0
; Occupancy: 16
; WaveLimiterHint : 1
; COMPUTE_PGM_RSRC2:SCRATCH_EN: 0
; COMPUTE_PGM_RSRC2:USER_SGPR: 2
; COMPUTE_PGM_RSRC2:TRAP_HANDLER: 0
; COMPUTE_PGM_RSRC2:TGID_X_EN: 1
; COMPUTE_PGM_RSRC2:TGID_Y_EN: 0
; COMPUTE_PGM_RSRC2:TGID_Z_EN: 0
; COMPUTE_PGM_RSRC2:TIDIG_COMP_CNT: 0
	.text
	.p2alignl 7, 3214868480
	.fill 96, 4, 3214868480
	.section	.AMDGPU.gpr_maximums,"",@progbits
	.set amdgpu.max_num_vgpr, 40
	.set amdgpu.max_num_agpr, 0
	.set amdgpu.max_num_sgpr, 32
	.text
	.type	__hip_cuid_fc8b98103460c66c,@object ; @__hip_cuid_fc8b98103460c66c
	.section	.bss,"aw",@nobits
	.globl	__hip_cuid_fc8b98103460c66c
__hip_cuid_fc8b98103460c66c:
	.byte	0                               ; 0x0
	.size	__hip_cuid_fc8b98103460c66c, 1

	.ident	"AMD clang version 22.0.0git (https://github.com/RadeonOpenCompute/llvm-project roc-7.2.4 26084 f58b06dce1f9c15707c5f808fd002e18c2accf7e)"
	.section	".note.GNU-stack","",@progbits
	.addrsig
	.addrsig_sym __hip_cuid_fc8b98103460c66c
	.amdgpu_metadata
---
amdhsa.kernels:
  - .args:
      - .offset:         0
        .size:           4
        .value_kind:     by_value
      - .offset:         4
        .size:           1
        .value_kind:     by_value
      - .offset:         8
        .size:           16
        .value_kind:     by_value
    .group_segment_fixed_size: 0
    .kernarg_segment_align: 8
    .kernarg_segment_size: 24
    .language:       OpenCL C
    .language_version:
      - 2
      - 0
    .max_flat_workgroup_size: 256
    .name:           _ZN2at6native29vectorized_elementwise_kernelILi16EZZZNS0_12_GLOBAL__N_130modified_bessel_i0_kernel_cudaERNS_18TensorIteratorBaseEENKUlvE_clEvENKUlvE_clEvEUldE_St5arrayIPcLm2EEEEviT0_T1_
    .private_segment_fixed_size: 0
    .sgpr_count:     35
    .sgpr_spill_count: 0
    .symbol:         _ZN2at6native29vectorized_elementwise_kernelILi16EZZZNS0_12_GLOBAL__N_130modified_bessel_i0_kernel_cudaERNS_18TensorIteratorBaseEENKUlvE_clEvENKUlvE_clEvEUldE_St5arrayIPcLm2EEEEviT0_T1_.kd
    .uniform_work_group_size: 1
    .uses_dynamic_stack: false
    .vgpr_count:     40
    .vgpr_spill_count: 0
    .wavefront_size: 32
  - .args:
      - .offset:         0
        .size:           4
        .value_kind:     by_value
      - .offset:         4
        .size:           1
        .value_kind:     by_value
      - .offset:         8
        .size:           16
        .value_kind:     by_value
    .group_segment_fixed_size: 0
    .kernarg_segment_align: 8
    .kernarg_segment_size: 24
    .language:       OpenCL C
    .language_version:
      - 2
      - 0
    .max_flat_workgroup_size: 256
    .name:           _ZN2at6native29vectorized_elementwise_kernelILi8EZZZNS0_12_GLOBAL__N_130modified_bessel_i0_kernel_cudaERNS_18TensorIteratorBaseEENKUlvE_clEvENKUlvE_clEvEUldE_St5arrayIPcLm2EEEEviT0_T1_
    .private_segment_fixed_size: 0
    .sgpr_count:     35
    .sgpr_spill_count: 0
    .symbol:         _ZN2at6native29vectorized_elementwise_kernelILi8EZZZNS0_12_GLOBAL__N_130modified_bessel_i0_kernel_cudaERNS_18TensorIteratorBaseEENKUlvE_clEvENKUlvE_clEvEUldE_St5arrayIPcLm2EEEEviT0_T1_.kd
    .uniform_work_group_size: 1
    .uses_dynamic_stack: false
    .vgpr_count:     40
    .vgpr_spill_count: 0
    .wavefront_size: 32
  - .args:
      - .offset:         0
        .size:           4
        .value_kind:     by_value
      - .offset:         4
        .size:           1
        .value_kind:     by_value
      - .offset:         8
        .size:           16
        .value_kind:     by_value
    .group_segment_fixed_size: 0
    .kernarg_segment_align: 8
    .kernarg_segment_size: 24
    .language:       OpenCL C
    .language_version:
      - 2
      - 0
    .max_flat_workgroup_size: 256
    .name:           _ZN2at6native29vectorized_elementwise_kernelILi4EZZZNS0_12_GLOBAL__N_130modified_bessel_i0_kernel_cudaERNS_18TensorIteratorBaseEENKUlvE_clEvENKUlvE_clEvEUldE_St5arrayIPcLm2EEEEviT0_T1_
    .private_segment_fixed_size: 0
    .sgpr_count:     35
    .sgpr_spill_count: 0
    .symbol:         _ZN2at6native29vectorized_elementwise_kernelILi4EZZZNS0_12_GLOBAL__N_130modified_bessel_i0_kernel_cudaERNS_18TensorIteratorBaseEENKUlvE_clEvENKUlvE_clEvEUldE_St5arrayIPcLm2EEEEviT0_T1_.kd
    .uniform_work_group_size: 1
    .uses_dynamic_stack: false
    .vgpr_count:     40
    .vgpr_spill_count: 0
    .wavefront_size: 32
  - .args:
      - .offset:         0
        .size:           4
        .value_kind:     by_value
      - .offset:         4
        .size:           1
        .value_kind:     by_value
      - .offset:         8
        .size:           16
        .value_kind:     by_value
    .group_segment_fixed_size: 0
    .kernarg_segment_align: 8
    .kernarg_segment_size: 24
    .language:       OpenCL C
    .language_version:
      - 2
      - 0
    .max_flat_workgroup_size: 256
    .name:           _ZN2at6native29vectorized_elementwise_kernelILi2EZZZNS0_12_GLOBAL__N_130modified_bessel_i0_kernel_cudaERNS_18TensorIteratorBaseEENKUlvE_clEvENKUlvE_clEvEUldE_St5arrayIPcLm2EEEEviT0_T1_
    .private_segment_fixed_size: 0
    .sgpr_count:     35
    .sgpr_spill_count: 0
    .symbol:         _ZN2at6native29vectorized_elementwise_kernelILi2EZZZNS0_12_GLOBAL__N_130modified_bessel_i0_kernel_cudaERNS_18TensorIteratorBaseEENKUlvE_clEvENKUlvE_clEvEUldE_St5arrayIPcLm2EEEEviT0_T1_.kd
    .uniform_work_group_size: 1
    .uses_dynamic_stack: false
    .vgpr_count:     40
    .vgpr_spill_count: 0
    .wavefront_size: 32
  - .args:
      - .offset:         0
        .size:           4
        .value_kind:     by_value
      - .offset:         4
        .size:           1
        .value_kind:     by_value
      - .offset:         8
        .size:           16
        .value_kind:     by_value
      - .offset:         24
        .size:           1
        .value_kind:     by_value
      - .offset:         25
        .size:           1
        .value_kind:     by_value
      - .offset:         26
        .size:           1
        .value_kind:     by_value
      - .offset:         27
        .size:           1
        .value_kind:     by_value
    .group_segment_fixed_size: 0
    .kernarg_segment_align: 8
    .kernarg_segment_size: 28
    .language:       OpenCL C
    .language_version:
      - 2
      - 0
    .max_flat_workgroup_size: 256
    .name:           _ZN2at6native27unrolled_elementwise_kernelIZZZNS0_12_GLOBAL__N_130modified_bessel_i0_kernel_cudaERNS_18TensorIteratorBaseEENKUlvE_clEvENKUlvE_clEvEUldE_St5arrayIPcLm2EELi4E23TrivialOffsetCalculatorILi1EjESC_NS0_6memory15LoadWithoutCastENSD_16StoreWithoutCastEEEviT_T0_T2_T3_T4_T5_
    .private_segment_fixed_size: 0
    .sgpr_count:     35
    .sgpr_spill_count: 0
    .symbol:         _ZN2at6native27unrolled_elementwise_kernelIZZZNS0_12_GLOBAL__N_130modified_bessel_i0_kernel_cudaERNS_18TensorIteratorBaseEENKUlvE_clEvENKUlvE_clEvEUldE_St5arrayIPcLm2EELi4E23TrivialOffsetCalculatorILi1EjESC_NS0_6memory15LoadWithoutCastENSD_16StoreWithoutCastEEEviT_T0_T2_T3_T4_T5_.kd
    .uniform_work_group_size: 1
    .uses_dynamic_stack: false
    .vgpr_count:     40
    .vgpr_spill_count: 0
    .wavefront_size: 32
  - .args:
      - .offset:         0
        .size:           4
        .value_kind:     by_value
      - .offset:         8
        .size:           352
        .value_kind:     by_value
    .group_segment_fixed_size: 0
    .kernarg_segment_align: 8
    .kernarg_segment_size: 360
    .language:       OpenCL C
    .language_version:
      - 2
      - 0
    .max_flat_workgroup_size: 128
    .name:           _ZN2at6native32elementwise_kernel_manual_unrollILi128ELi4EZNS0_22gpu_kernel_impl_nocastIZZZNS0_12_GLOBAL__N_130modified_bessel_i0_kernel_cudaERNS_18TensorIteratorBaseEENKUlvE_clEvENKUlvE_clEvEUldE_EEvS5_RKT_EUlibE_EEviT1_
    .private_segment_fixed_size: 0
    .sgpr_count:     62
    .sgpr_spill_count: 0
    .symbol:         _ZN2at6native32elementwise_kernel_manual_unrollILi128ELi4EZNS0_22gpu_kernel_impl_nocastIZZZNS0_12_GLOBAL__N_130modified_bessel_i0_kernel_cudaERNS_18TensorIteratorBaseEENKUlvE_clEvENKUlvE_clEvEUldE_EEvS5_RKT_EUlibE_EEviT1_.kd
    .uniform_work_group_size: 1
    .uses_dynamic_stack: false
    .vgpr_count:     36
    .vgpr_spill_count: 0
    .wavefront_size: 32
  - .args:
      - .offset:         0
        .size:           4
        .value_kind:     by_value
      - .offset:         8
        .size:           32
        .value_kind:     by_value
    .group_segment_fixed_size: 0
    .kernarg_segment_align: 8
    .kernarg_segment_size: 40
    .language:       OpenCL C
    .language_version:
      - 2
      - 0
    .max_flat_workgroup_size: 128
    .name:           _ZN2at6native32elementwise_kernel_manual_unrollILi128ELi4EZNS0_15gpu_kernel_implIZZZNS0_12_GLOBAL__N_130modified_bessel_i0_kernel_cudaERNS_18TensorIteratorBaseEENKUlvE_clEvENKUlvE_clEvEUldE_EEvS5_RKT_EUlibE_EEviT1_
    .private_segment_fixed_size: 0
    .sgpr_count:     28
    .sgpr_spill_count: 0
    .symbol:         _ZN2at6native32elementwise_kernel_manual_unrollILi128ELi4EZNS0_15gpu_kernel_implIZZZNS0_12_GLOBAL__N_130modified_bessel_i0_kernel_cudaERNS_18TensorIteratorBaseEENKUlvE_clEvENKUlvE_clEvEUldE_EEvS5_RKT_EUlibE_EEviT1_.kd
    .uniform_work_group_size: 1
    .uses_dynamic_stack: false
    .vgpr_count:     30
    .vgpr_spill_count: 0
    .wavefront_size: 32
  - .args:
      - .offset:         0
        .size:           4
        .value_kind:     by_value
      - .offset:         8
        .size:           352
        .value_kind:     by_value
    .group_segment_fixed_size: 0
    .kernarg_segment_align: 8
    .kernarg_segment_size: 360
    .language:       OpenCL C
    .language_version:
      - 2
      - 0
    .max_flat_workgroup_size: 128
    .name:           _ZN2at6native32elementwise_kernel_manual_unrollILi128ELi4EZNS0_15gpu_kernel_implIZZZNS0_12_GLOBAL__N_130modified_bessel_i0_kernel_cudaERNS_18TensorIteratorBaseEENKUlvE_clEvENKUlvE_clEvEUldE_EEvS5_RKT_EUlibE0_EEviT1_
    .private_segment_fixed_size: 0
    .sgpr_count:     70
    .sgpr_spill_count: 0
    .symbol:         _ZN2at6native32elementwise_kernel_manual_unrollILi128ELi4EZNS0_15gpu_kernel_implIZZZNS0_12_GLOBAL__N_130modified_bessel_i0_kernel_cudaERNS_18TensorIteratorBaseEENKUlvE_clEvENKUlvE_clEvEUldE_EEvS5_RKT_EUlibE0_EEviT1_.kd
    .uniform_work_group_size: 1
    .uses_dynamic_stack: false
    .vgpr_count:     36
    .vgpr_spill_count: 0
    .wavefront_size: 32
  - .args:
      - .offset:         0
        .size:           4
        .value_kind:     by_value
      - .offset:         4
        .size:           1
        .value_kind:     by_value
      - .offset:         8
        .size:           16
        .value_kind:     by_value
    .group_segment_fixed_size: 0
    .kernarg_segment_align: 8
    .kernarg_segment_size: 24
    .language:       OpenCL C
    .language_version:
      - 2
      - 0
    .max_flat_workgroup_size: 256
    .name:           _ZN2at6native29vectorized_elementwise_kernelILi16EZZZNS0_12_GLOBAL__N_130modified_bessel_i0_kernel_cudaERNS_18TensorIteratorBaseEENKUlvE_clEvENKUlvE0_clEvEUlfE_St5arrayIPcLm2EEEEviT0_T1_
    .private_segment_fixed_size: 0
    .sgpr_count:     35
    .sgpr_spill_count: 0
    .symbol:         _ZN2at6native29vectorized_elementwise_kernelILi16EZZZNS0_12_GLOBAL__N_130modified_bessel_i0_kernel_cudaERNS_18TensorIteratorBaseEENKUlvE_clEvENKUlvE0_clEvEUlfE_St5arrayIPcLm2EEEEviT0_T1_.kd
    .uniform_work_group_size: 1
    .uses_dynamic_stack: false
    .vgpr_count:     32
    .vgpr_spill_count: 0
    .wavefront_size: 32
  - .args:
      - .offset:         0
        .size:           4
        .value_kind:     by_value
      - .offset:         4
        .size:           1
        .value_kind:     by_value
      - .offset:         8
        .size:           16
        .value_kind:     by_value
    .group_segment_fixed_size: 0
    .kernarg_segment_align: 8
    .kernarg_segment_size: 24
    .language:       OpenCL C
    .language_version:
      - 2
      - 0
    .max_flat_workgroup_size: 256
    .name:           _ZN2at6native29vectorized_elementwise_kernelILi8EZZZNS0_12_GLOBAL__N_130modified_bessel_i0_kernel_cudaERNS_18TensorIteratorBaseEENKUlvE_clEvENKUlvE0_clEvEUlfE_St5arrayIPcLm2EEEEviT0_T1_
    .private_segment_fixed_size: 0
    .sgpr_count:     35
    .sgpr_spill_count: 0
    .symbol:         _ZN2at6native29vectorized_elementwise_kernelILi8EZZZNS0_12_GLOBAL__N_130modified_bessel_i0_kernel_cudaERNS_18TensorIteratorBaseEENKUlvE_clEvENKUlvE0_clEvEUlfE_St5arrayIPcLm2EEEEviT0_T1_.kd
    .uniform_work_group_size: 1
    .uses_dynamic_stack: false
    .vgpr_count:     32
    .vgpr_spill_count: 0
    .wavefront_size: 32
  - .args:
      - .offset:         0
        .size:           4
        .value_kind:     by_value
      - .offset:         4
        .size:           1
        .value_kind:     by_value
      - .offset:         8
        .size:           16
        .value_kind:     by_value
    .group_segment_fixed_size: 0
    .kernarg_segment_align: 8
    .kernarg_segment_size: 24
    .language:       OpenCL C
    .language_version:
      - 2
      - 0
    .max_flat_workgroup_size: 256
    .name:           _ZN2at6native29vectorized_elementwise_kernelILi4EZZZNS0_12_GLOBAL__N_130modified_bessel_i0_kernel_cudaERNS_18TensorIteratorBaseEENKUlvE_clEvENKUlvE0_clEvEUlfE_St5arrayIPcLm2EEEEviT0_T1_
    .private_segment_fixed_size: 0
    .sgpr_count:     35
    .sgpr_spill_count: 0
    .symbol:         _ZN2at6native29vectorized_elementwise_kernelILi4EZZZNS0_12_GLOBAL__N_130modified_bessel_i0_kernel_cudaERNS_18TensorIteratorBaseEENKUlvE_clEvENKUlvE0_clEvEUlfE_St5arrayIPcLm2EEEEviT0_T1_.kd
    .uniform_work_group_size: 1
    .uses_dynamic_stack: false
    .vgpr_count:     32
    .vgpr_spill_count: 0
    .wavefront_size: 32
  - .args:
      - .offset:         0
        .size:           4
        .value_kind:     by_value
      - .offset:         4
        .size:           1
        .value_kind:     by_value
      - .offset:         8
        .size:           16
        .value_kind:     by_value
    .group_segment_fixed_size: 0
    .kernarg_segment_align: 8
    .kernarg_segment_size: 24
    .language:       OpenCL C
    .language_version:
      - 2
      - 0
    .max_flat_workgroup_size: 256
    .name:           _ZN2at6native29vectorized_elementwise_kernelILi2EZZZNS0_12_GLOBAL__N_130modified_bessel_i0_kernel_cudaERNS_18TensorIteratorBaseEENKUlvE_clEvENKUlvE0_clEvEUlfE_St5arrayIPcLm2EEEEviT0_T1_
    .private_segment_fixed_size: 0
    .sgpr_count:     35
    .sgpr_spill_count: 0
    .symbol:         _ZN2at6native29vectorized_elementwise_kernelILi2EZZZNS0_12_GLOBAL__N_130modified_bessel_i0_kernel_cudaERNS_18TensorIteratorBaseEENKUlvE_clEvENKUlvE0_clEvEUlfE_St5arrayIPcLm2EEEEviT0_T1_.kd
    .uniform_work_group_size: 1
    .uses_dynamic_stack: false
    .vgpr_count:     32
    .vgpr_spill_count: 0
    .wavefront_size: 32
  - .args:
      - .offset:         0
        .size:           4
        .value_kind:     by_value
      - .offset:         4
        .size:           1
        .value_kind:     by_value
      - .offset:         8
        .size:           16
        .value_kind:     by_value
      - .offset:         24
        .size:           1
        .value_kind:     by_value
      - .offset:         25
        .size:           1
        .value_kind:     by_value
      - .offset:         26
        .size:           1
        .value_kind:     by_value
      - .offset:         27
        .size:           1
        .value_kind:     by_value
    .group_segment_fixed_size: 0
    .kernarg_segment_align: 8
    .kernarg_segment_size: 28
    .language:       OpenCL C
    .language_version:
      - 2
      - 0
    .max_flat_workgroup_size: 256
    .name:           _ZN2at6native27unrolled_elementwise_kernelIZZZNS0_12_GLOBAL__N_130modified_bessel_i0_kernel_cudaERNS_18TensorIteratorBaseEENKUlvE_clEvENKUlvE0_clEvEUlfE_St5arrayIPcLm2EELi4E23TrivialOffsetCalculatorILi1EjESC_NS0_6memory15LoadWithoutCastENSD_16StoreWithoutCastEEEviT_T0_T2_T3_T4_T5_
    .private_segment_fixed_size: 0
    .sgpr_count:     35
    .sgpr_spill_count: 0
    .symbol:         _ZN2at6native27unrolled_elementwise_kernelIZZZNS0_12_GLOBAL__N_130modified_bessel_i0_kernel_cudaERNS_18TensorIteratorBaseEENKUlvE_clEvENKUlvE0_clEvEUlfE_St5arrayIPcLm2EELi4E23TrivialOffsetCalculatorILi1EjESC_NS0_6memory15LoadWithoutCastENSD_16StoreWithoutCastEEEviT_T0_T2_T3_T4_T5_.kd
    .uniform_work_group_size: 1
    .uses_dynamic_stack: false
    .vgpr_count:     32
    .vgpr_spill_count: 0
    .wavefront_size: 32
  - .args:
      - .offset:         0
        .size:           4
        .value_kind:     by_value
      - .offset:         8
        .size:           352
        .value_kind:     by_value
    .group_segment_fixed_size: 0
    .kernarg_segment_align: 8
    .kernarg_segment_size: 360
    .language:       OpenCL C
    .language_version:
      - 2
      - 0
    .max_flat_workgroup_size: 128
    .name:           _ZN2at6native32elementwise_kernel_manual_unrollILi128ELi4EZNS0_22gpu_kernel_impl_nocastIZZZNS0_12_GLOBAL__N_130modified_bessel_i0_kernel_cudaERNS_18TensorIteratorBaseEENKUlvE_clEvENKUlvE0_clEvEUlfE_EEvS5_RKT_EUlibE_EEviT1_
    .private_segment_fixed_size: 0
    .sgpr_count:     62
    .sgpr_spill_count: 0
    .symbol:         _ZN2at6native32elementwise_kernel_manual_unrollILi128ELi4EZNS0_22gpu_kernel_impl_nocastIZZZNS0_12_GLOBAL__N_130modified_bessel_i0_kernel_cudaERNS_18TensorIteratorBaseEENKUlvE_clEvENKUlvE0_clEvEUlfE_EEvS5_RKT_EUlibE_EEviT1_.kd
    .uniform_work_group_size: 1
    .uses_dynamic_stack: false
    .vgpr_count:     19
    .vgpr_spill_count: 0
    .wavefront_size: 32
  - .args:
      - .offset:         0
        .size:           4
        .value_kind:     by_value
      - .offset:         8
        .size:           32
        .value_kind:     by_value
    .group_segment_fixed_size: 0
    .kernarg_segment_align: 8
    .kernarg_segment_size: 40
    .language:       OpenCL C
    .language_version:
      - 2
      - 0
    .max_flat_workgroup_size: 128
    .name:           _ZN2at6native32elementwise_kernel_manual_unrollILi128ELi4EZNS0_15gpu_kernel_implIZZZNS0_12_GLOBAL__N_130modified_bessel_i0_kernel_cudaERNS_18TensorIteratorBaseEENKUlvE_clEvENKUlvE0_clEvEUlfE_EEvS5_RKT_EUlibE_EEviT1_
    .private_segment_fixed_size: 0
    .sgpr_count:     28
    .sgpr_spill_count: 0
    .symbol:         _ZN2at6native32elementwise_kernel_manual_unrollILi128ELi4EZNS0_15gpu_kernel_implIZZZNS0_12_GLOBAL__N_130modified_bessel_i0_kernel_cudaERNS_18TensorIteratorBaseEENKUlvE_clEvENKUlvE0_clEvEUlfE_EEvS5_RKT_EUlibE_EEviT1_.kd
    .uniform_work_group_size: 1
    .uses_dynamic_stack: false
    .vgpr_count:     16
    .vgpr_spill_count: 0
    .wavefront_size: 32
  - .args:
      - .offset:         0
        .size:           4
        .value_kind:     by_value
      - .offset:         8
        .size:           352
        .value_kind:     by_value
    .group_segment_fixed_size: 0
    .kernarg_segment_align: 8
    .kernarg_segment_size: 360
    .language:       OpenCL C
    .language_version:
      - 2
      - 0
    .max_flat_workgroup_size: 128
    .name:           _ZN2at6native32elementwise_kernel_manual_unrollILi128ELi4EZNS0_15gpu_kernel_implIZZZNS0_12_GLOBAL__N_130modified_bessel_i0_kernel_cudaERNS_18TensorIteratorBaseEENKUlvE_clEvENKUlvE0_clEvEUlfE_EEvS5_RKT_EUlibE0_EEviT1_
    .private_segment_fixed_size: 0
    .sgpr_count:     70
    .sgpr_spill_count: 0
    .symbol:         _ZN2at6native32elementwise_kernel_manual_unrollILi128ELi4EZNS0_15gpu_kernel_implIZZZNS0_12_GLOBAL__N_130modified_bessel_i0_kernel_cudaERNS_18TensorIteratorBaseEENKUlvE_clEvENKUlvE0_clEvEUlfE_EEvS5_RKT_EUlibE0_EEviT1_.kd
    .uniform_work_group_size: 1
    .uses_dynamic_stack: false
    .vgpr_count:     20
    .vgpr_spill_count: 0
    .wavefront_size: 32
amdhsa.target:   amdgcn-amd-amdhsa--gfx1250
amdhsa.version:
  - 1
  - 2
...

	.end_amdgpu_metadata
